;; amdgpu-corpus repo=ROCm/rocThrust kind=compiled arch=gfx1250 opt=O3
	.amdgcn_target "amdgcn-amd-amdhsa--gfx1250"
	.amdhsa_code_object_version 6
	.section	.text._ZN6thrust23THRUST_200600_302600_NS11hip_rocprim14__parallel_for6kernelILj256ENS1_10for_each_fINS0_7pointerINS0_5tupleIffNS0_9null_typeES7_S7_S7_S7_S7_S7_S7_EENS1_3tagENS0_11use_defaultESA_EENS0_6detail16wrapped_functionINSC_23allocator_traits_detail24construct1_via_allocatorINSC_18no_throw_allocatorINSC_19temporary_allocatorIS8_S9_EEEEEEvEEEEmLj1EEEvT0_T1_SO_,"axG",@progbits,_ZN6thrust23THRUST_200600_302600_NS11hip_rocprim14__parallel_for6kernelILj256ENS1_10for_each_fINS0_7pointerINS0_5tupleIffNS0_9null_typeES7_S7_S7_S7_S7_S7_S7_EENS1_3tagENS0_11use_defaultESA_EENS0_6detail16wrapped_functionINSC_23allocator_traits_detail24construct1_via_allocatorINSC_18no_throw_allocatorINSC_19temporary_allocatorIS8_S9_EEEEEEvEEEEmLj1EEEvT0_T1_SO_,comdat
	.protected	_ZN6thrust23THRUST_200600_302600_NS11hip_rocprim14__parallel_for6kernelILj256ENS1_10for_each_fINS0_7pointerINS0_5tupleIffNS0_9null_typeES7_S7_S7_S7_S7_S7_S7_EENS1_3tagENS0_11use_defaultESA_EENS0_6detail16wrapped_functionINSC_23allocator_traits_detail24construct1_via_allocatorINSC_18no_throw_allocatorINSC_19temporary_allocatorIS8_S9_EEEEEEvEEEEmLj1EEEvT0_T1_SO_ ; -- Begin function _ZN6thrust23THRUST_200600_302600_NS11hip_rocprim14__parallel_for6kernelILj256ENS1_10for_each_fINS0_7pointerINS0_5tupleIffNS0_9null_typeES7_S7_S7_S7_S7_S7_S7_EENS1_3tagENS0_11use_defaultESA_EENS0_6detail16wrapped_functionINSC_23allocator_traits_detail24construct1_via_allocatorINSC_18no_throw_allocatorINSC_19temporary_allocatorIS8_S9_EEEEEEvEEEEmLj1EEEvT0_T1_SO_
	.globl	_ZN6thrust23THRUST_200600_302600_NS11hip_rocprim14__parallel_for6kernelILj256ENS1_10for_each_fINS0_7pointerINS0_5tupleIffNS0_9null_typeES7_S7_S7_S7_S7_S7_S7_EENS1_3tagENS0_11use_defaultESA_EENS0_6detail16wrapped_functionINSC_23allocator_traits_detail24construct1_via_allocatorINSC_18no_throw_allocatorINSC_19temporary_allocatorIS8_S9_EEEEEEvEEEEmLj1EEEvT0_T1_SO_
	.p2align	8
	.type	_ZN6thrust23THRUST_200600_302600_NS11hip_rocprim14__parallel_for6kernelILj256ENS1_10for_each_fINS0_7pointerINS0_5tupleIffNS0_9null_typeES7_S7_S7_S7_S7_S7_S7_EENS1_3tagENS0_11use_defaultESA_EENS0_6detail16wrapped_functionINSC_23allocator_traits_detail24construct1_via_allocatorINSC_18no_throw_allocatorINSC_19temporary_allocatorIS8_S9_EEEEEEvEEEEmLj1EEEvT0_T1_SO_,@function
_ZN6thrust23THRUST_200600_302600_NS11hip_rocprim14__parallel_for6kernelILj256ENS1_10for_each_fINS0_7pointerINS0_5tupleIffNS0_9null_typeES7_S7_S7_S7_S7_S7_S7_EENS1_3tagENS0_11use_defaultESA_EENS0_6detail16wrapped_functionINSC_23allocator_traits_detail24construct1_via_allocatorINSC_18no_throw_allocatorINSC_19temporary_allocatorIS8_S9_EEEEEEvEEEEmLj1EEEvT0_T1_SO_: ; @_ZN6thrust23THRUST_200600_302600_NS11hip_rocprim14__parallel_for6kernelILj256ENS1_10for_each_fINS0_7pointerINS0_5tupleIffNS0_9null_typeES7_S7_S7_S7_S7_S7_S7_EENS1_3tagENS0_11use_defaultESA_EENS0_6detail16wrapped_functionINSC_23allocator_traits_detail24construct1_via_allocatorINSC_18no_throw_allocatorINSC_19temporary_allocatorIS8_S9_EEEEEEvEEEEmLj1EEEvT0_T1_SO_
; %bb.0:
	s_load_b128 s[4:7], s[0:1], 0x10
	s_bfe_u32 s2, ttmp6, 0x4000c
	s_and_b32 s3, ttmp6, 15
	s_add_co_i32 s2, s2, 1
	s_getreg_b32 s8, hwreg(HW_REG_IB_STS2, 6, 4)
	s_mul_i32 s2, ttmp9, s2
	s_wait_xcnt 0x0
	s_load_b64 s[0:1], s[0:1], 0x0
	s_add_co_i32 s3, s3, s2
	s_cmp_eq_u32 s8, 0
	s_cselect_b32 s2, ttmp9, s3
	s_mov_b32 s3, 0
	s_lshl_b32 s2, s2, 8
	s_wait_kmcnt 0x0
	s_add_nc_u64 s[2:3], s[6:7], s[2:3]
	s_delay_alu instid0(SALU_CYCLE_1) | instskip(NEXT) | instid1(SALU_CYCLE_1)
	s_sub_nc_u64 s[4:5], s[4:5], s[2:3]
	v_cmp_lt_u64_e64 s5, 0xff, s[4:5]
	s_and_b32 vcc_lo, exec_lo, s5
	s_mov_b32 s5, -1
	s_cbranch_vccz .LBB0_3
; %bb.1:
	s_and_not1_b32 vcc_lo, exec_lo, s5
	s_cbranch_vccz .LBB0_6
.LBB0_2:
	s_endpgm
.LBB0_3:
	v_cmp_gt_u32_e32 vcc_lo, s4, v0
	s_and_saveexec_b32 s4, vcc_lo
	s_cbranch_execz .LBB0_5
; %bb.4:
	v_mov_b64_e32 v[2:3], 0
	s_lshl_b64 s[6:7], s[2:3], 3
	s_delay_alu instid0(SALU_CYCLE_1)
	s_add_nc_u64 s[6:7], s[0:1], s[6:7]
	flat_store_b64 v0, v[2:3], s[6:7] scale_offset
.LBB0_5:
	s_wait_xcnt 0x0
	s_or_b32 exec_lo, exec_lo, s4
	s_cbranch_execnz .LBB0_2
.LBB0_6:
	v_mov_b64_e32 v[2:3], 0
	s_lshl_b64 s[2:3], s[2:3], 3
	s_delay_alu instid0(SALU_CYCLE_1)
	s_add_nc_u64 s[0:1], s[0:1], s[2:3]
	flat_store_b64 v0, v[2:3], s[0:1] scale_offset
	s_endpgm
	.section	.rodata,"a",@progbits
	.p2align	6, 0x0
	.amdhsa_kernel _ZN6thrust23THRUST_200600_302600_NS11hip_rocprim14__parallel_for6kernelILj256ENS1_10for_each_fINS0_7pointerINS0_5tupleIffNS0_9null_typeES7_S7_S7_S7_S7_S7_S7_EENS1_3tagENS0_11use_defaultESA_EENS0_6detail16wrapped_functionINSC_23allocator_traits_detail24construct1_via_allocatorINSC_18no_throw_allocatorINSC_19temporary_allocatorIS8_S9_EEEEEEvEEEEmLj1EEEvT0_T1_SO_
		.amdhsa_group_segment_fixed_size 0
		.amdhsa_private_segment_fixed_size 0
		.amdhsa_kernarg_size 32
		.amdhsa_user_sgpr_count 2
		.amdhsa_user_sgpr_dispatch_ptr 0
		.amdhsa_user_sgpr_queue_ptr 0
		.amdhsa_user_sgpr_kernarg_segment_ptr 1
		.amdhsa_user_sgpr_dispatch_id 0
		.amdhsa_user_sgpr_kernarg_preload_length 0
		.amdhsa_user_sgpr_kernarg_preload_offset 0
		.amdhsa_user_sgpr_private_segment_size 0
		.amdhsa_wavefront_size32 1
		.amdhsa_uses_dynamic_stack 0
		.amdhsa_enable_private_segment 0
		.amdhsa_system_sgpr_workgroup_id_x 1
		.amdhsa_system_sgpr_workgroup_id_y 0
		.amdhsa_system_sgpr_workgroup_id_z 0
		.amdhsa_system_sgpr_workgroup_info 0
		.amdhsa_system_vgpr_workitem_id 0
		.amdhsa_next_free_vgpr 4
		.amdhsa_next_free_sgpr 9
		.amdhsa_named_barrier_count 0
		.amdhsa_reserve_vcc 1
		.amdhsa_float_round_mode_32 0
		.amdhsa_float_round_mode_16_64 0
		.amdhsa_float_denorm_mode_32 3
		.amdhsa_float_denorm_mode_16_64 3
		.amdhsa_fp16_overflow 0
		.amdhsa_memory_ordered 1
		.amdhsa_forward_progress 1
		.amdhsa_inst_pref_size 2
		.amdhsa_round_robin_scheduling 0
		.amdhsa_exception_fp_ieee_invalid_op 0
		.amdhsa_exception_fp_denorm_src 0
		.amdhsa_exception_fp_ieee_div_zero 0
		.amdhsa_exception_fp_ieee_overflow 0
		.amdhsa_exception_fp_ieee_underflow 0
		.amdhsa_exception_fp_ieee_inexact 0
		.amdhsa_exception_int_div_zero 0
	.end_amdhsa_kernel
	.section	.text._ZN6thrust23THRUST_200600_302600_NS11hip_rocprim14__parallel_for6kernelILj256ENS1_10for_each_fINS0_7pointerINS0_5tupleIffNS0_9null_typeES7_S7_S7_S7_S7_S7_S7_EENS1_3tagENS0_11use_defaultESA_EENS0_6detail16wrapped_functionINSC_23allocator_traits_detail24construct1_via_allocatorINSC_18no_throw_allocatorINSC_19temporary_allocatorIS8_S9_EEEEEEvEEEEmLj1EEEvT0_T1_SO_,"axG",@progbits,_ZN6thrust23THRUST_200600_302600_NS11hip_rocprim14__parallel_for6kernelILj256ENS1_10for_each_fINS0_7pointerINS0_5tupleIffNS0_9null_typeES7_S7_S7_S7_S7_S7_S7_EENS1_3tagENS0_11use_defaultESA_EENS0_6detail16wrapped_functionINSC_23allocator_traits_detail24construct1_via_allocatorINSC_18no_throw_allocatorINSC_19temporary_allocatorIS8_S9_EEEEEEvEEEEmLj1EEEvT0_T1_SO_,comdat
.Lfunc_end0:
	.size	_ZN6thrust23THRUST_200600_302600_NS11hip_rocprim14__parallel_for6kernelILj256ENS1_10for_each_fINS0_7pointerINS0_5tupleIffNS0_9null_typeES7_S7_S7_S7_S7_S7_S7_EENS1_3tagENS0_11use_defaultESA_EENS0_6detail16wrapped_functionINSC_23allocator_traits_detail24construct1_via_allocatorINSC_18no_throw_allocatorINSC_19temporary_allocatorIS8_S9_EEEEEEvEEEEmLj1EEEvT0_T1_SO_, .Lfunc_end0-_ZN6thrust23THRUST_200600_302600_NS11hip_rocprim14__parallel_for6kernelILj256ENS1_10for_each_fINS0_7pointerINS0_5tupleIffNS0_9null_typeES7_S7_S7_S7_S7_S7_S7_EENS1_3tagENS0_11use_defaultESA_EENS0_6detail16wrapped_functionINSC_23allocator_traits_detail24construct1_via_allocatorINSC_18no_throw_allocatorINSC_19temporary_allocatorIS8_S9_EEEEEEvEEEEmLj1EEEvT0_T1_SO_
                                        ; -- End function
	.set _ZN6thrust23THRUST_200600_302600_NS11hip_rocprim14__parallel_for6kernelILj256ENS1_10for_each_fINS0_7pointerINS0_5tupleIffNS0_9null_typeES7_S7_S7_S7_S7_S7_S7_EENS1_3tagENS0_11use_defaultESA_EENS0_6detail16wrapped_functionINSC_23allocator_traits_detail24construct1_via_allocatorINSC_18no_throw_allocatorINSC_19temporary_allocatorIS8_S9_EEEEEEvEEEEmLj1EEEvT0_T1_SO_.num_vgpr, 4
	.set _ZN6thrust23THRUST_200600_302600_NS11hip_rocprim14__parallel_for6kernelILj256ENS1_10for_each_fINS0_7pointerINS0_5tupleIffNS0_9null_typeES7_S7_S7_S7_S7_S7_S7_EENS1_3tagENS0_11use_defaultESA_EENS0_6detail16wrapped_functionINSC_23allocator_traits_detail24construct1_via_allocatorINSC_18no_throw_allocatorINSC_19temporary_allocatorIS8_S9_EEEEEEvEEEEmLj1EEEvT0_T1_SO_.num_agpr, 0
	.set _ZN6thrust23THRUST_200600_302600_NS11hip_rocprim14__parallel_for6kernelILj256ENS1_10for_each_fINS0_7pointerINS0_5tupleIffNS0_9null_typeES7_S7_S7_S7_S7_S7_S7_EENS1_3tagENS0_11use_defaultESA_EENS0_6detail16wrapped_functionINSC_23allocator_traits_detail24construct1_via_allocatorINSC_18no_throw_allocatorINSC_19temporary_allocatorIS8_S9_EEEEEEvEEEEmLj1EEEvT0_T1_SO_.numbered_sgpr, 9
	.set _ZN6thrust23THRUST_200600_302600_NS11hip_rocprim14__parallel_for6kernelILj256ENS1_10for_each_fINS0_7pointerINS0_5tupleIffNS0_9null_typeES7_S7_S7_S7_S7_S7_S7_EENS1_3tagENS0_11use_defaultESA_EENS0_6detail16wrapped_functionINSC_23allocator_traits_detail24construct1_via_allocatorINSC_18no_throw_allocatorINSC_19temporary_allocatorIS8_S9_EEEEEEvEEEEmLj1EEEvT0_T1_SO_.num_named_barrier, 0
	.set _ZN6thrust23THRUST_200600_302600_NS11hip_rocprim14__parallel_for6kernelILj256ENS1_10for_each_fINS0_7pointerINS0_5tupleIffNS0_9null_typeES7_S7_S7_S7_S7_S7_S7_EENS1_3tagENS0_11use_defaultESA_EENS0_6detail16wrapped_functionINSC_23allocator_traits_detail24construct1_via_allocatorINSC_18no_throw_allocatorINSC_19temporary_allocatorIS8_S9_EEEEEEvEEEEmLj1EEEvT0_T1_SO_.private_seg_size, 0
	.set _ZN6thrust23THRUST_200600_302600_NS11hip_rocprim14__parallel_for6kernelILj256ENS1_10for_each_fINS0_7pointerINS0_5tupleIffNS0_9null_typeES7_S7_S7_S7_S7_S7_S7_EENS1_3tagENS0_11use_defaultESA_EENS0_6detail16wrapped_functionINSC_23allocator_traits_detail24construct1_via_allocatorINSC_18no_throw_allocatorINSC_19temporary_allocatorIS8_S9_EEEEEEvEEEEmLj1EEEvT0_T1_SO_.uses_vcc, 1
	.set _ZN6thrust23THRUST_200600_302600_NS11hip_rocprim14__parallel_for6kernelILj256ENS1_10for_each_fINS0_7pointerINS0_5tupleIffNS0_9null_typeES7_S7_S7_S7_S7_S7_S7_EENS1_3tagENS0_11use_defaultESA_EENS0_6detail16wrapped_functionINSC_23allocator_traits_detail24construct1_via_allocatorINSC_18no_throw_allocatorINSC_19temporary_allocatorIS8_S9_EEEEEEvEEEEmLj1EEEvT0_T1_SO_.uses_flat_scratch, 0
	.set _ZN6thrust23THRUST_200600_302600_NS11hip_rocprim14__parallel_for6kernelILj256ENS1_10for_each_fINS0_7pointerINS0_5tupleIffNS0_9null_typeES7_S7_S7_S7_S7_S7_S7_EENS1_3tagENS0_11use_defaultESA_EENS0_6detail16wrapped_functionINSC_23allocator_traits_detail24construct1_via_allocatorINSC_18no_throw_allocatorINSC_19temporary_allocatorIS8_S9_EEEEEEvEEEEmLj1EEEvT0_T1_SO_.has_dyn_sized_stack, 0
	.set _ZN6thrust23THRUST_200600_302600_NS11hip_rocprim14__parallel_for6kernelILj256ENS1_10for_each_fINS0_7pointerINS0_5tupleIffNS0_9null_typeES7_S7_S7_S7_S7_S7_S7_EENS1_3tagENS0_11use_defaultESA_EENS0_6detail16wrapped_functionINSC_23allocator_traits_detail24construct1_via_allocatorINSC_18no_throw_allocatorINSC_19temporary_allocatorIS8_S9_EEEEEEvEEEEmLj1EEEvT0_T1_SO_.has_recursion, 0
	.set _ZN6thrust23THRUST_200600_302600_NS11hip_rocprim14__parallel_for6kernelILj256ENS1_10for_each_fINS0_7pointerINS0_5tupleIffNS0_9null_typeES7_S7_S7_S7_S7_S7_S7_EENS1_3tagENS0_11use_defaultESA_EENS0_6detail16wrapped_functionINSC_23allocator_traits_detail24construct1_via_allocatorINSC_18no_throw_allocatorINSC_19temporary_allocatorIS8_S9_EEEEEEvEEEEmLj1EEEvT0_T1_SO_.has_indirect_call, 0
	.section	.AMDGPU.csdata,"",@progbits
; Kernel info:
; codeLenInByte = 200
; TotalNumSgprs: 11
; NumVgprs: 4
; ScratchSize: 0
; MemoryBound: 0
; FloatMode: 240
; IeeeMode: 1
; LDSByteSize: 0 bytes/workgroup (compile time only)
; SGPRBlocks: 0
; VGPRBlocks: 0
; NumSGPRsForWavesPerEU: 11
; NumVGPRsForWavesPerEU: 4
; NamedBarCnt: 0
; Occupancy: 16
; WaveLimiterHint : 0
; COMPUTE_PGM_RSRC2:SCRATCH_EN: 0
; COMPUTE_PGM_RSRC2:USER_SGPR: 2
; COMPUTE_PGM_RSRC2:TRAP_HANDLER: 0
; COMPUTE_PGM_RSRC2:TGID_X_EN: 1
; COMPUTE_PGM_RSRC2:TGID_Y_EN: 0
; COMPUTE_PGM_RSRC2:TGID_Z_EN: 0
; COMPUTE_PGM_RSRC2:TIDIG_COMP_CNT: 0
	.section	.text._ZN6thrust23THRUST_200600_302600_NS11hip_rocprim14__parallel_for6kernelILj256ENS1_10for_each_fINS0_7pointerINS0_5tupleIffNS0_9null_typeES7_S7_S7_S7_S7_S7_S7_EENS1_3tagENS0_11use_defaultESA_EENS0_6detail16wrapped_functionINSC_23allocator_traits_detail5gozerEvEEEElLj1EEEvT0_T1_SJ_,"axG",@progbits,_ZN6thrust23THRUST_200600_302600_NS11hip_rocprim14__parallel_for6kernelILj256ENS1_10for_each_fINS0_7pointerINS0_5tupleIffNS0_9null_typeES7_S7_S7_S7_S7_S7_S7_EENS1_3tagENS0_11use_defaultESA_EENS0_6detail16wrapped_functionINSC_23allocator_traits_detail5gozerEvEEEElLj1EEEvT0_T1_SJ_,comdat
	.protected	_ZN6thrust23THRUST_200600_302600_NS11hip_rocprim14__parallel_for6kernelILj256ENS1_10for_each_fINS0_7pointerINS0_5tupleIffNS0_9null_typeES7_S7_S7_S7_S7_S7_S7_EENS1_3tagENS0_11use_defaultESA_EENS0_6detail16wrapped_functionINSC_23allocator_traits_detail5gozerEvEEEElLj1EEEvT0_T1_SJ_ ; -- Begin function _ZN6thrust23THRUST_200600_302600_NS11hip_rocprim14__parallel_for6kernelILj256ENS1_10for_each_fINS0_7pointerINS0_5tupleIffNS0_9null_typeES7_S7_S7_S7_S7_S7_S7_EENS1_3tagENS0_11use_defaultESA_EENS0_6detail16wrapped_functionINSC_23allocator_traits_detail5gozerEvEEEElLj1EEEvT0_T1_SJ_
	.globl	_ZN6thrust23THRUST_200600_302600_NS11hip_rocprim14__parallel_for6kernelILj256ENS1_10for_each_fINS0_7pointerINS0_5tupleIffNS0_9null_typeES7_S7_S7_S7_S7_S7_S7_EENS1_3tagENS0_11use_defaultESA_EENS0_6detail16wrapped_functionINSC_23allocator_traits_detail5gozerEvEEEElLj1EEEvT0_T1_SJ_
	.p2align	8
	.type	_ZN6thrust23THRUST_200600_302600_NS11hip_rocprim14__parallel_for6kernelILj256ENS1_10for_each_fINS0_7pointerINS0_5tupleIffNS0_9null_typeES7_S7_S7_S7_S7_S7_S7_EENS1_3tagENS0_11use_defaultESA_EENS0_6detail16wrapped_functionINSC_23allocator_traits_detail5gozerEvEEEElLj1EEEvT0_T1_SJ_,@function
_ZN6thrust23THRUST_200600_302600_NS11hip_rocprim14__parallel_for6kernelILj256ENS1_10for_each_fINS0_7pointerINS0_5tupleIffNS0_9null_typeES7_S7_S7_S7_S7_S7_S7_EENS1_3tagENS0_11use_defaultESA_EENS0_6detail16wrapped_functionINSC_23allocator_traits_detail5gozerEvEEEElLj1EEEvT0_T1_SJ_: ; @_ZN6thrust23THRUST_200600_302600_NS11hip_rocprim14__parallel_for6kernelILj256ENS1_10for_each_fINS0_7pointerINS0_5tupleIffNS0_9null_typeES7_S7_S7_S7_S7_S7_S7_EENS1_3tagENS0_11use_defaultESA_EENS0_6detail16wrapped_functionINSC_23allocator_traits_detail5gozerEvEEEElLj1EEEvT0_T1_SJ_
; %bb.0:
	s_endpgm
	.section	.rodata,"a",@progbits
	.p2align	6, 0x0
	.amdhsa_kernel _ZN6thrust23THRUST_200600_302600_NS11hip_rocprim14__parallel_for6kernelILj256ENS1_10for_each_fINS0_7pointerINS0_5tupleIffNS0_9null_typeES7_S7_S7_S7_S7_S7_S7_EENS1_3tagENS0_11use_defaultESA_EENS0_6detail16wrapped_functionINSC_23allocator_traits_detail5gozerEvEEEElLj1EEEvT0_T1_SJ_
		.amdhsa_group_segment_fixed_size 0
		.amdhsa_private_segment_fixed_size 0
		.amdhsa_kernarg_size 32
		.amdhsa_user_sgpr_count 2
		.amdhsa_user_sgpr_dispatch_ptr 0
		.amdhsa_user_sgpr_queue_ptr 0
		.amdhsa_user_sgpr_kernarg_segment_ptr 1
		.amdhsa_user_sgpr_dispatch_id 0
		.amdhsa_user_sgpr_kernarg_preload_length 0
		.amdhsa_user_sgpr_kernarg_preload_offset 0
		.amdhsa_user_sgpr_private_segment_size 0
		.amdhsa_wavefront_size32 1
		.amdhsa_uses_dynamic_stack 0
		.amdhsa_enable_private_segment 0
		.amdhsa_system_sgpr_workgroup_id_x 1
		.amdhsa_system_sgpr_workgroup_id_y 0
		.amdhsa_system_sgpr_workgroup_id_z 0
		.amdhsa_system_sgpr_workgroup_info 0
		.amdhsa_system_vgpr_workitem_id 0
		.amdhsa_next_free_vgpr 1
		.amdhsa_next_free_sgpr 1
		.amdhsa_named_barrier_count 0
		.amdhsa_reserve_vcc 0
		.amdhsa_float_round_mode_32 0
		.amdhsa_float_round_mode_16_64 0
		.amdhsa_float_denorm_mode_32 3
		.amdhsa_float_denorm_mode_16_64 3
		.amdhsa_fp16_overflow 0
		.amdhsa_memory_ordered 1
		.amdhsa_forward_progress 1
		.amdhsa_inst_pref_size 1
		.amdhsa_round_robin_scheduling 0
		.amdhsa_exception_fp_ieee_invalid_op 0
		.amdhsa_exception_fp_denorm_src 0
		.amdhsa_exception_fp_ieee_div_zero 0
		.amdhsa_exception_fp_ieee_overflow 0
		.amdhsa_exception_fp_ieee_underflow 0
		.amdhsa_exception_fp_ieee_inexact 0
		.amdhsa_exception_int_div_zero 0
	.end_amdhsa_kernel
	.section	.text._ZN6thrust23THRUST_200600_302600_NS11hip_rocprim14__parallel_for6kernelILj256ENS1_10for_each_fINS0_7pointerINS0_5tupleIffNS0_9null_typeES7_S7_S7_S7_S7_S7_S7_EENS1_3tagENS0_11use_defaultESA_EENS0_6detail16wrapped_functionINSC_23allocator_traits_detail5gozerEvEEEElLj1EEEvT0_T1_SJ_,"axG",@progbits,_ZN6thrust23THRUST_200600_302600_NS11hip_rocprim14__parallel_for6kernelILj256ENS1_10for_each_fINS0_7pointerINS0_5tupleIffNS0_9null_typeES7_S7_S7_S7_S7_S7_S7_EENS1_3tagENS0_11use_defaultESA_EENS0_6detail16wrapped_functionINSC_23allocator_traits_detail5gozerEvEEEElLj1EEEvT0_T1_SJ_,comdat
.Lfunc_end1:
	.size	_ZN6thrust23THRUST_200600_302600_NS11hip_rocprim14__parallel_for6kernelILj256ENS1_10for_each_fINS0_7pointerINS0_5tupleIffNS0_9null_typeES7_S7_S7_S7_S7_S7_S7_EENS1_3tagENS0_11use_defaultESA_EENS0_6detail16wrapped_functionINSC_23allocator_traits_detail5gozerEvEEEElLj1EEEvT0_T1_SJ_, .Lfunc_end1-_ZN6thrust23THRUST_200600_302600_NS11hip_rocprim14__parallel_for6kernelILj256ENS1_10for_each_fINS0_7pointerINS0_5tupleIffNS0_9null_typeES7_S7_S7_S7_S7_S7_S7_EENS1_3tagENS0_11use_defaultESA_EENS0_6detail16wrapped_functionINSC_23allocator_traits_detail5gozerEvEEEElLj1EEEvT0_T1_SJ_
                                        ; -- End function
	.set _ZN6thrust23THRUST_200600_302600_NS11hip_rocprim14__parallel_for6kernelILj256ENS1_10for_each_fINS0_7pointerINS0_5tupleIffNS0_9null_typeES7_S7_S7_S7_S7_S7_S7_EENS1_3tagENS0_11use_defaultESA_EENS0_6detail16wrapped_functionINSC_23allocator_traits_detail5gozerEvEEEElLj1EEEvT0_T1_SJ_.num_vgpr, 0
	.set _ZN6thrust23THRUST_200600_302600_NS11hip_rocprim14__parallel_for6kernelILj256ENS1_10for_each_fINS0_7pointerINS0_5tupleIffNS0_9null_typeES7_S7_S7_S7_S7_S7_S7_EENS1_3tagENS0_11use_defaultESA_EENS0_6detail16wrapped_functionINSC_23allocator_traits_detail5gozerEvEEEElLj1EEEvT0_T1_SJ_.num_agpr, 0
	.set _ZN6thrust23THRUST_200600_302600_NS11hip_rocprim14__parallel_for6kernelILj256ENS1_10for_each_fINS0_7pointerINS0_5tupleIffNS0_9null_typeES7_S7_S7_S7_S7_S7_S7_EENS1_3tagENS0_11use_defaultESA_EENS0_6detail16wrapped_functionINSC_23allocator_traits_detail5gozerEvEEEElLj1EEEvT0_T1_SJ_.numbered_sgpr, 0
	.set _ZN6thrust23THRUST_200600_302600_NS11hip_rocprim14__parallel_for6kernelILj256ENS1_10for_each_fINS0_7pointerINS0_5tupleIffNS0_9null_typeES7_S7_S7_S7_S7_S7_S7_EENS1_3tagENS0_11use_defaultESA_EENS0_6detail16wrapped_functionINSC_23allocator_traits_detail5gozerEvEEEElLj1EEEvT0_T1_SJ_.num_named_barrier, 0
	.set _ZN6thrust23THRUST_200600_302600_NS11hip_rocprim14__parallel_for6kernelILj256ENS1_10for_each_fINS0_7pointerINS0_5tupleIffNS0_9null_typeES7_S7_S7_S7_S7_S7_S7_EENS1_3tagENS0_11use_defaultESA_EENS0_6detail16wrapped_functionINSC_23allocator_traits_detail5gozerEvEEEElLj1EEEvT0_T1_SJ_.private_seg_size, 0
	.set _ZN6thrust23THRUST_200600_302600_NS11hip_rocprim14__parallel_for6kernelILj256ENS1_10for_each_fINS0_7pointerINS0_5tupleIffNS0_9null_typeES7_S7_S7_S7_S7_S7_S7_EENS1_3tagENS0_11use_defaultESA_EENS0_6detail16wrapped_functionINSC_23allocator_traits_detail5gozerEvEEEElLj1EEEvT0_T1_SJ_.uses_vcc, 0
	.set _ZN6thrust23THRUST_200600_302600_NS11hip_rocprim14__parallel_for6kernelILj256ENS1_10for_each_fINS0_7pointerINS0_5tupleIffNS0_9null_typeES7_S7_S7_S7_S7_S7_S7_EENS1_3tagENS0_11use_defaultESA_EENS0_6detail16wrapped_functionINSC_23allocator_traits_detail5gozerEvEEEElLj1EEEvT0_T1_SJ_.uses_flat_scratch, 0
	.set _ZN6thrust23THRUST_200600_302600_NS11hip_rocprim14__parallel_for6kernelILj256ENS1_10for_each_fINS0_7pointerINS0_5tupleIffNS0_9null_typeES7_S7_S7_S7_S7_S7_S7_EENS1_3tagENS0_11use_defaultESA_EENS0_6detail16wrapped_functionINSC_23allocator_traits_detail5gozerEvEEEElLj1EEEvT0_T1_SJ_.has_dyn_sized_stack, 0
	.set _ZN6thrust23THRUST_200600_302600_NS11hip_rocprim14__parallel_for6kernelILj256ENS1_10for_each_fINS0_7pointerINS0_5tupleIffNS0_9null_typeES7_S7_S7_S7_S7_S7_S7_EENS1_3tagENS0_11use_defaultESA_EENS0_6detail16wrapped_functionINSC_23allocator_traits_detail5gozerEvEEEElLj1EEEvT0_T1_SJ_.has_recursion, 0
	.set _ZN6thrust23THRUST_200600_302600_NS11hip_rocprim14__parallel_for6kernelILj256ENS1_10for_each_fINS0_7pointerINS0_5tupleIffNS0_9null_typeES7_S7_S7_S7_S7_S7_S7_EENS1_3tagENS0_11use_defaultESA_EENS0_6detail16wrapped_functionINSC_23allocator_traits_detail5gozerEvEEEElLj1EEEvT0_T1_SJ_.has_indirect_call, 0
	.section	.AMDGPU.csdata,"",@progbits
; Kernel info:
; codeLenInByte = 4
; TotalNumSgprs: 0
; NumVgprs: 0
; ScratchSize: 0
; MemoryBound: 0
; FloatMode: 240
; IeeeMode: 1
; LDSByteSize: 0 bytes/workgroup (compile time only)
; SGPRBlocks: 0
; VGPRBlocks: 0
; NumSGPRsForWavesPerEU: 1
; NumVGPRsForWavesPerEU: 1
; NamedBarCnt: 0
; Occupancy: 16
; WaveLimiterHint : 0
; COMPUTE_PGM_RSRC2:SCRATCH_EN: 0
; COMPUTE_PGM_RSRC2:USER_SGPR: 2
; COMPUTE_PGM_RSRC2:TRAP_HANDLER: 0
; COMPUTE_PGM_RSRC2:TGID_X_EN: 1
; COMPUTE_PGM_RSRC2:TGID_Y_EN: 0
; COMPUTE_PGM_RSRC2:TGID_Z_EN: 0
; COMPUTE_PGM_RSRC2:TIDIG_COMP_CNT: 0
	.section	.text._ZN6thrust23THRUST_200600_302600_NS11hip_rocprim14__parallel_for6kernelILj256ENS1_11__transform17unary_transform_fINS0_7pointerINS0_5tupleIffNS0_9null_typeES8_S8_S8_S8_S8_S8_S8_EENS1_3tagENS0_11use_defaultESB_EENS0_10device_ptrIS9_EENS4_14no_stencil_tagENS0_8identityIS9_EENS4_21always_true_predicateEEElLj1EEEvT0_T1_SL_,"axG",@progbits,_ZN6thrust23THRUST_200600_302600_NS11hip_rocprim14__parallel_for6kernelILj256ENS1_11__transform17unary_transform_fINS0_7pointerINS0_5tupleIffNS0_9null_typeES8_S8_S8_S8_S8_S8_S8_EENS1_3tagENS0_11use_defaultESB_EENS0_10device_ptrIS9_EENS4_14no_stencil_tagENS0_8identityIS9_EENS4_21always_true_predicateEEElLj1EEEvT0_T1_SL_,comdat
	.protected	_ZN6thrust23THRUST_200600_302600_NS11hip_rocprim14__parallel_for6kernelILj256ENS1_11__transform17unary_transform_fINS0_7pointerINS0_5tupleIffNS0_9null_typeES8_S8_S8_S8_S8_S8_S8_EENS1_3tagENS0_11use_defaultESB_EENS0_10device_ptrIS9_EENS4_14no_stencil_tagENS0_8identityIS9_EENS4_21always_true_predicateEEElLj1EEEvT0_T1_SL_ ; -- Begin function _ZN6thrust23THRUST_200600_302600_NS11hip_rocprim14__parallel_for6kernelILj256ENS1_11__transform17unary_transform_fINS0_7pointerINS0_5tupleIffNS0_9null_typeES8_S8_S8_S8_S8_S8_S8_EENS1_3tagENS0_11use_defaultESB_EENS0_10device_ptrIS9_EENS4_14no_stencil_tagENS0_8identityIS9_EENS4_21always_true_predicateEEElLj1EEEvT0_T1_SL_
	.globl	_ZN6thrust23THRUST_200600_302600_NS11hip_rocprim14__parallel_for6kernelILj256ENS1_11__transform17unary_transform_fINS0_7pointerINS0_5tupleIffNS0_9null_typeES8_S8_S8_S8_S8_S8_S8_EENS1_3tagENS0_11use_defaultESB_EENS0_10device_ptrIS9_EENS4_14no_stencil_tagENS0_8identityIS9_EENS4_21always_true_predicateEEElLj1EEEvT0_T1_SL_
	.p2align	8
	.type	_ZN6thrust23THRUST_200600_302600_NS11hip_rocprim14__parallel_for6kernelILj256ENS1_11__transform17unary_transform_fINS0_7pointerINS0_5tupleIffNS0_9null_typeES8_S8_S8_S8_S8_S8_S8_EENS1_3tagENS0_11use_defaultESB_EENS0_10device_ptrIS9_EENS4_14no_stencil_tagENS0_8identityIS9_EENS4_21always_true_predicateEEElLj1EEEvT0_T1_SL_,@function
_ZN6thrust23THRUST_200600_302600_NS11hip_rocprim14__parallel_for6kernelILj256ENS1_11__transform17unary_transform_fINS0_7pointerINS0_5tupleIffNS0_9null_typeES8_S8_S8_S8_S8_S8_S8_EENS1_3tagENS0_11use_defaultESB_EENS0_10device_ptrIS9_EENS4_14no_stencil_tagENS0_8identityIS9_EENS4_21always_true_predicateEEElLj1EEEvT0_T1_SL_: ; @_ZN6thrust23THRUST_200600_302600_NS11hip_rocprim14__parallel_for6kernelILj256ENS1_11__transform17unary_transform_fINS0_7pointerINS0_5tupleIffNS0_9null_typeES8_S8_S8_S8_S8_S8_S8_EENS1_3tagENS0_11use_defaultESB_EENS0_10device_ptrIS9_EENS4_14no_stencil_tagENS0_8identityIS9_EENS4_21always_true_predicateEEElLj1EEEvT0_T1_SL_
; %bb.0:
	s_load_b128 s[4:7], s[0:1], 0x18
	s_bfe_u32 s2, ttmp6, 0x4000c
	s_and_b32 s3, ttmp6, 15
	s_add_co_i32 s2, s2, 1
	s_getreg_b32 s8, hwreg(HW_REG_IB_STS2, 6, 4)
	s_mul_i32 s2, ttmp9, s2
	s_delay_alu instid0(SALU_CYCLE_1)
	s_add_co_i32 s3, s3, s2
	s_cmp_eq_u32 s8, 0
	s_cselect_b32 s2, ttmp9, s3
	s_mov_b32 s3, 0
	s_lshl_b32 s2, s2, 8
	s_wait_kmcnt 0x0
	s_add_nc_u64 s[2:3], s[6:7], s[2:3]
	s_delay_alu instid0(SALU_CYCLE_1) | instskip(NEXT) | instid1(SALU_CYCLE_1)
	s_sub_nc_u64 s[4:5], s[4:5], s[2:3]
	v_min_i64 v[2:3], 0x100, s[4:5]
	s_load_b128 s[4:7], s[0:1], 0x0
	s_wait_xcnt 0x0
	s_mov_b32 s0, -1
	s_delay_alu instid0(VALU_DEP_1)
	v_cmp_eq_u32_e32 vcc_lo, 0x100, v2
	s_cbranch_vccz .LBB2_3
; %bb.1:
	s_and_not1_b32 vcc_lo, exec_lo, s0
	s_cbranch_vccz .LBB2_6
.LBB2_2:
	s_endpgm
.LBB2_3:
	s_mov_b32 s0, exec_lo
	v_cmpx_lt_u32_e64 v0, v2
	s_cbranch_execz .LBB2_5
; %bb.4:
	v_mov_b32_e32 v1, 0
	s_delay_alu instid0(VALU_DEP_1) | instskip(NEXT) | instid1(VALU_DEP_1)
	v_add_nc_u64_e32 v[2:3], s[2:3], v[0:1]
	v_lshlrev_b64_e32 v[2:3], 3, v[2:3]
	s_wait_kmcnt 0x0
	s_delay_alu instid0(VALU_DEP_1)
	v_add_nc_u64_e32 v[4:5], s[4:5], v[2:3]
	v_add_nc_u64_e32 v[2:3], s[6:7], v[2:3]
	flat_load_b64 v[4:5], v[4:5]
	s_wait_loadcnt_dscnt 0x0
	flat_store_b64 v[2:3], v[4:5]
.LBB2_5:
	s_wait_xcnt 0x0
	s_or_b32 exec_lo, exec_lo, s0
	s_cbranch_execnz .LBB2_2
.LBB2_6:
	v_mov_b32_e32 v1, 0
	s_delay_alu instid0(VALU_DEP_1) | instskip(NEXT) | instid1(VALU_DEP_1)
	v_add_nc_u64_e32 v[0:1], s[2:3], v[0:1]
	v_lshlrev_b64_e32 v[0:1], 3, v[0:1]
	s_wait_kmcnt 0x0
	s_delay_alu instid0(VALU_DEP_1)
	v_add_nc_u64_e32 v[2:3], s[4:5], v[0:1]
	v_add_nc_u64_e32 v[0:1], s[6:7], v[0:1]
	flat_load_b64 v[2:3], v[2:3]
	s_wait_loadcnt_dscnt 0x0
	flat_store_b64 v[0:1], v[2:3]
	s_endpgm
	.section	.rodata,"a",@progbits
	.p2align	6, 0x0
	.amdhsa_kernel _ZN6thrust23THRUST_200600_302600_NS11hip_rocprim14__parallel_for6kernelILj256ENS1_11__transform17unary_transform_fINS0_7pointerINS0_5tupleIffNS0_9null_typeES8_S8_S8_S8_S8_S8_S8_EENS1_3tagENS0_11use_defaultESB_EENS0_10device_ptrIS9_EENS4_14no_stencil_tagENS0_8identityIS9_EENS4_21always_true_predicateEEElLj1EEEvT0_T1_SL_
		.amdhsa_group_segment_fixed_size 0
		.amdhsa_private_segment_fixed_size 0
		.amdhsa_kernarg_size 40
		.amdhsa_user_sgpr_count 2
		.amdhsa_user_sgpr_dispatch_ptr 0
		.amdhsa_user_sgpr_queue_ptr 0
		.amdhsa_user_sgpr_kernarg_segment_ptr 1
		.amdhsa_user_sgpr_dispatch_id 0
		.amdhsa_user_sgpr_kernarg_preload_length 0
		.amdhsa_user_sgpr_kernarg_preload_offset 0
		.amdhsa_user_sgpr_private_segment_size 0
		.amdhsa_wavefront_size32 1
		.amdhsa_uses_dynamic_stack 0
		.amdhsa_enable_private_segment 0
		.amdhsa_system_sgpr_workgroup_id_x 1
		.amdhsa_system_sgpr_workgroup_id_y 0
		.amdhsa_system_sgpr_workgroup_id_z 0
		.amdhsa_system_sgpr_workgroup_info 0
		.amdhsa_system_vgpr_workitem_id 0
		.amdhsa_next_free_vgpr 6
		.amdhsa_next_free_sgpr 9
		.amdhsa_named_barrier_count 0
		.amdhsa_reserve_vcc 1
		.amdhsa_float_round_mode_32 0
		.amdhsa_float_round_mode_16_64 0
		.amdhsa_float_denorm_mode_32 3
		.amdhsa_float_denorm_mode_16_64 3
		.amdhsa_fp16_overflow 0
		.amdhsa_memory_ordered 1
		.amdhsa_forward_progress 1
		.amdhsa_inst_pref_size 3
		.amdhsa_round_robin_scheduling 0
		.amdhsa_exception_fp_ieee_invalid_op 0
		.amdhsa_exception_fp_denorm_src 0
		.amdhsa_exception_fp_ieee_div_zero 0
		.amdhsa_exception_fp_ieee_overflow 0
		.amdhsa_exception_fp_ieee_underflow 0
		.amdhsa_exception_fp_ieee_inexact 0
		.amdhsa_exception_int_div_zero 0
	.end_amdhsa_kernel
	.section	.text._ZN6thrust23THRUST_200600_302600_NS11hip_rocprim14__parallel_for6kernelILj256ENS1_11__transform17unary_transform_fINS0_7pointerINS0_5tupleIffNS0_9null_typeES8_S8_S8_S8_S8_S8_S8_EENS1_3tagENS0_11use_defaultESB_EENS0_10device_ptrIS9_EENS4_14no_stencil_tagENS0_8identityIS9_EENS4_21always_true_predicateEEElLj1EEEvT0_T1_SL_,"axG",@progbits,_ZN6thrust23THRUST_200600_302600_NS11hip_rocprim14__parallel_for6kernelILj256ENS1_11__transform17unary_transform_fINS0_7pointerINS0_5tupleIffNS0_9null_typeES8_S8_S8_S8_S8_S8_S8_EENS1_3tagENS0_11use_defaultESB_EENS0_10device_ptrIS9_EENS4_14no_stencil_tagENS0_8identityIS9_EENS4_21always_true_predicateEEElLj1EEEvT0_T1_SL_,comdat
.Lfunc_end2:
	.size	_ZN6thrust23THRUST_200600_302600_NS11hip_rocprim14__parallel_for6kernelILj256ENS1_11__transform17unary_transform_fINS0_7pointerINS0_5tupleIffNS0_9null_typeES8_S8_S8_S8_S8_S8_S8_EENS1_3tagENS0_11use_defaultESB_EENS0_10device_ptrIS9_EENS4_14no_stencil_tagENS0_8identityIS9_EENS4_21always_true_predicateEEElLj1EEEvT0_T1_SL_, .Lfunc_end2-_ZN6thrust23THRUST_200600_302600_NS11hip_rocprim14__parallel_for6kernelILj256ENS1_11__transform17unary_transform_fINS0_7pointerINS0_5tupleIffNS0_9null_typeES8_S8_S8_S8_S8_S8_S8_EENS1_3tagENS0_11use_defaultESB_EENS0_10device_ptrIS9_EENS4_14no_stencil_tagENS0_8identityIS9_EENS4_21always_true_predicateEEElLj1EEEvT0_T1_SL_
                                        ; -- End function
	.set _ZN6thrust23THRUST_200600_302600_NS11hip_rocprim14__parallel_for6kernelILj256ENS1_11__transform17unary_transform_fINS0_7pointerINS0_5tupleIffNS0_9null_typeES8_S8_S8_S8_S8_S8_S8_EENS1_3tagENS0_11use_defaultESB_EENS0_10device_ptrIS9_EENS4_14no_stencil_tagENS0_8identityIS9_EENS4_21always_true_predicateEEElLj1EEEvT0_T1_SL_.num_vgpr, 6
	.set _ZN6thrust23THRUST_200600_302600_NS11hip_rocprim14__parallel_for6kernelILj256ENS1_11__transform17unary_transform_fINS0_7pointerINS0_5tupleIffNS0_9null_typeES8_S8_S8_S8_S8_S8_S8_EENS1_3tagENS0_11use_defaultESB_EENS0_10device_ptrIS9_EENS4_14no_stencil_tagENS0_8identityIS9_EENS4_21always_true_predicateEEElLj1EEEvT0_T1_SL_.num_agpr, 0
	.set _ZN6thrust23THRUST_200600_302600_NS11hip_rocprim14__parallel_for6kernelILj256ENS1_11__transform17unary_transform_fINS0_7pointerINS0_5tupleIffNS0_9null_typeES8_S8_S8_S8_S8_S8_S8_EENS1_3tagENS0_11use_defaultESB_EENS0_10device_ptrIS9_EENS4_14no_stencil_tagENS0_8identityIS9_EENS4_21always_true_predicateEEElLj1EEEvT0_T1_SL_.numbered_sgpr, 9
	.set _ZN6thrust23THRUST_200600_302600_NS11hip_rocprim14__parallel_for6kernelILj256ENS1_11__transform17unary_transform_fINS0_7pointerINS0_5tupleIffNS0_9null_typeES8_S8_S8_S8_S8_S8_S8_EENS1_3tagENS0_11use_defaultESB_EENS0_10device_ptrIS9_EENS4_14no_stencil_tagENS0_8identityIS9_EENS4_21always_true_predicateEEElLj1EEEvT0_T1_SL_.num_named_barrier, 0
	.set _ZN6thrust23THRUST_200600_302600_NS11hip_rocprim14__parallel_for6kernelILj256ENS1_11__transform17unary_transform_fINS0_7pointerINS0_5tupleIffNS0_9null_typeES8_S8_S8_S8_S8_S8_S8_EENS1_3tagENS0_11use_defaultESB_EENS0_10device_ptrIS9_EENS4_14no_stencil_tagENS0_8identityIS9_EENS4_21always_true_predicateEEElLj1EEEvT0_T1_SL_.private_seg_size, 0
	.set _ZN6thrust23THRUST_200600_302600_NS11hip_rocprim14__parallel_for6kernelILj256ENS1_11__transform17unary_transform_fINS0_7pointerINS0_5tupleIffNS0_9null_typeES8_S8_S8_S8_S8_S8_S8_EENS1_3tagENS0_11use_defaultESB_EENS0_10device_ptrIS9_EENS4_14no_stencil_tagENS0_8identityIS9_EENS4_21always_true_predicateEEElLj1EEEvT0_T1_SL_.uses_vcc, 1
	.set _ZN6thrust23THRUST_200600_302600_NS11hip_rocprim14__parallel_for6kernelILj256ENS1_11__transform17unary_transform_fINS0_7pointerINS0_5tupleIffNS0_9null_typeES8_S8_S8_S8_S8_S8_S8_EENS1_3tagENS0_11use_defaultESB_EENS0_10device_ptrIS9_EENS4_14no_stencil_tagENS0_8identityIS9_EENS4_21always_true_predicateEEElLj1EEEvT0_T1_SL_.uses_flat_scratch, 0
	.set _ZN6thrust23THRUST_200600_302600_NS11hip_rocprim14__parallel_for6kernelILj256ENS1_11__transform17unary_transform_fINS0_7pointerINS0_5tupleIffNS0_9null_typeES8_S8_S8_S8_S8_S8_S8_EENS1_3tagENS0_11use_defaultESB_EENS0_10device_ptrIS9_EENS4_14no_stencil_tagENS0_8identityIS9_EENS4_21always_true_predicateEEElLj1EEEvT0_T1_SL_.has_dyn_sized_stack, 0
	.set _ZN6thrust23THRUST_200600_302600_NS11hip_rocprim14__parallel_for6kernelILj256ENS1_11__transform17unary_transform_fINS0_7pointerINS0_5tupleIffNS0_9null_typeES8_S8_S8_S8_S8_S8_S8_EENS1_3tagENS0_11use_defaultESB_EENS0_10device_ptrIS9_EENS4_14no_stencil_tagENS0_8identityIS9_EENS4_21always_true_predicateEEElLj1EEEvT0_T1_SL_.has_recursion, 0
	.set _ZN6thrust23THRUST_200600_302600_NS11hip_rocprim14__parallel_for6kernelILj256ENS1_11__transform17unary_transform_fINS0_7pointerINS0_5tupleIffNS0_9null_typeES8_S8_S8_S8_S8_S8_S8_EENS1_3tagENS0_11use_defaultESB_EENS0_10device_ptrIS9_EENS4_14no_stencil_tagENS0_8identityIS9_EENS4_21always_true_predicateEEElLj1EEEvT0_T1_SL_.has_indirect_call, 0
	.section	.AMDGPU.csdata,"",@progbits
; Kernel info:
; codeLenInByte = 280
; TotalNumSgprs: 11
; NumVgprs: 6
; ScratchSize: 0
; MemoryBound: 0
; FloatMode: 240
; IeeeMode: 1
; LDSByteSize: 0 bytes/workgroup (compile time only)
; SGPRBlocks: 0
; VGPRBlocks: 0
; NumSGPRsForWavesPerEU: 11
; NumVGPRsForWavesPerEU: 6
; NamedBarCnt: 0
; Occupancy: 16
; WaveLimiterHint : 0
; COMPUTE_PGM_RSRC2:SCRATCH_EN: 0
; COMPUTE_PGM_RSRC2:USER_SGPR: 2
; COMPUTE_PGM_RSRC2:TRAP_HANDLER: 0
; COMPUTE_PGM_RSRC2:TGID_X_EN: 1
; COMPUTE_PGM_RSRC2:TGID_Y_EN: 0
; COMPUTE_PGM_RSRC2:TGID_Z_EN: 0
; COMPUTE_PGM_RSRC2:TIDIG_COMP_CNT: 0
	.section	.text._ZN6thrust23THRUST_200600_302600_NS11hip_rocprim14__parallel_for6kernelILj256ENS1_20__uninitialized_copy7functorINS0_7pointerINS0_5tupleIffNS0_9null_typeES8_S8_S8_S8_S8_S8_S8_EENS1_3tagENS0_11use_defaultESB_EESC_EEmLj1EEEvT0_T1_SF_,"axG",@progbits,_ZN6thrust23THRUST_200600_302600_NS11hip_rocprim14__parallel_for6kernelILj256ENS1_20__uninitialized_copy7functorINS0_7pointerINS0_5tupleIffNS0_9null_typeES8_S8_S8_S8_S8_S8_S8_EENS1_3tagENS0_11use_defaultESB_EESC_EEmLj1EEEvT0_T1_SF_,comdat
	.protected	_ZN6thrust23THRUST_200600_302600_NS11hip_rocprim14__parallel_for6kernelILj256ENS1_20__uninitialized_copy7functorINS0_7pointerINS0_5tupleIffNS0_9null_typeES8_S8_S8_S8_S8_S8_S8_EENS1_3tagENS0_11use_defaultESB_EESC_EEmLj1EEEvT0_T1_SF_ ; -- Begin function _ZN6thrust23THRUST_200600_302600_NS11hip_rocprim14__parallel_for6kernelILj256ENS1_20__uninitialized_copy7functorINS0_7pointerINS0_5tupleIffNS0_9null_typeES8_S8_S8_S8_S8_S8_S8_EENS1_3tagENS0_11use_defaultESB_EESC_EEmLj1EEEvT0_T1_SF_
	.globl	_ZN6thrust23THRUST_200600_302600_NS11hip_rocprim14__parallel_for6kernelILj256ENS1_20__uninitialized_copy7functorINS0_7pointerINS0_5tupleIffNS0_9null_typeES8_S8_S8_S8_S8_S8_S8_EENS1_3tagENS0_11use_defaultESB_EESC_EEmLj1EEEvT0_T1_SF_
	.p2align	8
	.type	_ZN6thrust23THRUST_200600_302600_NS11hip_rocprim14__parallel_for6kernelILj256ENS1_20__uninitialized_copy7functorINS0_7pointerINS0_5tupleIffNS0_9null_typeES8_S8_S8_S8_S8_S8_S8_EENS1_3tagENS0_11use_defaultESB_EESC_EEmLj1EEEvT0_T1_SF_,@function
_ZN6thrust23THRUST_200600_302600_NS11hip_rocprim14__parallel_for6kernelILj256ENS1_20__uninitialized_copy7functorINS0_7pointerINS0_5tupleIffNS0_9null_typeES8_S8_S8_S8_S8_S8_S8_EENS1_3tagENS0_11use_defaultESB_EESC_EEmLj1EEEvT0_T1_SF_: ; @_ZN6thrust23THRUST_200600_302600_NS11hip_rocprim14__parallel_for6kernelILj256ENS1_20__uninitialized_copy7functorINS0_7pointerINS0_5tupleIffNS0_9null_typeES8_S8_S8_S8_S8_S8_S8_EENS1_3tagENS0_11use_defaultESB_EESC_EEmLj1EEEvT0_T1_SF_
; %bb.0:
	s_load_b256 s[4:11], s[0:1], 0x0
	s_wait_xcnt 0x0
	s_bfe_u32 s0, ttmp6, 0x4000c
	s_and_b32 s1, ttmp6, 15
	s_add_co_i32 s0, s0, 1
	s_getreg_b32 s2, hwreg(HW_REG_IB_STS2, 6, 4)
	s_mul_i32 s0, ttmp9, s0
	s_delay_alu instid0(SALU_CYCLE_1)
	s_add_co_i32 s1, s1, s0
	s_cmp_eq_u32 s2, 0
	s_cselect_b32 s0, ttmp9, s1
	s_mov_b32 s1, 0
	s_lshl_b32 s0, s0, 8
	s_wait_kmcnt 0x0
	s_add_nc_u64 s[0:1], s[10:11], s[0:1]
	s_delay_alu instid0(SALU_CYCLE_1) | instskip(NEXT) | instid1(SALU_CYCLE_1)
	s_sub_nc_u64 s[2:3], s[8:9], s[0:1]
	v_cmp_lt_u64_e64 s3, 0xff, s[2:3]
	s_and_b32 vcc_lo, exec_lo, s3
	s_mov_b32 s3, -1
	s_cbranch_vccz .LBB3_3
; %bb.1:
	s_and_not1_b32 vcc_lo, exec_lo, s3
	s_cbranch_vccz .LBB3_6
.LBB3_2:
	s_endpgm
.LBB3_3:
	v_cmp_gt_u32_e32 vcc_lo, s2, v0
	s_and_saveexec_b32 s2, vcc_lo
	s_cbranch_execz .LBB3_5
; %bb.4:
	v_mov_b32_e32 v1, 0
	s_delay_alu instid0(VALU_DEP_1) | instskip(NEXT) | instid1(VALU_DEP_1)
	v_add_nc_u64_e32 v[2:3], s[0:1], v[0:1]
	v_lshlrev_b64_e32 v[2:3], 3, v[2:3]
	s_delay_alu instid0(VALU_DEP_1)
	v_add_nc_u64_e32 v[4:5], s[4:5], v[2:3]
	v_add_nc_u64_e32 v[2:3], s[6:7], v[2:3]
	flat_load_b64 v[4:5], v[4:5]
	s_wait_loadcnt_dscnt 0x0
	flat_store_b64 v[2:3], v[4:5]
.LBB3_5:
	s_wait_xcnt 0x0
	s_or_b32 exec_lo, exec_lo, s2
	s_cbranch_execnz .LBB3_2
.LBB3_6:
	v_mov_b32_e32 v1, 0
	s_delay_alu instid0(VALU_DEP_1) | instskip(NEXT) | instid1(VALU_DEP_1)
	v_add_nc_u64_e32 v[0:1], s[0:1], v[0:1]
	v_lshlrev_b64_e32 v[0:1], 3, v[0:1]
	s_delay_alu instid0(VALU_DEP_1)
	v_add_nc_u64_e32 v[2:3], s[4:5], v[0:1]
	v_add_nc_u64_e32 v[0:1], s[6:7], v[0:1]
	flat_load_b64 v[2:3], v[2:3]
	s_wait_loadcnt_dscnt 0x0
	flat_store_b64 v[0:1], v[2:3]
	s_endpgm
	.section	.rodata,"a",@progbits
	.p2align	6, 0x0
	.amdhsa_kernel _ZN6thrust23THRUST_200600_302600_NS11hip_rocprim14__parallel_for6kernelILj256ENS1_20__uninitialized_copy7functorINS0_7pointerINS0_5tupleIffNS0_9null_typeES8_S8_S8_S8_S8_S8_S8_EENS1_3tagENS0_11use_defaultESB_EESC_EEmLj1EEEvT0_T1_SF_
		.amdhsa_group_segment_fixed_size 0
		.amdhsa_private_segment_fixed_size 0
		.amdhsa_kernarg_size 32
		.amdhsa_user_sgpr_count 2
		.amdhsa_user_sgpr_dispatch_ptr 0
		.amdhsa_user_sgpr_queue_ptr 0
		.amdhsa_user_sgpr_kernarg_segment_ptr 1
		.amdhsa_user_sgpr_dispatch_id 0
		.amdhsa_user_sgpr_kernarg_preload_length 0
		.amdhsa_user_sgpr_kernarg_preload_offset 0
		.amdhsa_user_sgpr_private_segment_size 0
		.amdhsa_wavefront_size32 1
		.amdhsa_uses_dynamic_stack 0
		.amdhsa_enable_private_segment 0
		.amdhsa_system_sgpr_workgroup_id_x 1
		.amdhsa_system_sgpr_workgroup_id_y 0
		.amdhsa_system_sgpr_workgroup_id_z 0
		.amdhsa_system_sgpr_workgroup_info 0
		.amdhsa_system_vgpr_workitem_id 0
		.amdhsa_next_free_vgpr 6
		.amdhsa_next_free_sgpr 12
		.amdhsa_named_barrier_count 0
		.amdhsa_reserve_vcc 1
		.amdhsa_float_round_mode_32 0
		.amdhsa_float_round_mode_16_64 0
		.amdhsa_float_denorm_mode_32 3
		.amdhsa_float_denorm_mode_16_64 3
		.amdhsa_fp16_overflow 0
		.amdhsa_memory_ordered 1
		.amdhsa_forward_progress 1
		.amdhsa_inst_pref_size 2
		.amdhsa_round_robin_scheduling 0
		.amdhsa_exception_fp_ieee_invalid_op 0
		.amdhsa_exception_fp_denorm_src 0
		.amdhsa_exception_fp_ieee_div_zero 0
		.amdhsa_exception_fp_ieee_overflow 0
		.amdhsa_exception_fp_ieee_underflow 0
		.amdhsa_exception_fp_ieee_inexact 0
		.amdhsa_exception_int_div_zero 0
	.end_amdhsa_kernel
	.section	.text._ZN6thrust23THRUST_200600_302600_NS11hip_rocprim14__parallel_for6kernelILj256ENS1_20__uninitialized_copy7functorINS0_7pointerINS0_5tupleIffNS0_9null_typeES8_S8_S8_S8_S8_S8_S8_EENS1_3tagENS0_11use_defaultESB_EESC_EEmLj1EEEvT0_T1_SF_,"axG",@progbits,_ZN6thrust23THRUST_200600_302600_NS11hip_rocprim14__parallel_for6kernelILj256ENS1_20__uninitialized_copy7functorINS0_7pointerINS0_5tupleIffNS0_9null_typeES8_S8_S8_S8_S8_S8_S8_EENS1_3tagENS0_11use_defaultESB_EESC_EEmLj1EEEvT0_T1_SF_,comdat
.Lfunc_end3:
	.size	_ZN6thrust23THRUST_200600_302600_NS11hip_rocprim14__parallel_for6kernelILj256ENS1_20__uninitialized_copy7functorINS0_7pointerINS0_5tupleIffNS0_9null_typeES8_S8_S8_S8_S8_S8_S8_EENS1_3tagENS0_11use_defaultESB_EESC_EEmLj1EEEvT0_T1_SF_, .Lfunc_end3-_ZN6thrust23THRUST_200600_302600_NS11hip_rocprim14__parallel_for6kernelILj256ENS1_20__uninitialized_copy7functorINS0_7pointerINS0_5tupleIffNS0_9null_typeES8_S8_S8_S8_S8_S8_S8_EENS1_3tagENS0_11use_defaultESB_EESC_EEmLj1EEEvT0_T1_SF_
                                        ; -- End function
	.set _ZN6thrust23THRUST_200600_302600_NS11hip_rocprim14__parallel_for6kernelILj256ENS1_20__uninitialized_copy7functorINS0_7pointerINS0_5tupleIffNS0_9null_typeES8_S8_S8_S8_S8_S8_S8_EENS1_3tagENS0_11use_defaultESB_EESC_EEmLj1EEEvT0_T1_SF_.num_vgpr, 6
	.set _ZN6thrust23THRUST_200600_302600_NS11hip_rocprim14__parallel_for6kernelILj256ENS1_20__uninitialized_copy7functorINS0_7pointerINS0_5tupleIffNS0_9null_typeES8_S8_S8_S8_S8_S8_S8_EENS1_3tagENS0_11use_defaultESB_EESC_EEmLj1EEEvT0_T1_SF_.num_agpr, 0
	.set _ZN6thrust23THRUST_200600_302600_NS11hip_rocprim14__parallel_for6kernelILj256ENS1_20__uninitialized_copy7functorINS0_7pointerINS0_5tupleIffNS0_9null_typeES8_S8_S8_S8_S8_S8_S8_EENS1_3tagENS0_11use_defaultESB_EESC_EEmLj1EEEvT0_T1_SF_.numbered_sgpr, 12
	.set _ZN6thrust23THRUST_200600_302600_NS11hip_rocprim14__parallel_for6kernelILj256ENS1_20__uninitialized_copy7functorINS0_7pointerINS0_5tupleIffNS0_9null_typeES8_S8_S8_S8_S8_S8_S8_EENS1_3tagENS0_11use_defaultESB_EESC_EEmLj1EEEvT0_T1_SF_.num_named_barrier, 0
	.set _ZN6thrust23THRUST_200600_302600_NS11hip_rocprim14__parallel_for6kernelILj256ENS1_20__uninitialized_copy7functorINS0_7pointerINS0_5tupleIffNS0_9null_typeES8_S8_S8_S8_S8_S8_S8_EENS1_3tagENS0_11use_defaultESB_EESC_EEmLj1EEEvT0_T1_SF_.private_seg_size, 0
	.set _ZN6thrust23THRUST_200600_302600_NS11hip_rocprim14__parallel_for6kernelILj256ENS1_20__uninitialized_copy7functorINS0_7pointerINS0_5tupleIffNS0_9null_typeES8_S8_S8_S8_S8_S8_S8_EENS1_3tagENS0_11use_defaultESB_EESC_EEmLj1EEEvT0_T1_SF_.uses_vcc, 1
	.set _ZN6thrust23THRUST_200600_302600_NS11hip_rocprim14__parallel_for6kernelILj256ENS1_20__uninitialized_copy7functorINS0_7pointerINS0_5tupleIffNS0_9null_typeES8_S8_S8_S8_S8_S8_S8_EENS1_3tagENS0_11use_defaultESB_EESC_EEmLj1EEEvT0_T1_SF_.uses_flat_scratch, 0
	.set _ZN6thrust23THRUST_200600_302600_NS11hip_rocprim14__parallel_for6kernelILj256ENS1_20__uninitialized_copy7functorINS0_7pointerINS0_5tupleIffNS0_9null_typeES8_S8_S8_S8_S8_S8_S8_EENS1_3tagENS0_11use_defaultESB_EESC_EEmLj1EEEvT0_T1_SF_.has_dyn_sized_stack, 0
	.set _ZN6thrust23THRUST_200600_302600_NS11hip_rocprim14__parallel_for6kernelILj256ENS1_20__uninitialized_copy7functorINS0_7pointerINS0_5tupleIffNS0_9null_typeES8_S8_S8_S8_S8_S8_S8_EENS1_3tagENS0_11use_defaultESB_EESC_EEmLj1EEEvT0_T1_SF_.has_recursion, 0
	.set _ZN6thrust23THRUST_200600_302600_NS11hip_rocprim14__parallel_for6kernelILj256ENS1_20__uninitialized_copy7functorINS0_7pointerINS0_5tupleIffNS0_9null_typeES8_S8_S8_S8_S8_S8_S8_EENS1_3tagENS0_11use_defaultESB_EESC_EEmLj1EEEvT0_T1_SF_.has_indirect_call, 0
	.section	.AMDGPU.csdata,"",@progbits
; Kernel info:
; codeLenInByte = 252
; TotalNumSgprs: 14
; NumVgprs: 6
; ScratchSize: 0
; MemoryBound: 0
; FloatMode: 240
; IeeeMode: 1
; LDSByteSize: 0 bytes/workgroup (compile time only)
; SGPRBlocks: 0
; VGPRBlocks: 0
; NumSGPRsForWavesPerEU: 14
; NumVGPRsForWavesPerEU: 6
; NamedBarCnt: 0
; Occupancy: 16
; WaveLimiterHint : 0
; COMPUTE_PGM_RSRC2:SCRATCH_EN: 0
; COMPUTE_PGM_RSRC2:USER_SGPR: 2
; COMPUTE_PGM_RSRC2:TRAP_HANDLER: 0
; COMPUTE_PGM_RSRC2:TGID_X_EN: 1
; COMPUTE_PGM_RSRC2:TGID_Y_EN: 0
; COMPUTE_PGM_RSRC2:TGID_Z_EN: 0
; COMPUTE_PGM_RSRC2:TIDIG_COMP_CNT: 0
	.section	.text._ZN6thrust23THRUST_200600_302600_NS11hip_rocprim14__parallel_for6kernelILj256ENS1_10for_each_fINS0_10device_ptrINS0_5tupleIffNS0_9null_typeES7_S7_S7_S7_S7_S7_S7_EEEENS0_6detail16wrapped_functionINSA_23allocator_traits_detail5gozerEvEEEElLj1EEEvT0_T1_SH_,"axG",@progbits,_ZN6thrust23THRUST_200600_302600_NS11hip_rocprim14__parallel_for6kernelILj256ENS1_10for_each_fINS0_10device_ptrINS0_5tupleIffNS0_9null_typeES7_S7_S7_S7_S7_S7_S7_EEEENS0_6detail16wrapped_functionINSA_23allocator_traits_detail5gozerEvEEEElLj1EEEvT0_T1_SH_,comdat
	.protected	_ZN6thrust23THRUST_200600_302600_NS11hip_rocprim14__parallel_for6kernelILj256ENS1_10for_each_fINS0_10device_ptrINS0_5tupleIffNS0_9null_typeES7_S7_S7_S7_S7_S7_S7_EEEENS0_6detail16wrapped_functionINSA_23allocator_traits_detail5gozerEvEEEElLj1EEEvT0_T1_SH_ ; -- Begin function _ZN6thrust23THRUST_200600_302600_NS11hip_rocprim14__parallel_for6kernelILj256ENS1_10for_each_fINS0_10device_ptrINS0_5tupleIffNS0_9null_typeES7_S7_S7_S7_S7_S7_S7_EEEENS0_6detail16wrapped_functionINSA_23allocator_traits_detail5gozerEvEEEElLj1EEEvT0_T1_SH_
	.globl	_ZN6thrust23THRUST_200600_302600_NS11hip_rocprim14__parallel_for6kernelILj256ENS1_10for_each_fINS0_10device_ptrINS0_5tupleIffNS0_9null_typeES7_S7_S7_S7_S7_S7_S7_EEEENS0_6detail16wrapped_functionINSA_23allocator_traits_detail5gozerEvEEEElLj1EEEvT0_T1_SH_
	.p2align	8
	.type	_ZN6thrust23THRUST_200600_302600_NS11hip_rocprim14__parallel_for6kernelILj256ENS1_10for_each_fINS0_10device_ptrINS0_5tupleIffNS0_9null_typeES7_S7_S7_S7_S7_S7_S7_EEEENS0_6detail16wrapped_functionINSA_23allocator_traits_detail5gozerEvEEEElLj1EEEvT0_T1_SH_,@function
_ZN6thrust23THRUST_200600_302600_NS11hip_rocprim14__parallel_for6kernelILj256ENS1_10for_each_fINS0_10device_ptrINS0_5tupleIffNS0_9null_typeES7_S7_S7_S7_S7_S7_S7_EEEENS0_6detail16wrapped_functionINSA_23allocator_traits_detail5gozerEvEEEElLj1EEEvT0_T1_SH_: ; @_ZN6thrust23THRUST_200600_302600_NS11hip_rocprim14__parallel_for6kernelILj256ENS1_10for_each_fINS0_10device_ptrINS0_5tupleIffNS0_9null_typeES7_S7_S7_S7_S7_S7_S7_EEEENS0_6detail16wrapped_functionINSA_23allocator_traits_detail5gozerEvEEEElLj1EEEvT0_T1_SH_
; %bb.0:
	s_endpgm
	.section	.rodata,"a",@progbits
	.p2align	6, 0x0
	.amdhsa_kernel _ZN6thrust23THRUST_200600_302600_NS11hip_rocprim14__parallel_for6kernelILj256ENS1_10for_each_fINS0_10device_ptrINS0_5tupleIffNS0_9null_typeES7_S7_S7_S7_S7_S7_S7_EEEENS0_6detail16wrapped_functionINSA_23allocator_traits_detail5gozerEvEEEElLj1EEEvT0_T1_SH_
		.amdhsa_group_segment_fixed_size 0
		.amdhsa_private_segment_fixed_size 0
		.amdhsa_kernarg_size 32
		.amdhsa_user_sgpr_count 2
		.amdhsa_user_sgpr_dispatch_ptr 0
		.amdhsa_user_sgpr_queue_ptr 0
		.amdhsa_user_sgpr_kernarg_segment_ptr 1
		.amdhsa_user_sgpr_dispatch_id 0
		.amdhsa_user_sgpr_kernarg_preload_length 0
		.amdhsa_user_sgpr_kernarg_preload_offset 0
		.amdhsa_user_sgpr_private_segment_size 0
		.amdhsa_wavefront_size32 1
		.amdhsa_uses_dynamic_stack 0
		.amdhsa_enable_private_segment 0
		.amdhsa_system_sgpr_workgroup_id_x 1
		.amdhsa_system_sgpr_workgroup_id_y 0
		.amdhsa_system_sgpr_workgroup_id_z 0
		.amdhsa_system_sgpr_workgroup_info 0
		.amdhsa_system_vgpr_workitem_id 0
		.amdhsa_next_free_vgpr 1
		.amdhsa_next_free_sgpr 1
		.amdhsa_named_barrier_count 0
		.amdhsa_reserve_vcc 0
		.amdhsa_float_round_mode_32 0
		.amdhsa_float_round_mode_16_64 0
		.amdhsa_float_denorm_mode_32 3
		.amdhsa_float_denorm_mode_16_64 3
		.amdhsa_fp16_overflow 0
		.amdhsa_memory_ordered 1
		.amdhsa_forward_progress 1
		.amdhsa_inst_pref_size 1
		.amdhsa_round_robin_scheduling 0
		.amdhsa_exception_fp_ieee_invalid_op 0
		.amdhsa_exception_fp_denorm_src 0
		.amdhsa_exception_fp_ieee_div_zero 0
		.amdhsa_exception_fp_ieee_overflow 0
		.amdhsa_exception_fp_ieee_underflow 0
		.amdhsa_exception_fp_ieee_inexact 0
		.amdhsa_exception_int_div_zero 0
	.end_amdhsa_kernel
	.section	.text._ZN6thrust23THRUST_200600_302600_NS11hip_rocprim14__parallel_for6kernelILj256ENS1_10for_each_fINS0_10device_ptrINS0_5tupleIffNS0_9null_typeES7_S7_S7_S7_S7_S7_S7_EEEENS0_6detail16wrapped_functionINSA_23allocator_traits_detail5gozerEvEEEElLj1EEEvT0_T1_SH_,"axG",@progbits,_ZN6thrust23THRUST_200600_302600_NS11hip_rocprim14__parallel_for6kernelILj256ENS1_10for_each_fINS0_10device_ptrINS0_5tupleIffNS0_9null_typeES7_S7_S7_S7_S7_S7_S7_EEEENS0_6detail16wrapped_functionINSA_23allocator_traits_detail5gozerEvEEEElLj1EEEvT0_T1_SH_,comdat
.Lfunc_end4:
	.size	_ZN6thrust23THRUST_200600_302600_NS11hip_rocprim14__parallel_for6kernelILj256ENS1_10for_each_fINS0_10device_ptrINS0_5tupleIffNS0_9null_typeES7_S7_S7_S7_S7_S7_S7_EEEENS0_6detail16wrapped_functionINSA_23allocator_traits_detail5gozerEvEEEElLj1EEEvT0_T1_SH_, .Lfunc_end4-_ZN6thrust23THRUST_200600_302600_NS11hip_rocprim14__parallel_for6kernelILj256ENS1_10for_each_fINS0_10device_ptrINS0_5tupleIffNS0_9null_typeES7_S7_S7_S7_S7_S7_S7_EEEENS0_6detail16wrapped_functionINSA_23allocator_traits_detail5gozerEvEEEElLj1EEEvT0_T1_SH_
                                        ; -- End function
	.set _ZN6thrust23THRUST_200600_302600_NS11hip_rocprim14__parallel_for6kernelILj256ENS1_10for_each_fINS0_10device_ptrINS0_5tupleIffNS0_9null_typeES7_S7_S7_S7_S7_S7_S7_EEEENS0_6detail16wrapped_functionINSA_23allocator_traits_detail5gozerEvEEEElLj1EEEvT0_T1_SH_.num_vgpr, 0
	.set _ZN6thrust23THRUST_200600_302600_NS11hip_rocprim14__parallel_for6kernelILj256ENS1_10for_each_fINS0_10device_ptrINS0_5tupleIffNS0_9null_typeES7_S7_S7_S7_S7_S7_S7_EEEENS0_6detail16wrapped_functionINSA_23allocator_traits_detail5gozerEvEEEElLj1EEEvT0_T1_SH_.num_agpr, 0
	.set _ZN6thrust23THRUST_200600_302600_NS11hip_rocprim14__parallel_for6kernelILj256ENS1_10for_each_fINS0_10device_ptrINS0_5tupleIffNS0_9null_typeES7_S7_S7_S7_S7_S7_S7_EEEENS0_6detail16wrapped_functionINSA_23allocator_traits_detail5gozerEvEEEElLj1EEEvT0_T1_SH_.numbered_sgpr, 0
	.set _ZN6thrust23THRUST_200600_302600_NS11hip_rocprim14__parallel_for6kernelILj256ENS1_10for_each_fINS0_10device_ptrINS0_5tupleIffNS0_9null_typeES7_S7_S7_S7_S7_S7_S7_EEEENS0_6detail16wrapped_functionINSA_23allocator_traits_detail5gozerEvEEEElLj1EEEvT0_T1_SH_.num_named_barrier, 0
	.set _ZN6thrust23THRUST_200600_302600_NS11hip_rocprim14__parallel_for6kernelILj256ENS1_10for_each_fINS0_10device_ptrINS0_5tupleIffNS0_9null_typeES7_S7_S7_S7_S7_S7_S7_EEEENS0_6detail16wrapped_functionINSA_23allocator_traits_detail5gozerEvEEEElLj1EEEvT0_T1_SH_.private_seg_size, 0
	.set _ZN6thrust23THRUST_200600_302600_NS11hip_rocprim14__parallel_for6kernelILj256ENS1_10for_each_fINS0_10device_ptrINS0_5tupleIffNS0_9null_typeES7_S7_S7_S7_S7_S7_S7_EEEENS0_6detail16wrapped_functionINSA_23allocator_traits_detail5gozerEvEEEElLj1EEEvT0_T1_SH_.uses_vcc, 0
	.set _ZN6thrust23THRUST_200600_302600_NS11hip_rocprim14__parallel_for6kernelILj256ENS1_10for_each_fINS0_10device_ptrINS0_5tupleIffNS0_9null_typeES7_S7_S7_S7_S7_S7_S7_EEEENS0_6detail16wrapped_functionINSA_23allocator_traits_detail5gozerEvEEEElLj1EEEvT0_T1_SH_.uses_flat_scratch, 0
	.set _ZN6thrust23THRUST_200600_302600_NS11hip_rocprim14__parallel_for6kernelILj256ENS1_10for_each_fINS0_10device_ptrINS0_5tupleIffNS0_9null_typeES7_S7_S7_S7_S7_S7_S7_EEEENS0_6detail16wrapped_functionINSA_23allocator_traits_detail5gozerEvEEEElLj1EEEvT0_T1_SH_.has_dyn_sized_stack, 0
	.set _ZN6thrust23THRUST_200600_302600_NS11hip_rocprim14__parallel_for6kernelILj256ENS1_10for_each_fINS0_10device_ptrINS0_5tupleIffNS0_9null_typeES7_S7_S7_S7_S7_S7_S7_EEEENS0_6detail16wrapped_functionINSA_23allocator_traits_detail5gozerEvEEEElLj1EEEvT0_T1_SH_.has_recursion, 0
	.set _ZN6thrust23THRUST_200600_302600_NS11hip_rocprim14__parallel_for6kernelILj256ENS1_10for_each_fINS0_10device_ptrINS0_5tupleIffNS0_9null_typeES7_S7_S7_S7_S7_S7_S7_EEEENS0_6detail16wrapped_functionINSA_23allocator_traits_detail5gozerEvEEEElLj1EEEvT0_T1_SH_.has_indirect_call, 0
	.section	.AMDGPU.csdata,"",@progbits
; Kernel info:
; codeLenInByte = 4
; TotalNumSgprs: 0
; NumVgprs: 0
; ScratchSize: 0
; MemoryBound: 0
; FloatMode: 240
; IeeeMode: 1
; LDSByteSize: 0 bytes/workgroup (compile time only)
; SGPRBlocks: 0
; VGPRBlocks: 0
; NumSGPRsForWavesPerEU: 1
; NumVGPRsForWavesPerEU: 1
; NamedBarCnt: 0
; Occupancy: 16
; WaveLimiterHint : 0
; COMPUTE_PGM_RSRC2:SCRATCH_EN: 0
; COMPUTE_PGM_RSRC2:USER_SGPR: 2
; COMPUTE_PGM_RSRC2:TRAP_HANDLER: 0
; COMPUTE_PGM_RSRC2:TGID_X_EN: 1
; COMPUTE_PGM_RSRC2:TGID_Y_EN: 0
; COMPUTE_PGM_RSRC2:TGID_Z_EN: 0
; COMPUTE_PGM_RSRC2:TIDIG_COMP_CNT: 0
	.section	.text._ZN6thrust23THRUST_200600_302600_NS11hip_rocprim14__parallel_for6kernelILj256ENS1_20__uninitialized_fill7functorINS0_10device_ptrIjEEjEEmLj1EEEvT0_T1_SA_,"axG",@progbits,_ZN6thrust23THRUST_200600_302600_NS11hip_rocprim14__parallel_for6kernelILj256ENS1_20__uninitialized_fill7functorINS0_10device_ptrIjEEjEEmLj1EEEvT0_T1_SA_,comdat
	.protected	_ZN6thrust23THRUST_200600_302600_NS11hip_rocprim14__parallel_for6kernelILj256ENS1_20__uninitialized_fill7functorINS0_10device_ptrIjEEjEEmLj1EEEvT0_T1_SA_ ; -- Begin function _ZN6thrust23THRUST_200600_302600_NS11hip_rocprim14__parallel_for6kernelILj256ENS1_20__uninitialized_fill7functorINS0_10device_ptrIjEEjEEmLj1EEEvT0_T1_SA_
	.globl	_ZN6thrust23THRUST_200600_302600_NS11hip_rocprim14__parallel_for6kernelILj256ENS1_20__uninitialized_fill7functorINS0_10device_ptrIjEEjEEmLj1EEEvT0_T1_SA_
	.p2align	8
	.type	_ZN6thrust23THRUST_200600_302600_NS11hip_rocprim14__parallel_for6kernelILj256ENS1_20__uninitialized_fill7functorINS0_10device_ptrIjEEjEEmLj1EEEvT0_T1_SA_,@function
_ZN6thrust23THRUST_200600_302600_NS11hip_rocprim14__parallel_for6kernelILj256ENS1_20__uninitialized_fill7functorINS0_10device_ptrIjEEjEEmLj1EEEvT0_T1_SA_: ; @_ZN6thrust23THRUST_200600_302600_NS11hip_rocprim14__parallel_for6kernelILj256ENS1_20__uninitialized_fill7functorINS0_10device_ptrIjEEjEEmLj1EEEvT0_T1_SA_
; %bb.0:
	s_load_b128 s[8:11], s[0:1], 0x10
	s_bfe_u32 s2, ttmp6, 0x4000c
	s_and_b32 s3, ttmp6, 15
	s_add_co_i32 s2, s2, 1
	s_getreg_b32 s4, hwreg(HW_REG_IB_STS2, 6, 4)
	s_mul_i32 s2, ttmp9, s2
	s_delay_alu instid0(SALU_CYCLE_1)
	s_add_co_i32 s3, s3, s2
	s_cmp_eq_u32 s4, 0
	s_load_b96 s[4:6], s[0:1], 0x0
	s_wait_xcnt 0x0
	s_cselect_b32 s0, ttmp9, s3
	s_mov_b32 s1, 0
	s_lshl_b32 s0, s0, 8
	s_wait_kmcnt 0x0
	s_add_nc_u64 s[0:1], s[10:11], s[0:1]
	s_delay_alu instid0(SALU_CYCLE_1) | instskip(NEXT) | instid1(SALU_CYCLE_1)
	s_sub_nc_u64 s[2:3], s[8:9], s[0:1]
	v_cmp_lt_u64_e64 s3, 0xff, s[2:3]
	s_and_b32 vcc_lo, exec_lo, s3
	s_mov_b32 s3, -1
	s_cbranch_vccz .LBB5_3
; %bb.1:
	s_and_not1_b32 vcc_lo, exec_lo, s3
	s_cbranch_vccz .LBB5_6
.LBB5_2:
	s_endpgm
.LBB5_3:
	v_cmp_gt_u32_e32 vcc_lo, s2, v0
	s_and_saveexec_b32 s2, vcc_lo
	s_cbranch_execz .LBB5_5
; %bb.4:
	v_mov_b32_e32 v1, s6
	s_lshl_b64 s[8:9], s[0:1], 2
	s_delay_alu instid0(SALU_CYCLE_1)
	s_add_nc_u64 s[8:9], s[4:5], s[8:9]
	flat_store_b32 v0, v1, s[8:9] scale_offset
.LBB5_5:
	s_wait_xcnt 0x0
	s_or_b32 exec_lo, exec_lo, s2
	s_cbranch_execnz .LBB5_2
.LBB5_6:
	v_mov_b32_e32 v1, s6
	s_lshl_b64 s[0:1], s[0:1], 2
	s_delay_alu instid0(SALU_CYCLE_1)
	s_add_nc_u64 s[0:1], s[4:5], s[0:1]
	flat_store_b32 v0, v1, s[0:1] scale_offset
	s_endpgm
	.section	.rodata,"a",@progbits
	.p2align	6, 0x0
	.amdhsa_kernel _ZN6thrust23THRUST_200600_302600_NS11hip_rocprim14__parallel_for6kernelILj256ENS1_20__uninitialized_fill7functorINS0_10device_ptrIjEEjEEmLj1EEEvT0_T1_SA_
		.amdhsa_group_segment_fixed_size 0
		.amdhsa_private_segment_fixed_size 0
		.amdhsa_kernarg_size 32
		.amdhsa_user_sgpr_count 2
		.amdhsa_user_sgpr_dispatch_ptr 0
		.amdhsa_user_sgpr_queue_ptr 0
		.amdhsa_user_sgpr_kernarg_segment_ptr 1
		.amdhsa_user_sgpr_dispatch_id 0
		.amdhsa_user_sgpr_kernarg_preload_length 0
		.amdhsa_user_sgpr_kernarg_preload_offset 0
		.amdhsa_user_sgpr_private_segment_size 0
		.amdhsa_wavefront_size32 1
		.amdhsa_uses_dynamic_stack 0
		.amdhsa_enable_private_segment 0
		.amdhsa_system_sgpr_workgroup_id_x 1
		.amdhsa_system_sgpr_workgroup_id_y 0
		.amdhsa_system_sgpr_workgroup_id_z 0
		.amdhsa_system_sgpr_workgroup_info 0
		.amdhsa_system_vgpr_workitem_id 0
		.amdhsa_next_free_vgpr 2
		.amdhsa_next_free_sgpr 12
		.amdhsa_named_barrier_count 0
		.amdhsa_reserve_vcc 1
		.amdhsa_float_round_mode_32 0
		.amdhsa_float_round_mode_16_64 0
		.amdhsa_float_denorm_mode_32 3
		.amdhsa_float_denorm_mode_16_64 3
		.amdhsa_fp16_overflow 0
		.amdhsa_memory_ordered 1
		.amdhsa_forward_progress 1
		.amdhsa_inst_pref_size 2
		.amdhsa_round_robin_scheduling 0
		.amdhsa_exception_fp_ieee_invalid_op 0
		.amdhsa_exception_fp_denorm_src 0
		.amdhsa_exception_fp_ieee_div_zero 0
		.amdhsa_exception_fp_ieee_overflow 0
		.amdhsa_exception_fp_ieee_underflow 0
		.amdhsa_exception_fp_ieee_inexact 0
		.amdhsa_exception_int_div_zero 0
	.end_amdhsa_kernel
	.section	.text._ZN6thrust23THRUST_200600_302600_NS11hip_rocprim14__parallel_for6kernelILj256ENS1_20__uninitialized_fill7functorINS0_10device_ptrIjEEjEEmLj1EEEvT0_T1_SA_,"axG",@progbits,_ZN6thrust23THRUST_200600_302600_NS11hip_rocprim14__parallel_for6kernelILj256ENS1_20__uninitialized_fill7functorINS0_10device_ptrIjEEjEEmLj1EEEvT0_T1_SA_,comdat
.Lfunc_end5:
	.size	_ZN6thrust23THRUST_200600_302600_NS11hip_rocprim14__parallel_for6kernelILj256ENS1_20__uninitialized_fill7functorINS0_10device_ptrIjEEjEEmLj1EEEvT0_T1_SA_, .Lfunc_end5-_ZN6thrust23THRUST_200600_302600_NS11hip_rocprim14__parallel_for6kernelILj256ENS1_20__uninitialized_fill7functorINS0_10device_ptrIjEEjEEmLj1EEEvT0_T1_SA_
                                        ; -- End function
	.set _ZN6thrust23THRUST_200600_302600_NS11hip_rocprim14__parallel_for6kernelILj256ENS1_20__uninitialized_fill7functorINS0_10device_ptrIjEEjEEmLj1EEEvT0_T1_SA_.num_vgpr, 2
	.set _ZN6thrust23THRUST_200600_302600_NS11hip_rocprim14__parallel_for6kernelILj256ENS1_20__uninitialized_fill7functorINS0_10device_ptrIjEEjEEmLj1EEEvT0_T1_SA_.num_agpr, 0
	.set _ZN6thrust23THRUST_200600_302600_NS11hip_rocprim14__parallel_for6kernelILj256ENS1_20__uninitialized_fill7functorINS0_10device_ptrIjEEjEEmLj1EEEvT0_T1_SA_.numbered_sgpr, 12
	.set _ZN6thrust23THRUST_200600_302600_NS11hip_rocprim14__parallel_for6kernelILj256ENS1_20__uninitialized_fill7functorINS0_10device_ptrIjEEjEEmLj1EEEvT0_T1_SA_.num_named_barrier, 0
	.set _ZN6thrust23THRUST_200600_302600_NS11hip_rocprim14__parallel_for6kernelILj256ENS1_20__uninitialized_fill7functorINS0_10device_ptrIjEEjEEmLj1EEEvT0_T1_SA_.private_seg_size, 0
	.set _ZN6thrust23THRUST_200600_302600_NS11hip_rocprim14__parallel_for6kernelILj256ENS1_20__uninitialized_fill7functorINS0_10device_ptrIjEEjEEmLj1EEEvT0_T1_SA_.uses_vcc, 1
	.set _ZN6thrust23THRUST_200600_302600_NS11hip_rocprim14__parallel_for6kernelILj256ENS1_20__uninitialized_fill7functorINS0_10device_ptrIjEEjEEmLj1EEEvT0_T1_SA_.uses_flat_scratch, 0
	.set _ZN6thrust23THRUST_200600_302600_NS11hip_rocprim14__parallel_for6kernelILj256ENS1_20__uninitialized_fill7functorINS0_10device_ptrIjEEjEEmLj1EEEvT0_T1_SA_.has_dyn_sized_stack, 0
	.set _ZN6thrust23THRUST_200600_302600_NS11hip_rocprim14__parallel_for6kernelILj256ENS1_20__uninitialized_fill7functorINS0_10device_ptrIjEEjEEmLj1EEEvT0_T1_SA_.has_recursion, 0
	.set _ZN6thrust23THRUST_200600_302600_NS11hip_rocprim14__parallel_for6kernelILj256ENS1_20__uninitialized_fill7functorINS0_10device_ptrIjEEjEEmLj1EEEvT0_T1_SA_.has_indirect_call, 0
	.section	.AMDGPU.csdata,"",@progbits
; Kernel info:
; codeLenInByte = 204
; TotalNumSgprs: 14
; NumVgprs: 2
; ScratchSize: 0
; MemoryBound: 0
; FloatMode: 240
; IeeeMode: 1
; LDSByteSize: 0 bytes/workgroup (compile time only)
; SGPRBlocks: 0
; VGPRBlocks: 0
; NumSGPRsForWavesPerEU: 14
; NumVGPRsForWavesPerEU: 2
; NamedBarCnt: 0
; Occupancy: 16
; WaveLimiterHint : 0
; COMPUTE_PGM_RSRC2:SCRATCH_EN: 0
; COMPUTE_PGM_RSRC2:USER_SGPR: 2
; COMPUTE_PGM_RSRC2:TRAP_HANDLER: 0
; COMPUTE_PGM_RSRC2:TGID_X_EN: 1
; COMPUTE_PGM_RSRC2:TGID_Y_EN: 0
; COMPUTE_PGM_RSRC2:TGID_Z_EN: 0
; COMPUTE_PGM_RSRC2:TIDIG_COMP_CNT: 0
	.section	.text._ZN6thrust23THRUST_200600_302600_NS11hip_rocprim14__parallel_for6kernelILj256ENS1_11__transform17unary_transform_fINS0_6detail15normal_iteratorINS0_10device_ptrINS0_5tupleIffNS0_9null_typeESA_SA_SA_SA_SA_SA_SA_EEEEEENS7_INS8_IjEEEENS4_14no_stencil_tagE21point_to_bucket_indexNS4_21always_true_predicateEEElLj1EEEvT0_T1_SL_,"axG",@progbits,_ZN6thrust23THRUST_200600_302600_NS11hip_rocprim14__parallel_for6kernelILj256ENS1_11__transform17unary_transform_fINS0_6detail15normal_iteratorINS0_10device_ptrINS0_5tupleIffNS0_9null_typeESA_SA_SA_SA_SA_SA_SA_EEEEEENS7_INS8_IjEEEENS4_14no_stencil_tagE21point_to_bucket_indexNS4_21always_true_predicateEEElLj1EEEvT0_T1_SL_,comdat
	.protected	_ZN6thrust23THRUST_200600_302600_NS11hip_rocprim14__parallel_for6kernelILj256ENS1_11__transform17unary_transform_fINS0_6detail15normal_iteratorINS0_10device_ptrINS0_5tupleIffNS0_9null_typeESA_SA_SA_SA_SA_SA_SA_EEEEEENS7_INS8_IjEEEENS4_14no_stencil_tagE21point_to_bucket_indexNS4_21always_true_predicateEEElLj1EEEvT0_T1_SL_ ; -- Begin function _ZN6thrust23THRUST_200600_302600_NS11hip_rocprim14__parallel_for6kernelILj256ENS1_11__transform17unary_transform_fINS0_6detail15normal_iteratorINS0_10device_ptrINS0_5tupleIffNS0_9null_typeESA_SA_SA_SA_SA_SA_SA_EEEEEENS7_INS8_IjEEEENS4_14no_stencil_tagE21point_to_bucket_indexNS4_21always_true_predicateEEElLj1EEEvT0_T1_SL_
	.globl	_ZN6thrust23THRUST_200600_302600_NS11hip_rocprim14__parallel_for6kernelILj256ENS1_11__transform17unary_transform_fINS0_6detail15normal_iteratorINS0_10device_ptrINS0_5tupleIffNS0_9null_typeESA_SA_SA_SA_SA_SA_SA_EEEEEENS7_INS8_IjEEEENS4_14no_stencil_tagE21point_to_bucket_indexNS4_21always_true_predicateEEElLj1EEEvT0_T1_SL_
	.p2align	8
	.type	_ZN6thrust23THRUST_200600_302600_NS11hip_rocprim14__parallel_for6kernelILj256ENS1_11__transform17unary_transform_fINS0_6detail15normal_iteratorINS0_10device_ptrINS0_5tupleIffNS0_9null_typeESA_SA_SA_SA_SA_SA_SA_EEEEEENS7_INS8_IjEEEENS4_14no_stencil_tagE21point_to_bucket_indexNS4_21always_true_predicateEEElLj1EEEvT0_T1_SL_,@function
_ZN6thrust23THRUST_200600_302600_NS11hip_rocprim14__parallel_for6kernelILj256ENS1_11__transform17unary_transform_fINS0_6detail15normal_iteratorINS0_10device_ptrINS0_5tupleIffNS0_9null_typeESA_SA_SA_SA_SA_SA_SA_EEEEEENS7_INS8_IjEEEENS4_14no_stencil_tagE21point_to_bucket_indexNS4_21always_true_predicateEEElLj1EEEvT0_T1_SL_: ; @_ZN6thrust23THRUST_200600_302600_NS11hip_rocprim14__parallel_for6kernelILj256ENS1_11__transform17unary_transform_fINS0_6detail15normal_iteratorINS0_10device_ptrINS0_5tupleIffNS0_9null_typeESA_SA_SA_SA_SA_SA_SA_EEEEEENS7_INS8_IjEEEENS4_14no_stencil_tagE21point_to_bucket_indexNS4_21always_true_predicateEEElLj1EEEvT0_T1_SL_
; %bb.0:
	s_load_b128 s[4:7], s[0:1], 0x20
	s_bfe_u32 s2, ttmp6, 0x4000c
	s_and_b32 s3, ttmp6, 15
	s_add_co_i32 s2, s2, 1
	s_getreg_b32 s8, hwreg(HW_REG_IB_STS2, 6, 4)
	s_mul_i32 s2, ttmp9, s2
	s_delay_alu instid0(SALU_CYCLE_1)
	s_add_co_i32 s3, s3, s2
	s_cmp_eq_u32 s8, 0
	s_cselect_b32 s2, ttmp9, s3
	s_mov_b32 s3, 0
	s_lshl_b32 s2, s2, 8
	s_wait_kmcnt 0x0
	s_add_nc_u64 s[8:9], s[6:7], s[2:3]
	s_delay_alu instid0(SALU_CYCLE_1) | instskip(NEXT) | instid1(SALU_CYCLE_1)
	s_sub_nc_u64 s[2:3], s[4:5], s[8:9]
	v_min_i64 v[2:3], 0x100, s[2:3]
	s_clause 0x1
	s_load_b128 s[4:7], s[0:1], 0x0
	s_load_b64 s[2:3], s[0:1], 0x10
	s_wait_xcnt 0x0
	s_mov_b32 s0, -1
	s_delay_alu instid0(VALU_DEP_1)
	v_cmp_eq_u32_e32 vcc_lo, 0x100, v2
	s_cbranch_vccz .LBB6_3
; %bb.1:
	s_and_not1_b32 vcc_lo, exec_lo, s0
	s_cbranch_vccz .LBB6_6
.LBB6_2:
	s_endpgm
.LBB6_3:
	s_mov_b32 s0, exec_lo
	v_cmpx_lt_u32_e64 v0, v2
	s_cbranch_execz .LBB6_5
; %bb.4:
	s_wait_kmcnt 0x0
	s_cvt_f32_u32 s10, s3
	v_mov_b32_e32 v1, 0
	s_cvt_f32_u32 s1, s2
	s_delay_alu instid0(VALU_DEP_1) | instskip(NEXT) | instid1(VALU_DEP_1)
	v_add_nc_u64_e32 v[2:3], s[8:9], v[0:1]
	v_lshl_add_u64 v[4:5], v[2:3], 3, s[4:5]
	v_lshl_add_u64 v[2:3], v[2:3], 2, s[6:7]
	flat_load_b64 v[4:5], v[4:5]
	s_wait_loadcnt_dscnt 0x0
	v_dual_mul_f32 v1, s1, v4 :: v_dual_mul_f32 v4, s10, v5
	s_delay_alu instid0(VALU_DEP_1) | instskip(NEXT) | instid1(VALU_DEP_2)
	v_cvt_u32_f32_e32 v1, v1
	v_cvt_u32_f32_e32 v4, v4
	s_delay_alu instid0(VALU_DEP_1)
	v_mad_u32 v1, s2, v4, v1
	flat_store_b32 v[2:3], v1
.LBB6_5:
	s_wait_xcnt 0x0
	s_or_b32 exec_lo, exec_lo, s0
	s_cbranch_execnz .LBB6_2
.LBB6_6:
	s_wait_kmcnt 0x0
	s_cvt_f32_u32 s0, s2
	v_mov_b32_e32 v1, 0
	s_cvt_f32_u32 s1, s3
	s_delay_alu instid0(VALU_DEP_1) | instskip(NEXT) | instid1(VALU_DEP_1)
	v_add_nc_u64_e32 v[0:1], s[8:9], v[0:1]
	v_lshl_add_u64 v[2:3], v[0:1], 3, s[4:5]
	v_lshl_add_u64 v[0:1], v[0:1], 2, s[6:7]
	flat_load_b64 v[2:3], v[2:3]
	s_wait_loadcnt_dscnt 0x0
	v_dual_mul_f32 v2, s0, v2 :: v_dual_mul_f32 v3, s1, v3
	s_delay_alu instid0(VALU_DEP_1) | instskip(NEXT) | instid1(VALU_DEP_2)
	v_cvt_u32_f32_e32 v2, v2
	v_cvt_u32_f32_e32 v3, v3
	s_delay_alu instid0(VALU_DEP_1)
	v_mad_u32 v2, s2, v3, v2
	flat_store_b32 v[0:1], v2
	s_endpgm
	.section	.rodata,"a",@progbits
	.p2align	6, 0x0
	.amdhsa_kernel _ZN6thrust23THRUST_200600_302600_NS11hip_rocprim14__parallel_for6kernelILj256ENS1_11__transform17unary_transform_fINS0_6detail15normal_iteratorINS0_10device_ptrINS0_5tupleIffNS0_9null_typeESA_SA_SA_SA_SA_SA_SA_EEEEEENS7_INS8_IjEEEENS4_14no_stencil_tagE21point_to_bucket_indexNS4_21always_true_predicateEEElLj1EEEvT0_T1_SL_
		.amdhsa_group_segment_fixed_size 0
		.amdhsa_private_segment_fixed_size 0
		.amdhsa_kernarg_size 48
		.amdhsa_user_sgpr_count 2
		.amdhsa_user_sgpr_dispatch_ptr 0
		.amdhsa_user_sgpr_queue_ptr 0
		.amdhsa_user_sgpr_kernarg_segment_ptr 1
		.amdhsa_user_sgpr_dispatch_id 0
		.amdhsa_user_sgpr_kernarg_preload_length 0
		.amdhsa_user_sgpr_kernarg_preload_offset 0
		.amdhsa_user_sgpr_private_segment_size 0
		.amdhsa_wavefront_size32 1
		.amdhsa_uses_dynamic_stack 0
		.amdhsa_enable_private_segment 0
		.amdhsa_system_sgpr_workgroup_id_x 1
		.amdhsa_system_sgpr_workgroup_id_y 0
		.amdhsa_system_sgpr_workgroup_id_z 0
		.amdhsa_system_sgpr_workgroup_info 0
		.amdhsa_system_vgpr_workitem_id 0
		.amdhsa_next_free_vgpr 6
		.amdhsa_next_free_sgpr 11
		.amdhsa_named_barrier_count 0
		.amdhsa_reserve_vcc 1
		.amdhsa_float_round_mode_32 0
		.amdhsa_float_round_mode_16_64 0
		.amdhsa_float_denorm_mode_32 3
		.amdhsa_float_denorm_mode_16_64 3
		.amdhsa_fp16_overflow 0
		.amdhsa_memory_ordered 1
		.amdhsa_forward_progress 1
		.amdhsa_inst_pref_size 3
		.amdhsa_round_robin_scheduling 0
		.amdhsa_exception_fp_ieee_invalid_op 0
		.amdhsa_exception_fp_denorm_src 0
		.amdhsa_exception_fp_ieee_div_zero 0
		.amdhsa_exception_fp_ieee_overflow 0
		.amdhsa_exception_fp_ieee_underflow 0
		.amdhsa_exception_fp_ieee_inexact 0
		.amdhsa_exception_int_div_zero 0
	.end_amdhsa_kernel
	.section	.text._ZN6thrust23THRUST_200600_302600_NS11hip_rocprim14__parallel_for6kernelILj256ENS1_11__transform17unary_transform_fINS0_6detail15normal_iteratorINS0_10device_ptrINS0_5tupleIffNS0_9null_typeESA_SA_SA_SA_SA_SA_SA_EEEEEENS7_INS8_IjEEEENS4_14no_stencil_tagE21point_to_bucket_indexNS4_21always_true_predicateEEElLj1EEEvT0_T1_SL_,"axG",@progbits,_ZN6thrust23THRUST_200600_302600_NS11hip_rocprim14__parallel_for6kernelILj256ENS1_11__transform17unary_transform_fINS0_6detail15normal_iteratorINS0_10device_ptrINS0_5tupleIffNS0_9null_typeESA_SA_SA_SA_SA_SA_SA_EEEEEENS7_INS8_IjEEEENS4_14no_stencil_tagE21point_to_bucket_indexNS4_21always_true_predicateEEElLj1EEEvT0_T1_SL_,comdat
.Lfunc_end6:
	.size	_ZN6thrust23THRUST_200600_302600_NS11hip_rocprim14__parallel_for6kernelILj256ENS1_11__transform17unary_transform_fINS0_6detail15normal_iteratorINS0_10device_ptrINS0_5tupleIffNS0_9null_typeESA_SA_SA_SA_SA_SA_SA_EEEEEENS7_INS8_IjEEEENS4_14no_stencil_tagE21point_to_bucket_indexNS4_21always_true_predicateEEElLj1EEEvT0_T1_SL_, .Lfunc_end6-_ZN6thrust23THRUST_200600_302600_NS11hip_rocprim14__parallel_for6kernelILj256ENS1_11__transform17unary_transform_fINS0_6detail15normal_iteratorINS0_10device_ptrINS0_5tupleIffNS0_9null_typeESA_SA_SA_SA_SA_SA_SA_EEEEEENS7_INS8_IjEEEENS4_14no_stencil_tagE21point_to_bucket_indexNS4_21always_true_predicateEEElLj1EEEvT0_T1_SL_
                                        ; -- End function
	.set _ZN6thrust23THRUST_200600_302600_NS11hip_rocprim14__parallel_for6kernelILj256ENS1_11__transform17unary_transform_fINS0_6detail15normal_iteratorINS0_10device_ptrINS0_5tupleIffNS0_9null_typeESA_SA_SA_SA_SA_SA_SA_EEEEEENS7_INS8_IjEEEENS4_14no_stencil_tagE21point_to_bucket_indexNS4_21always_true_predicateEEElLj1EEEvT0_T1_SL_.num_vgpr, 6
	.set _ZN6thrust23THRUST_200600_302600_NS11hip_rocprim14__parallel_for6kernelILj256ENS1_11__transform17unary_transform_fINS0_6detail15normal_iteratorINS0_10device_ptrINS0_5tupleIffNS0_9null_typeESA_SA_SA_SA_SA_SA_SA_EEEEEENS7_INS8_IjEEEENS4_14no_stencil_tagE21point_to_bucket_indexNS4_21always_true_predicateEEElLj1EEEvT0_T1_SL_.num_agpr, 0
	.set _ZN6thrust23THRUST_200600_302600_NS11hip_rocprim14__parallel_for6kernelILj256ENS1_11__transform17unary_transform_fINS0_6detail15normal_iteratorINS0_10device_ptrINS0_5tupleIffNS0_9null_typeESA_SA_SA_SA_SA_SA_SA_EEEEEENS7_INS8_IjEEEENS4_14no_stencil_tagE21point_to_bucket_indexNS4_21always_true_predicateEEElLj1EEEvT0_T1_SL_.numbered_sgpr, 11
	.set _ZN6thrust23THRUST_200600_302600_NS11hip_rocprim14__parallel_for6kernelILj256ENS1_11__transform17unary_transform_fINS0_6detail15normal_iteratorINS0_10device_ptrINS0_5tupleIffNS0_9null_typeESA_SA_SA_SA_SA_SA_SA_EEEEEENS7_INS8_IjEEEENS4_14no_stencil_tagE21point_to_bucket_indexNS4_21always_true_predicateEEElLj1EEEvT0_T1_SL_.num_named_barrier, 0
	.set _ZN6thrust23THRUST_200600_302600_NS11hip_rocprim14__parallel_for6kernelILj256ENS1_11__transform17unary_transform_fINS0_6detail15normal_iteratorINS0_10device_ptrINS0_5tupleIffNS0_9null_typeESA_SA_SA_SA_SA_SA_SA_EEEEEENS7_INS8_IjEEEENS4_14no_stencil_tagE21point_to_bucket_indexNS4_21always_true_predicateEEElLj1EEEvT0_T1_SL_.private_seg_size, 0
	.set _ZN6thrust23THRUST_200600_302600_NS11hip_rocprim14__parallel_for6kernelILj256ENS1_11__transform17unary_transform_fINS0_6detail15normal_iteratorINS0_10device_ptrINS0_5tupleIffNS0_9null_typeESA_SA_SA_SA_SA_SA_SA_EEEEEENS7_INS8_IjEEEENS4_14no_stencil_tagE21point_to_bucket_indexNS4_21always_true_predicateEEElLj1EEEvT0_T1_SL_.uses_vcc, 1
	.set _ZN6thrust23THRUST_200600_302600_NS11hip_rocprim14__parallel_for6kernelILj256ENS1_11__transform17unary_transform_fINS0_6detail15normal_iteratorINS0_10device_ptrINS0_5tupleIffNS0_9null_typeESA_SA_SA_SA_SA_SA_SA_EEEEEENS7_INS8_IjEEEENS4_14no_stencil_tagE21point_to_bucket_indexNS4_21always_true_predicateEEElLj1EEEvT0_T1_SL_.uses_flat_scratch, 0
	.set _ZN6thrust23THRUST_200600_302600_NS11hip_rocprim14__parallel_for6kernelILj256ENS1_11__transform17unary_transform_fINS0_6detail15normal_iteratorINS0_10device_ptrINS0_5tupleIffNS0_9null_typeESA_SA_SA_SA_SA_SA_SA_EEEEEENS7_INS8_IjEEEENS4_14no_stencil_tagE21point_to_bucket_indexNS4_21always_true_predicateEEElLj1EEEvT0_T1_SL_.has_dyn_sized_stack, 0
	.set _ZN6thrust23THRUST_200600_302600_NS11hip_rocprim14__parallel_for6kernelILj256ENS1_11__transform17unary_transform_fINS0_6detail15normal_iteratorINS0_10device_ptrINS0_5tupleIffNS0_9null_typeESA_SA_SA_SA_SA_SA_SA_EEEEEENS7_INS8_IjEEEENS4_14no_stencil_tagE21point_to_bucket_indexNS4_21always_true_predicateEEElLj1EEEvT0_T1_SL_.has_recursion, 0
	.set _ZN6thrust23THRUST_200600_302600_NS11hip_rocprim14__parallel_for6kernelILj256ENS1_11__transform17unary_transform_fINS0_6detail15normal_iteratorINS0_10device_ptrINS0_5tupleIffNS0_9null_typeESA_SA_SA_SA_SA_SA_SA_EEEEEENS7_INS8_IjEEEENS4_14no_stencil_tagE21point_to_bucket_indexNS4_21always_true_predicateEEElLj1EEEvT0_T1_SL_.has_indirect_call, 0
	.section	.AMDGPU.csdata,"",@progbits
; Kernel info:
; codeLenInByte = 372
; TotalNumSgprs: 13
; NumVgprs: 6
; ScratchSize: 0
; MemoryBound: 0
; FloatMode: 240
; IeeeMode: 1
; LDSByteSize: 0 bytes/workgroup (compile time only)
; SGPRBlocks: 0
; VGPRBlocks: 0
; NumSGPRsForWavesPerEU: 13
; NumVGPRsForWavesPerEU: 6
; NamedBarCnt: 0
; Occupancy: 16
; WaveLimiterHint : 0
; COMPUTE_PGM_RSRC2:SCRATCH_EN: 0
; COMPUTE_PGM_RSRC2:USER_SGPR: 2
; COMPUTE_PGM_RSRC2:TRAP_HANDLER: 0
; COMPUTE_PGM_RSRC2:TGID_X_EN: 1
; COMPUTE_PGM_RSRC2:TGID_Y_EN: 0
; COMPUTE_PGM_RSRC2:TGID_Z_EN: 0
; COMPUTE_PGM_RSRC2:TIDIG_COMP_CNT: 0
	.section	.text._ZN7rocprim17ROCPRIM_400000_NS6detail17trampoline_kernelINS0_13kernel_configILj256ELj4ELj4294967295EEENS1_37radix_sort_block_sort_config_selectorIjN6thrust23THRUST_200600_302600_NS5tupleIffNS7_9null_typeES9_S9_S9_S9_S9_S9_S9_EEEEZNS1_21radix_sort_block_sortIS4_Lb0ENS7_6detail15normal_iteratorINS7_10device_ptrIjEEEESH_NSE_INSF_ISA_EEEESJ_NS0_19identity_decomposerEEE10hipError_tT1_T2_T3_T4_jRjT5_jjP12ihipStream_tbEUlT_E_NS1_11comp_targetILNS1_3genE0ELNS1_11target_archE4294967295ELNS1_3gpuE0ELNS1_3repE0EEENS1_44radix_sort_block_sort_config_static_selectorELNS0_4arch9wavefront6targetE0EEEvSM_,"axG",@progbits,_ZN7rocprim17ROCPRIM_400000_NS6detail17trampoline_kernelINS0_13kernel_configILj256ELj4ELj4294967295EEENS1_37radix_sort_block_sort_config_selectorIjN6thrust23THRUST_200600_302600_NS5tupleIffNS7_9null_typeES9_S9_S9_S9_S9_S9_S9_EEEEZNS1_21radix_sort_block_sortIS4_Lb0ENS7_6detail15normal_iteratorINS7_10device_ptrIjEEEESH_NSE_INSF_ISA_EEEESJ_NS0_19identity_decomposerEEE10hipError_tT1_T2_T3_T4_jRjT5_jjP12ihipStream_tbEUlT_E_NS1_11comp_targetILNS1_3genE0ELNS1_11target_archE4294967295ELNS1_3gpuE0ELNS1_3repE0EEENS1_44radix_sort_block_sort_config_static_selectorELNS0_4arch9wavefront6targetE0EEEvSM_,comdat
	.protected	_ZN7rocprim17ROCPRIM_400000_NS6detail17trampoline_kernelINS0_13kernel_configILj256ELj4ELj4294967295EEENS1_37radix_sort_block_sort_config_selectorIjN6thrust23THRUST_200600_302600_NS5tupleIffNS7_9null_typeES9_S9_S9_S9_S9_S9_S9_EEEEZNS1_21radix_sort_block_sortIS4_Lb0ENS7_6detail15normal_iteratorINS7_10device_ptrIjEEEESH_NSE_INSF_ISA_EEEESJ_NS0_19identity_decomposerEEE10hipError_tT1_T2_T3_T4_jRjT5_jjP12ihipStream_tbEUlT_E_NS1_11comp_targetILNS1_3genE0ELNS1_11target_archE4294967295ELNS1_3gpuE0ELNS1_3repE0EEENS1_44radix_sort_block_sort_config_static_selectorELNS0_4arch9wavefront6targetE0EEEvSM_ ; -- Begin function _ZN7rocprim17ROCPRIM_400000_NS6detail17trampoline_kernelINS0_13kernel_configILj256ELj4ELj4294967295EEENS1_37radix_sort_block_sort_config_selectorIjN6thrust23THRUST_200600_302600_NS5tupleIffNS7_9null_typeES9_S9_S9_S9_S9_S9_S9_EEEEZNS1_21radix_sort_block_sortIS4_Lb0ENS7_6detail15normal_iteratorINS7_10device_ptrIjEEEESH_NSE_INSF_ISA_EEEESJ_NS0_19identity_decomposerEEE10hipError_tT1_T2_T3_T4_jRjT5_jjP12ihipStream_tbEUlT_E_NS1_11comp_targetILNS1_3genE0ELNS1_11target_archE4294967295ELNS1_3gpuE0ELNS1_3repE0EEENS1_44radix_sort_block_sort_config_static_selectorELNS0_4arch9wavefront6targetE0EEEvSM_
	.globl	_ZN7rocprim17ROCPRIM_400000_NS6detail17trampoline_kernelINS0_13kernel_configILj256ELj4ELj4294967295EEENS1_37radix_sort_block_sort_config_selectorIjN6thrust23THRUST_200600_302600_NS5tupleIffNS7_9null_typeES9_S9_S9_S9_S9_S9_S9_EEEEZNS1_21radix_sort_block_sortIS4_Lb0ENS7_6detail15normal_iteratorINS7_10device_ptrIjEEEESH_NSE_INSF_ISA_EEEESJ_NS0_19identity_decomposerEEE10hipError_tT1_T2_T3_T4_jRjT5_jjP12ihipStream_tbEUlT_E_NS1_11comp_targetILNS1_3genE0ELNS1_11target_archE4294967295ELNS1_3gpuE0ELNS1_3repE0EEENS1_44radix_sort_block_sort_config_static_selectorELNS0_4arch9wavefront6targetE0EEEvSM_
	.p2align	8
	.type	_ZN7rocprim17ROCPRIM_400000_NS6detail17trampoline_kernelINS0_13kernel_configILj256ELj4ELj4294967295EEENS1_37radix_sort_block_sort_config_selectorIjN6thrust23THRUST_200600_302600_NS5tupleIffNS7_9null_typeES9_S9_S9_S9_S9_S9_S9_EEEEZNS1_21radix_sort_block_sortIS4_Lb0ENS7_6detail15normal_iteratorINS7_10device_ptrIjEEEESH_NSE_INSF_ISA_EEEESJ_NS0_19identity_decomposerEEE10hipError_tT1_T2_T3_T4_jRjT5_jjP12ihipStream_tbEUlT_E_NS1_11comp_targetILNS1_3genE0ELNS1_11target_archE4294967295ELNS1_3gpuE0ELNS1_3repE0EEENS1_44radix_sort_block_sort_config_static_selectorELNS0_4arch9wavefront6targetE0EEEvSM_,@function
_ZN7rocprim17ROCPRIM_400000_NS6detail17trampoline_kernelINS0_13kernel_configILj256ELj4ELj4294967295EEENS1_37radix_sort_block_sort_config_selectorIjN6thrust23THRUST_200600_302600_NS5tupleIffNS7_9null_typeES9_S9_S9_S9_S9_S9_S9_EEEEZNS1_21radix_sort_block_sortIS4_Lb0ENS7_6detail15normal_iteratorINS7_10device_ptrIjEEEESH_NSE_INSF_ISA_EEEESJ_NS0_19identity_decomposerEEE10hipError_tT1_T2_T3_T4_jRjT5_jjP12ihipStream_tbEUlT_E_NS1_11comp_targetILNS1_3genE0ELNS1_11target_archE4294967295ELNS1_3gpuE0ELNS1_3repE0EEENS1_44radix_sort_block_sort_config_static_selectorELNS0_4arch9wavefront6targetE0EEEvSM_: ; @_ZN7rocprim17ROCPRIM_400000_NS6detail17trampoline_kernelINS0_13kernel_configILj256ELj4ELj4294967295EEENS1_37radix_sort_block_sort_config_selectorIjN6thrust23THRUST_200600_302600_NS5tupleIffNS7_9null_typeES9_S9_S9_S9_S9_S9_S9_EEEEZNS1_21radix_sort_block_sortIS4_Lb0ENS7_6detail15normal_iteratorINS7_10device_ptrIjEEEESH_NSE_INSF_ISA_EEEESJ_NS0_19identity_decomposerEEE10hipError_tT1_T2_T3_T4_jRjT5_jjP12ihipStream_tbEUlT_E_NS1_11comp_targetILNS1_3genE0ELNS1_11target_archE4294967295ELNS1_3gpuE0ELNS1_3repE0EEENS1_44radix_sort_block_sort_config_static_selectorELNS0_4arch9wavefront6targetE0EEEvSM_
; %bb.0:
	s_clause 0x1
	s_load_b32 s2, s[0:1], 0x20
	s_load_b256 s[16:23], s[0:1], 0x0
	s_bfe_u32 s4, ttmp6, 0x4000c
	s_and_b32 s3, ttmp6, 15
	s_add_co_i32 s4, s4, 1
	v_and_b32_e32 v30, 0x3ff, v0
	s_mul_i32 s4, ttmp9, s4
	s_getreg_b32 s5, hwreg(HW_REG_IB_STS2, 6, 4)
	s_add_co_i32 s3, s3, s4
	v_mbcnt_lo_u32_b32 v1, -1, 0
	v_dual_mov_b32 v3, 0 :: v_dual_lshlrev_b32 v16, 2, v30
	s_mov_b32 s25, 0
	s_delay_alu instid0(VALU_DEP_1) | instskip(NEXT) | instid1(VALU_DEP_2)
	v_dual_mov_b32 v7, v3 :: v_dual_lshlrev_b32 v20, 3, v1
	v_and_b32_e32 v24, 0x380, v16
	v_lshlrev_b32_e32 v2, 2, v1
	s_wait_kmcnt 0x0
	s_lshr_b32 s6, s2, 10
	s_cmp_eq_u32 s5, 0
	v_lshlrev_b32_e32 v6, 2, v24
	s_cselect_b32 s3, ttmp9, s3
	v_lshlrev_b32_e32 v18, 3, v24
	s_cmp_lg_u32 s3, s6
	s_cselect_b32 s30, -1, 0
	s_lshl_b32 s24, s3, 10
	s_delay_alu instid0(SALU_CYCLE_1) | instskip(SKIP_4) | instid1(VALU_DEP_1)
	s_lshl_b64 s[26:27], s[24:25], 2
	s_cmp_eq_u32 s3, s6
	s_add_nc_u64 s[4:5], s[16:17], s[26:27]
	s_mov_b32 s3, -1
	v_add_nc_u64_e32 v[4:5], s[4:5], v[2:3]
	v_add_nc_u64_e32 v[22:23], v[4:5], v[6:7]
	s_cbranch_scc1 .LBB7_2
; %bb.1:
	v_dual_mov_b32 v21, v3 :: v_dual_mov_b32 v19, v3
	s_lshl_b64 s[4:5], s[24:25], 3
	s_mov_b32 s3, s25
	s_add_nc_u64 s[4:5], s[20:21], s[4:5]
	s_delay_alu instid0(VALU_DEP_1) | instid1(SALU_CYCLE_1)
	v_add_nc_u64_e32 v[4:5], s[4:5], v[20:21]
	s_delay_alu instid0(VALU_DEP_1)
	v_add_nc_u64_e32 v[26:27], v[4:5], v[18:19]
	s_clause 0x3
	global_load_b32 v4, v[22:23], off
	global_load_b32 v5, v[22:23], off offset:128
	global_load_b32 v6, v[22:23], off offset:256
	;; [unrolled: 1-line block ×3, first 2 shown]
	s_clause 0x3
	global_load_b64 v[8:9], v[26:27], off
	global_load_b64 v[10:11], v[26:27], off offset:256
	global_load_b64 v[12:13], v[26:27], off offset:512
	;; [unrolled: 1-line block ×3, first 2 shown]
	s_load_b64 s[28:29], s[0:1], 0x28
	s_and_not1_b32 vcc_lo, exec_lo, s3
	s_sub_co_i32 s31, s2, s24
	s_cbranch_vccz .LBB7_3
	s_branch .LBB7_20
.LBB7_2:
                                        ; implicit-def: $vgpr8_vgpr9
                                        ; implicit-def: $vgpr12_vgpr13
                                        ; implicit-def: $vgpr4_vgpr5_vgpr6_vgpr7
	s_load_b64 s[28:29], s[0:1], 0x28
	s_and_not1_b32 vcc_lo, exec_lo, s3
	s_sub_co_i32 s31, s2, s24
	s_cbranch_vccnz .LBB7_20
.LBB7_3:
	s_wait_loadcnt 0x7
	v_dual_mov_b32 v4, -1 :: v_dual_bitop2_b32 v3, v1, v24 bitop3:0x54
	s_delay_alu instid0(VALU_DEP_1) | instskip(SKIP_1) | instid1(VALU_DEP_2)
	v_cmp_gt_u32_e32 vcc_lo, s31, v3
	s_wait_loadcnt 0x5
	v_dual_mov_b32 v5, v4 :: v_dual_mov_b32 v6, v4
	s_wait_loadcnt 0x4
	v_mov_b32_e32 v7, v4
	s_and_saveexec_b32 s2, vcc_lo
	s_cbranch_execz .LBB7_5
; %bb.4:
	global_load_b32 v6, v[22:23], off
	s_wait_loadcnt 0x4
	v_dual_mov_b32 v7, v4 :: v_dual_mov_b32 v8, v4
	v_mov_b32_e32 v9, v4
	s_wait_loadcnt 0x0
	s_delay_alu instid0(VALU_DEP_2) | instskip(NEXT) | instid1(VALU_DEP_2)
	v_mov_b64_e32 v[4:5], v[6:7]
	v_mov_b64_e32 v[6:7], v[8:9]
.LBB7_5:
	s_or_b32 exec_lo, exec_lo, s2
	s_wait_loadcnt 0x3
	v_or_b32_e32 v8, 32, v3
	s_delay_alu instid0(VALU_DEP_1)
	v_cmp_gt_u32_e64 s2, s31, v8
	s_and_saveexec_b32 s3, s2
	s_cbranch_execz .LBB7_7
; %bb.6:
	global_load_b32 v5, v[22:23], off offset:128
.LBB7_7:
	s_wait_xcnt 0x0
	s_or_b32 exec_lo, exec_lo, s3
	v_or_b32_e32 v8, 64, v3
	s_delay_alu instid0(VALU_DEP_1)
	v_cmp_gt_u32_e64 s3, s31, v8
	s_and_saveexec_b32 s4, s3
	s_cbranch_execz .LBB7_9
; %bb.8:
	global_load_b32 v6, v[22:23], off offset:256
.LBB7_9:
	s_wait_xcnt 0x0
	s_or_b32 exec_lo, exec_lo, s4
	;; [unrolled: 10-line block ×3, first 2 shown]
	v_mov_b32_e32 v21, 0
	s_lshl_b64 s[6:7], s[24:25], 3
	s_wait_loadcnt 0x2
	v_mov_b64_e32 v[10:11], 0
	s_add_nc_u64 s[6:7], s[20:21], s[6:7]
	s_delay_alu instid0(SALU_CYCLE_1) | instskip(SKIP_1) | instid1(VALU_DEP_1)
	v_add_nc_u64_e32 v[8:9], s[6:7], v[20:21]
	v_mov_b32_e32 v19, v21
	v_add_nc_u64_e32 v[20:21], v[8:9], v[18:19]
	v_mov_b64_e32 v[8:9], 0
	s_and_saveexec_b32 s5, vcc_lo
	s_cbranch_execz .LBB7_13
; %bb.12:
	global_load_b64 v[8:9], v[20:21], off
.LBB7_13:
	s_wait_xcnt 0x0
	s_or_b32 exec_lo, exec_lo, s5
	s_and_saveexec_b32 s5, s2
	s_cbranch_execz .LBB7_15
; %bb.14:
	global_load_b64 v[10:11], v[20:21], off offset:256
.LBB7_15:
	s_wait_xcnt 0x0
	s_or_b32 exec_lo, exec_lo, s5
	s_wait_loadcnt 0x0
	v_mov_b64_e32 v[14:15], 0
	v_mov_b64_e32 v[12:13], 0
	s_and_saveexec_b32 s2, s3
	s_cbranch_execz .LBB7_17
; %bb.16:
	global_load_b64 v[12:13], v[20:21], off offset:512
.LBB7_17:
	s_wait_xcnt 0x0
	s_or_b32 exec_lo, exec_lo, s2
	s_and_saveexec_b32 s2, s4
	s_cbranch_execz .LBB7_19
; %bb.18:
	global_load_b64 v[14:15], v[20:21], off offset:768
.LBB7_19:
	s_wait_xcnt 0x0
	s_or_b32 exec_lo, exec_lo, s2
.LBB7_20:
	s_load_b32 s6, s[0:1], 0x3c
	v_bfe_u32 v3, v0, 10, 10
	v_bfe_u32 v0, v0, 20, 10
	s_get_pc_i64 s[4:5]
	s_add_nc_u64 s[4:5], s[4:5], _ZN7rocprim17ROCPRIM_400000_NS16block_radix_sortIjLj256ELj4EN6thrust23THRUST_200600_302600_NS5tupleIffNS3_9null_typeES5_S5_S5_S5_S5_S5_S5_EELj1ELj1ELj0ELNS0_26block_radix_rank_algorithmE1ELNS0_18block_padding_hintE2ELNS0_4arch9wavefront6targetE0EE19radix_bits_per_passE@rel64+4
	v_and_b32_e32 v21, 0x3e0, v30
	v_sub_co_u32 v22, s2, v1, 1
	s_load_b32 s20, s[4:5], 0x0
	v_dual_lshrrev_b32 v23, 3, v30 :: v_dual_bitop2_b32 v20, 16, v1 bitop3:0x40
	v_lshl_add_u32 v31, v24, 2, v2
	v_add3_u32 v32, v2, v2, v18
	v_min_u32_e32 v2, 0xe0, v21
	v_cmp_gt_i32_e32 vcc_lo, 0, v22
	v_dual_lshlrev_b32 v17, 5, v30 :: v_dual_bitop2_b32 v19, 15, v1 bitop3:0x40
	s_mov_b32 s14, 0
	v_mul_i32_i24_e32 v25, 0xffffffe4, v30
	v_dual_cndmask_b32 v1, v22, v1, vcc_lo :: v_dual_bitop2_b32 v26, 7, v1 bitop3:0x40
	s_wait_kmcnt 0x0
	s_lshr_b32 s7, s6, 16
	s_and_b32 s6, s6, 0xffff
	v_mad_u32_u24 v0, v0, s7, v3
	v_and_b32_e32 v34, 0x7c, v23
	s_mov_b32 s15, s14
	s_mov_b32 s16, s14
	;; [unrolled: 1-line block ×3, first 2 shown]
	v_mad_u32 v0, v0, s6, v30
	v_or_b32_e32 v2, 31, v2
	v_cmp_eq_u32_e64 s4, 0, v19
	v_cmp_lt_u32_e64 s5, 1, v19
	v_cmp_lt_u32_e64 s6, 3, v19
	;; [unrolled: 1-line block ×3, first 2 shown]
	v_cmp_eq_u32_e64 s8, 0, v20
	v_mov_b64_e32 v[18:19], s[14:15]
	v_mov_b64_e32 v[20:21], s[16:17]
	v_cmp_gt_u32_e64 s0, 8, v30
	v_cmp_lt_u32_e64 s1, 31, v30
	v_lshrrev_b32_e32 v0, 3, v0
	v_cmp_eq_u32_e64 s3, 0, v30
	v_cmp_eq_u32_e64 s9, 0, v26
	v_cmp_lt_u32_e64 s10, 1, v26
	v_cmp_lt_u32_e64 s11, 3, v26
	v_dual_lshlrev_b32 v35, 2, v1 :: v_dual_add_nc_u32 v36, -4, v34
	v_cmp_eq_u32_e64 s12, v30, v2
	v_and_b32_e32 v37, 0x1ffffffc, v0
	v_add_nc_u32_e32 v33, v17, v25
	s_add_co_i32 s21, s29, s28
	s_branch .LBB7_22
.LBB7_21:                               ;   in Loop: Header=BB7_22 Depth=1
	s_and_not1_b32 vcc_lo, exec_lo, s13
	s_cbranch_vccz .LBB7_38
.LBB7_22:                               ; =>This Inner Loop Header: Depth=1
	s_wait_loadcnt 0x4
	v_mov_b64_e32 v[0:1], v[4:5]
	v_mov_b64_e32 v[2:3], v[6:7]
	s_min_u32 s13, s20, s29
	s_wait_loadcnt 0x3
	v_mov_b64_e32 v[28:29], v[8:9]
	s_lshl_b32 s33, -1, s13
	ds_store_2addr_b64 v17, v[18:19], v[20:21] offset0:4 offset1:5
	ds_store_2addr_b64 v17, v[18:19], v[20:21] offset0:6 offset1:7
	s_wait_loadcnt_dscnt 0x0
	v_lshrrev_b32_e32 v4, s28, v0
	s_barrier_signal -1
	s_barrier_wait -1
	s_delay_alu instid0(VALU_DEP_1) | instskip(NEXT) | instid1(VALU_DEP_1)
	v_bitop3_b32 v6, v4, s33, v4 bitop3:0x30
	; wave barrier
	v_lshlrev_b32_e32 v7, 30, v6
	v_bitop3_b32 v5, v4, 1, s33 bitop3:0x40
	v_dual_lshlrev_b32 v22, 29, v6 :: v_dual_lshlrev_b32 v23, 28, v6
	v_dual_lshlrev_b32 v24, 27, v6 :: v_dual_lshlrev_b32 v25, 26, v6
	s_delay_alu instid0(VALU_DEP_3) | instskip(NEXT) | instid1(VALU_DEP_1)
	v_add_co_u32 v4, s13, v5, -1
	v_cndmask_b32_e64 v5, 0, 1, s13
	v_cmp_gt_i32_e64 s13, 0, v7
	v_cmp_gt_i32_e64 s14, 0, v22
	v_dual_lshlrev_b32 v26, 25, v6 :: v_dual_lshlrev_b32 v27, 24, v6
	s_delay_alu instid0(VALU_DEP_4)
	v_cmp_ne_u32_e32 vcc_lo, 0, v5
	v_not_b32_e32 v5, v7
	v_not_b32_e32 v7, v22
	v_not_b32_e32 v22, v23
	v_cmp_gt_i32_e64 s15, 0, v23
	v_cmp_gt_i32_e64 s16, 0, v24
	v_dual_ashrrev_i32 v5, 31, v5 :: v_dual_bitop2_b32 v4, vcc_lo, v4 bitop3:0x14
	v_not_b32_e32 v23, v24
	v_dual_ashrrev_i32 v7, 31, v7 :: v_dual_ashrrev_i32 v22, 31, v22
	s_delay_alu instid0(VALU_DEP_3)
	v_xor_b32_e32 v5, s13, v5
	v_not_b32_e32 v24, v25
	v_cmp_gt_i32_e64 s17, 0, v25
	v_ashrrev_i32_e32 v23, 31, v23
	v_xor_b32_e32 v7, s14, v7
	v_bitop3_b32 v4, v4, v5, exec_lo bitop3:0x80
	v_not_b32_e32 v5, v26
	v_xor_b32_e32 v22, s15, v22
	v_not_b32_e32 v25, v27
	v_dual_ashrrev_i32 v24, 31, v24 :: v_dual_bitop2_b32 v23, s16, v23 bitop3:0x14
	v_cmp_gt_i32_e32 vcc_lo, 0, v26
	v_ashrrev_i32_e32 v5, 31, v5
	v_bitop3_b32 v4, v4, v22, v7 bitop3:0x80
	v_cmp_gt_i32_e64 s13, 0, v27
	v_dual_ashrrev_i32 v7, 31, v25 :: v_dual_bitop2_b32 v22, s17, v24 bitop3:0x14
	s_delay_alu instid0(VALU_DEP_4) | instskip(SKIP_2) | instid1(VALU_DEP_4)
	v_xor_b32_e32 v5, vcc_lo, v5
	v_mov_b64_e32 v[24:25], v[12:13]
	v_mov_b64_e32 v[26:27], v[10:11]
	v_xor_b32_e32 v7, s13, v7
	v_bitop3_b32 v4, v4, v22, v23 bitop3:0x80
	v_mov_b64_e32 v[22:23], v[14:15]
	s_delay_alu instid0(VALU_DEP_2) | instskip(SKIP_1) | instid1(VALU_DEP_2)
	v_bitop3_b32 v4, v4, v7, v5 bitop3:0x80
	v_lshlrev_b32_e32 v5, 5, v6
	v_mbcnt_lo_u32_b32 v12, v4, 0
	v_cmp_ne_u32_e64 s13, 0, v4
	s_delay_alu instid0(VALU_DEP_3) | instskip(NEXT) | instid1(VALU_DEP_3)
	v_add_nc_u32_e32 v13, v37, v5
	v_cmp_eq_u32_e32 vcc_lo, 0, v12
	s_and_b32 s14, s13, vcc_lo
	s_delay_alu instid0(SALU_CYCLE_1)
	s_and_saveexec_b32 s13, s14
; %bb.23:                               ;   in Loop: Header=BB7_22 Depth=1
	v_bcnt_u32_b32 v4, v4, 0
	ds_store_b32 v13, v4 offset:32
; %bb.24:                               ;   in Loop: Header=BB7_22 Depth=1
	s_or_b32 exec_lo, exec_lo, s13
	v_lshrrev_b32_e32 v4, s28, v1
	s_not_b32 s17, s33
	; wave barrier
	s_delay_alu instid0(VALU_DEP_1) | instid1(SALU_CYCLE_1)
	v_and_b32_e32 v5, s17, v4
	v_bitop3_b32 v4, v4, 1, s17 bitop3:0x80
	s_delay_alu instid0(VALU_DEP_2) | instskip(NEXT) | instid1(VALU_DEP_2)
	v_dual_lshlrev_b32 v8, 30, v5 :: v_dual_lshlrev_b32 v9, 29, v5
	v_add_co_u32 v4, s13, v4, -1
	s_delay_alu instid0(VALU_DEP_1) | instskip(SKIP_1) | instid1(VALU_DEP_4)
	v_cndmask_b32_e64 v7, 0, 1, s13
	v_lshlrev_b32_e32 v10, 28, v5
	v_cmp_gt_i32_e64 s13, 0, v8
	v_cmp_gt_i32_e64 s14, 0, v9
	s_delay_alu instid0(VALU_DEP_4) | instskip(SKIP_3) | instid1(VALU_DEP_2)
	v_cmp_ne_u32_e32 vcc_lo, 0, v7
	v_not_b32_e32 v7, v8
	v_not_b32_e32 v8, v9
	;; [unrolled: 1-line block ×3, first 2 shown]
	v_dual_ashrrev_i32 v7, 31, v7 :: v_dual_ashrrev_i32 v8, 31, v8
	s_delay_alu instid0(VALU_DEP_2)
	v_ashrrev_i32_e32 v9, 31, v9
	v_dual_lshlrev_b32 v6, 5, v5 :: v_dual_lshlrev_b32 v11, 27, v5
	v_lshlrev_b32_e32 v14, 26, v5
	v_cmp_gt_i32_e64 s15, 0, v10
	v_xor_b32_e32 v7, s13, v7
	v_xor_b32_e32 v8, s14, v8
	v_not_b32_e32 v10, v11
	v_xor_b32_e32 v4, vcc_lo, v4
	v_cmp_gt_i32_e64 s16, 0, v11
	v_not_b32_e32 v11, v14
	v_xor_b32_e32 v9, s15, v9
	v_cmp_gt_i32_e32 vcc_lo, 0, v14
	v_bitop3_b32 v4, v4, v7, exec_lo bitop3:0x80
	v_dual_ashrrev_i32 v7, 31, v10 :: v_dual_lshlrev_b32 v10, 25, v5
	v_dual_lshlrev_b32 v5, 24, v5 :: v_dual_ashrrev_i32 v11, 31, v11
	s_delay_alu instid0(VALU_DEP_3) | instskip(NEXT) | instid1(VALU_DEP_3)
	v_bitop3_b32 v4, v4, v9, v8 bitop3:0x80
	v_xor_b32_e32 v7, s16, v7
	s_delay_alu instid0(VALU_DEP_4) | instskip(NEXT) | instid1(VALU_DEP_4)
	v_not_b32_e32 v8, v10
	v_not_b32_e32 v9, v5
	v_xor_b32_e32 v11, vcc_lo, v11
	v_cmp_gt_i32_e32 vcc_lo, 0, v10
	v_cmp_gt_i32_e64 s13, 0, v5
	s_delay_alu instid0(VALU_DEP_4) | instskip(SKIP_2) | instid1(VALU_DEP_3)
	v_dual_ashrrev_i32 v8, 31, v8 :: v_dual_ashrrev_i32 v5, 31, v9
	v_add_nc_u32_e32 v14, v37, v6
	v_bitop3_b32 v4, v4, v11, v7 bitop3:0x80
	v_xor_b32_e32 v6, vcc_lo, v8
	s_delay_alu instid0(VALU_DEP_4) | instskip(SKIP_2) | instid1(VALU_DEP_1)
	v_xor_b32_e32 v5, s13, v5
	ds_load_b32 v15, v14 offset:32
	; wave barrier
	v_bitop3_b32 v4, v4, v5, v6 bitop3:0x80
	v_mbcnt_lo_u32_b32 v38, v4, 0
	v_cmp_ne_u32_e64 s13, 0, v4
	s_delay_alu instid0(VALU_DEP_2) | instskip(SKIP_1) | instid1(SALU_CYCLE_1)
	v_cmp_eq_u32_e32 vcc_lo, 0, v38
	s_and_b32 s14, s13, vcc_lo
	s_and_saveexec_b32 s13, s14
	s_cbranch_execz .LBB7_26
; %bb.25:                               ;   in Loop: Header=BB7_22 Depth=1
	s_wait_dscnt 0x0
	v_bcnt_u32_b32 v4, v4, v15
	ds_store_b32 v14, v4 offset:32
.LBB7_26:                               ;   in Loop: Header=BB7_22 Depth=1
	s_or_b32 exec_lo, exec_lo, s13
	v_lshrrev_b32_e32 v4, s28, v2
	; wave barrier
	s_delay_alu instid0(VALU_DEP_1) | instskip(NEXT) | instid1(VALU_DEP_1)
	v_and_b32_e32 v5, s17, v4
	v_lshlrev_b32_e32 v6, 5, v5
	v_bitop3_b32 v4, v4, 1, s17 bitop3:0x80
	v_lshlrev_b32_e32 v8, 30, v5
	s_delay_alu instid0(VALU_DEP_2) | instskip(NEXT) | instid1(VALU_DEP_1)
	v_add_co_u32 v4, s13, v4, -1
	v_cndmask_b32_e64 v7, 0, 1, s13
	s_delay_alu instid0(VALU_DEP_1) | instskip(NEXT) | instid1(VALU_DEP_4)
	v_cmp_ne_u32_e32 vcc_lo, 0, v7
	v_not_b32_e32 v7, v8
	s_delay_alu instid0(VALU_DEP_1) | instskip(SKIP_4) | instid1(VALU_DEP_4)
	v_dual_ashrrev_i32 v7, 31, v7 :: v_dual_bitop2_b32 v4, vcc_lo, v4 bitop3:0x14
	v_dual_lshlrev_b32 v9, 29, v5 :: v_dual_lshlrev_b32 v10, 28, v5
	v_dual_lshlrev_b32 v11, 27, v5 :: v_dual_lshlrev_b32 v39, 26, v5
	v_lshlrev_b32_e32 v40, 25, v5
	v_cmp_gt_i32_e64 s13, 0, v8
	v_cmp_gt_i32_e64 s14, 0, v9
	v_not_b32_e32 v8, v9
	v_not_b32_e32 v9, v10
	v_lshlrev_b32_e32 v5, 24, v5
	v_cmp_gt_i32_e64 s15, 0, v10
	v_not_b32_e32 v41, v39
	s_delay_alu instid0(VALU_DEP_4) | instskip(SKIP_3) | instid1(VALU_DEP_4)
	v_dual_ashrrev_i32 v8, 31, v8 :: v_dual_ashrrev_i32 v9, 31, v9
	v_xor_b32_e32 v7, s13, v7
	v_not_b32_e32 v10, v11
	v_cmp_gt_i32_e32 vcc_lo, 0, v11
	v_xor_b32_e32 v8, s14, v8
	v_xor_b32_e32 v9, s15, v9
	v_bitop3_b32 v4, v4, v7, exec_lo bitop3:0x80
	v_ashrrev_i32_e32 v7, 31, v10
	v_cmp_gt_i32_e64 s13, 0, v39
	v_ashrrev_i32_e32 v10, 31, v41
	s_delay_alu instid0(VALU_DEP_4)
	v_bitop3_b32 v4, v4, v9, v8 bitop3:0x80
	v_not_b32_e32 v8, v40
	v_not_b32_e32 v9, v5
	v_xor_b32_e32 v7, vcc_lo, v7
	v_xor_b32_e32 v10, s13, v10
	v_cmp_gt_i32_e32 vcc_lo, 0, v40
	v_ashrrev_i32_e32 v8, 31, v8
	v_cmp_gt_i32_e64 s13, 0, v5
	v_dual_ashrrev_i32 v5, 31, v9 :: v_dual_add_nc_u32 v39, v37, v6
	v_bitop3_b32 v4, v4, v10, v7 bitop3:0x80
	s_delay_alu instid0(VALU_DEP_4) | instskip(NEXT) | instid1(VALU_DEP_3)
	v_xor_b32_e32 v6, vcc_lo, v8
	v_xor_b32_e32 v5, s13, v5
	ds_load_b32 v40, v39 offset:32
	; wave barrier
	v_bitop3_b32 v4, v4, v5, v6 bitop3:0x80
	s_delay_alu instid0(VALU_DEP_1) | instskip(SKIP_1) | instid1(VALU_DEP_2)
	v_mbcnt_lo_u32_b32 v41, v4, 0
	v_cmp_ne_u32_e64 s13, 0, v4
	v_cmp_eq_u32_e32 vcc_lo, 0, v41
	s_and_b32 s14, s13, vcc_lo
	s_delay_alu instid0(SALU_CYCLE_1)
	s_and_saveexec_b32 s13, s14
	s_cbranch_execz .LBB7_28
; %bb.27:                               ;   in Loop: Header=BB7_22 Depth=1
	s_wait_dscnt 0x0
	v_bcnt_u32_b32 v4, v4, v40
	ds_store_b32 v39, v4 offset:32
.LBB7_28:                               ;   in Loop: Header=BB7_22 Depth=1
	s_or_b32 exec_lo, exec_lo, s13
	v_lshrrev_b32_e32 v4, s28, v3
	; wave barrier
	s_delay_alu instid0(VALU_DEP_1) | instskip(NEXT) | instid1(VALU_DEP_1)
	v_and_b32_e32 v5, s17, v4
	v_lshlrev_b32_e32 v6, 5, v5
	v_bitop3_b32 v4, v4, 1, s17 bitop3:0x80
	v_lshlrev_b32_e32 v8, 30, v5
	s_delay_alu instid0(VALU_DEP_2) | instskip(NEXT) | instid1(VALU_DEP_1)
	v_add_co_u32 v4, s13, v4, -1
	v_cndmask_b32_e64 v7, 0, 1, s13
	s_delay_alu instid0(VALU_DEP_1) | instskip(NEXT) | instid1(VALU_DEP_4)
	v_cmp_ne_u32_e32 vcc_lo, 0, v7
	v_not_b32_e32 v7, v8
	s_delay_alu instid0(VALU_DEP_1) | instskip(SKIP_4) | instid1(VALU_DEP_4)
	v_dual_ashrrev_i32 v7, 31, v7 :: v_dual_bitop2_b32 v4, vcc_lo, v4 bitop3:0x14
	v_dual_lshlrev_b32 v9, 29, v5 :: v_dual_lshlrev_b32 v10, 28, v5
	v_dual_lshlrev_b32 v11, 27, v5 :: v_dual_lshlrev_b32 v42, 26, v5
	v_lshlrev_b32_e32 v43, 25, v5
	v_cmp_gt_i32_e64 s13, 0, v8
	v_cmp_gt_i32_e64 s14, 0, v9
	v_not_b32_e32 v8, v9
	v_not_b32_e32 v9, v10
	v_lshlrev_b32_e32 v5, 24, v5
	v_cmp_gt_i32_e64 s15, 0, v10
	v_not_b32_e32 v44, v42
	s_delay_alu instid0(VALU_DEP_4) | instskip(SKIP_3) | instid1(VALU_DEP_4)
	v_dual_ashrrev_i32 v8, 31, v8 :: v_dual_ashrrev_i32 v9, 31, v9
	v_xor_b32_e32 v7, s13, v7
	v_not_b32_e32 v10, v11
	v_cmp_gt_i32_e32 vcc_lo, 0, v11
	v_xor_b32_e32 v8, s14, v8
	v_xor_b32_e32 v9, s15, v9
	v_bitop3_b32 v4, v4, v7, exec_lo bitop3:0x80
	v_ashrrev_i32_e32 v7, 31, v10
	v_cmp_gt_i32_e64 s13, 0, v42
	v_ashrrev_i32_e32 v10, 31, v44
	s_delay_alu instid0(VALU_DEP_4)
	v_bitop3_b32 v4, v4, v9, v8 bitop3:0x80
	v_not_b32_e32 v8, v43
	v_not_b32_e32 v9, v5
	v_xor_b32_e32 v7, vcc_lo, v7
	v_xor_b32_e32 v10, s13, v10
	v_cmp_gt_i32_e32 vcc_lo, 0, v43
	v_ashrrev_i32_e32 v8, 31, v8
	v_cmp_gt_i32_e64 s13, 0, v5
	v_dual_ashrrev_i32 v5, 31, v9 :: v_dual_add_nc_u32 v42, v37, v6
	v_bitop3_b32 v4, v4, v10, v7 bitop3:0x80
	s_delay_alu instid0(VALU_DEP_4) | instskip(NEXT) | instid1(VALU_DEP_3)
	v_xor_b32_e32 v6, vcc_lo, v8
	v_xor_b32_e32 v5, s13, v5
	ds_load_b32 v43, v42 offset:32
	; wave barrier
	v_bitop3_b32 v4, v4, v5, v6 bitop3:0x80
	s_delay_alu instid0(VALU_DEP_1) | instskip(SKIP_1) | instid1(VALU_DEP_2)
	v_mbcnt_lo_u32_b32 v44, v4, 0
	v_cmp_ne_u32_e64 s13, 0, v4
	v_cmp_eq_u32_e32 vcc_lo, 0, v44
	s_and_b32 s14, s13, vcc_lo
	s_delay_alu instid0(SALU_CYCLE_1)
	s_and_saveexec_b32 s13, s14
	s_cbranch_execz .LBB7_30
; %bb.29:                               ;   in Loop: Header=BB7_22 Depth=1
	s_wait_dscnt 0x0
	v_bcnt_u32_b32 v4, v4, v43
	ds_store_b32 v42, v4 offset:32
.LBB7_30:                               ;   in Loop: Header=BB7_22 Depth=1
	s_or_b32 exec_lo, exec_lo, s13
	; wave barrier
	s_wait_dscnt 0x0
	s_barrier_signal -1
	s_barrier_wait -1
	ds_load_2addr_b64 v[8:11], v17 offset0:4 offset1:5
	ds_load_2addr_b64 v[4:7], v17 offset0:6 offset1:7
	s_wait_dscnt 0x1
	v_add_nc_u32_e32 v45, v9, v8
	s_delay_alu instid0(VALU_DEP_1) | instskip(SKIP_1) | instid1(VALU_DEP_1)
	v_add3_u32 v45, v45, v10, v11
	s_wait_dscnt 0x0
	v_add3_u32 v45, v45, v4, v5
	s_delay_alu instid0(VALU_DEP_1) | instskip(NEXT) | instid1(VALU_DEP_1)
	v_add3_u32 v7, v45, v6, v7
	v_mov_b32_dpp v45, v7 row_shr:1 row_mask:0xf bank_mask:0xf
	s_delay_alu instid0(VALU_DEP_1) | instskip(NEXT) | instid1(VALU_DEP_1)
	v_cndmask_b32_e64 v45, v45, 0, s4
	v_add_nc_u32_e32 v7, v45, v7
	s_delay_alu instid0(VALU_DEP_1) | instskip(NEXT) | instid1(VALU_DEP_1)
	v_mov_b32_dpp v45, v7 row_shr:2 row_mask:0xf bank_mask:0xf
	v_cndmask_b32_e64 v45, 0, v45, s5
	s_delay_alu instid0(VALU_DEP_1) | instskip(NEXT) | instid1(VALU_DEP_1)
	v_add_nc_u32_e32 v7, v7, v45
	v_mov_b32_dpp v45, v7 row_shr:4 row_mask:0xf bank_mask:0xf
	s_delay_alu instid0(VALU_DEP_1) | instskip(NEXT) | instid1(VALU_DEP_1)
	v_cndmask_b32_e64 v45, 0, v45, s6
	v_add_nc_u32_e32 v7, v7, v45
	s_delay_alu instid0(VALU_DEP_1) | instskip(NEXT) | instid1(VALU_DEP_1)
	v_mov_b32_dpp v45, v7 row_shr:8 row_mask:0xf bank_mask:0xf
	v_cndmask_b32_e64 v45, 0, v45, s7
	s_delay_alu instid0(VALU_DEP_1) | instskip(SKIP_3) | instid1(VALU_DEP_1)
	v_add_nc_u32_e32 v7, v7, v45
	ds_swizzle_b32 v45, v7 offset:swizzle(BROADCAST,32,15)
	s_wait_dscnt 0x0
	v_cndmask_b32_e64 v45, v45, 0, s8
	v_add_nc_u32_e32 v7, v7, v45
	s_and_saveexec_b32 s13, s12
; %bb.31:                               ;   in Loop: Header=BB7_22 Depth=1
	ds_store_b32 v34, v7
; %bb.32:                               ;   in Loop: Header=BB7_22 Depth=1
	s_or_b32 exec_lo, exec_lo, s13
	s_wait_dscnt 0x0
	s_barrier_signal -1
	s_barrier_wait -1
	s_and_saveexec_b32 s13, s0
	s_cbranch_execz .LBB7_34
; %bb.33:                               ;   in Loop: Header=BB7_22 Depth=1
	ds_load_b32 v45, v33
	s_wait_dscnt 0x0
	v_mov_b32_dpp v46, v45 row_shr:1 row_mask:0xf bank_mask:0xf
	s_delay_alu instid0(VALU_DEP_1) | instskip(NEXT) | instid1(VALU_DEP_1)
	v_cndmask_b32_e64 v46, v46, 0, s9
	v_add_nc_u32_e32 v45, v46, v45
	s_delay_alu instid0(VALU_DEP_1) | instskip(NEXT) | instid1(VALU_DEP_1)
	v_mov_b32_dpp v46, v45 row_shr:2 row_mask:0xf bank_mask:0xf
	v_cndmask_b32_e64 v46, 0, v46, s10
	s_delay_alu instid0(VALU_DEP_1) | instskip(NEXT) | instid1(VALU_DEP_1)
	v_add_nc_u32_e32 v45, v45, v46
	v_mov_b32_dpp v46, v45 row_shr:4 row_mask:0xf bank_mask:0xf
	s_delay_alu instid0(VALU_DEP_1) | instskip(NEXT) | instid1(VALU_DEP_1)
	v_cndmask_b32_e64 v46, 0, v46, s11
	v_add_nc_u32_e32 v45, v45, v46
	ds_store_b32 v33, v45
.LBB7_34:                               ;   in Loop: Header=BB7_22 Depth=1
	s_or_b32 exec_lo, exec_lo, s13
	v_mov_b32_e32 v45, 0
	s_wait_dscnt 0x0
	s_barrier_signal -1
	s_barrier_wait -1
	s_and_saveexec_b32 s13, s1
; %bb.35:                               ;   in Loop: Header=BB7_22 Depth=1
	ds_load_b32 v45, v36
; %bb.36:                               ;   in Loop: Header=BB7_22 Depth=1
	s_or_b32 exec_lo, exec_lo, s13
	s_wait_dscnt 0x0
	v_add_nc_u32_e32 v7, v45, v7
	s_add_co_i32 s28, s28, 8
	s_mov_b32 s13, -1
	s_cmp_ge_u32 s28, s21
	ds_bpermute_b32 v7, v35, v7
	s_wait_dscnt 0x0
	v_cndmask_b32_e64 v7, v7, v45, s2
	s_delay_alu instid0(VALU_DEP_1) | instskip(NEXT) | instid1(VALU_DEP_1)
	v_cndmask_b32_e64 v46, v7, 0, s3
	v_add_nc_u32_e32 v47, v46, v8
	s_delay_alu instid0(VALU_DEP_1) | instskip(NEXT) | instid1(VALU_DEP_1)
	v_add_nc_u32_e32 v8, v47, v9
	v_add_nc_u32_e32 v9, v8, v10
	s_delay_alu instid0(VALU_DEP_1) | instskip(NEXT) | instid1(VALU_DEP_1)
	v_add_nc_u32_e32 v10, v9, v11
	;; [unrolled: 3-line block ×3, first 2 shown]
	v_add_nc_u32_e32 v5, v4, v6
	ds_store_2addr_b64 v17, v[46:47], v[8:9] offset0:4 offset1:5
	ds_store_2addr_b64 v17, v[10:11], v[4:5] offset0:6 offset1:7
	s_wait_dscnt 0x0
	s_barrier_signal -1
	s_barrier_wait -1
	ds_load_b32 v4, v13 offset:32
	ds_load_b32 v5, v14 offset:32
	;; [unrolled: 1-line block ×4, first 2 shown]
	s_wait_dscnt 0x0
                                        ; implicit-def: $vgpr8_vgpr9
	v_add3_u32 v42, v38, v15, v5
	v_add3_u32 v39, v41, v40, v6
	v_add_nc_u32_e32 v45, v4, v12
	v_add3_u32 v38, v44, v43, v7
                                        ; implicit-def: $vgpr12_vgpr13
                                        ; implicit-def: $vgpr4_vgpr5_vgpr6_vgpr7
	s_delay_alu instid0(VALU_DEP_3) | instskip(NEXT) | instid1(VALU_DEP_2)
	v_dual_lshlrev_b32 v43, 2, v42 :: v_dual_lshlrev_b32 v41, 2, v39
	v_dual_lshlrev_b32 v44, 2, v45 :: v_dual_lshlrev_b32 v40, 2, v38
	s_cbranch_scc1 .LBB7_21
; %bb.37:                               ;   in Loop: Header=BB7_22 Depth=1
	s_delay_alu instid0(VALU_DEP_1) | instskip(NEXT) | instid1(VALU_DEP_3)
	v_lshl_add_u32 v8, v45, 2, v44
	v_lshl_add_u32 v9, v42, 2, v43
	;; [unrolled: 1-line block ×4, first 2 shown]
	s_barrier_signal -1
	s_barrier_wait -1
	ds_store_b32 v44, v0
	ds_store_b32 v43, v1
	;; [unrolled: 1-line block ×4, first 2 shown]
	s_wait_dscnt 0x0
	s_barrier_signal -1
	s_barrier_wait -1
	ds_load_2addr_b32 v[4:5], v31 offset1:32
	ds_load_2addr_b32 v[6:7], v31 offset0:64 offset1:96
	s_wait_dscnt 0x0
	s_barrier_signal -1
	s_barrier_wait -1
	ds_store_b64 v8, v[28:29]
	ds_store_b64 v9, v[26:27]
	;; [unrolled: 1-line block ×4, first 2 shown]
	s_wait_dscnt 0x0
	s_barrier_signal -1
	s_barrier_wait -1
	ds_load_2addr_b64 v[8:11], v32 offset1:32
	ds_load_2addr_b64 v[12:15], v32 offset0:64 offset1:96
	s_add_co_i32 s29, s29, -8
	s_mov_b32 s13, 0
	s_wait_dscnt 0x0
	s_barrier_signal -1
	s_barrier_wait -1
	s_branch .LBB7_21
.LBB7_38:
	s_barrier_signal -1
	s_barrier_wait -1
	ds_store_b32 v44, v0
	ds_store_b32 v43, v1
	;; [unrolled: 1-line block ×4, first 2 shown]
	v_lshl_add_u32 v0, v45, 2, v44
	v_dual_mov_b32 v17, 0 :: v_dual_lshlrev_b32 v10, 3, v30
	v_lshl_add_u32 v1, v42, 2, v43
	v_lshl_add_u32 v2, v39, 2, v41
	v_lshl_add_u32 v3, v38, 2, v40
	s_wait_dscnt 0x0
	s_barrier_signal -1
	s_barrier_wait -1
	ds_load_2addr_stride64_b32 v[12:13], v33 offset1:4
	ds_load_2addr_stride64_b32 v[8:9], v33 offset0:8 offset1:12
	s_wait_dscnt 0x0
	s_barrier_signal -1
	s_barrier_wait -1
	ds_store_b64 v0, v[28:29]
	ds_store_b64 v1, v[26:27]
	;; [unrolled: 1-line block ×4, first 2 shown]
	s_wait_dscnt 0x0
	s_barrier_signal -1
	s_barrier_wait -1
	ds_load_2addr_stride64_b64 v[4:7], v10 offset1:4
	ds_load_2addr_stride64_b64 v[0:3], v10 offset0:8 offset1:12
	s_add_nc_u64 s[0:1], s[18:19], s[26:27]
	s_and_not1_b32 vcc_lo, exec_lo, s30
	v_add_nc_u64_e32 v[14:15], s[0:1], v[16:17]
	s_mov_b32 s0, -1
	s_cbranch_vccnz .LBB7_40
; %bb.39:
	s_lshl_b64 s[0:1], s[24:25], 3
	s_clause 0x3
	global_store_b32 v[14:15], v12, off
	global_store_b32 v[14:15], v13, off offset:1024
	global_store_b32 v[14:15], v8, off offset:2048
	;; [unrolled: 1-line block ×3, first 2 shown]
	s_add_nc_u64 s[2:3], s[22:23], s[0:1]
	s_mov_b32 s0, 0
	s_wait_dscnt 0x1
	s_clause 0x1
	global_store_b64 v30, v[4:5], s[2:3] scale_offset
	global_store_b64 v30, v[6:7], s[2:3] offset:2048 scale_offset
	s_wait_dscnt 0x0
	s_clause 0x1
	global_store_b64 v30, v[0:1], s[2:3] offset:4096 scale_offset
	global_store_b64 v30, v[2:3], s[2:3] offset:6144 scale_offset
.LBB7_40:
	s_and_not1_b32 vcc_lo, exec_lo, s0
	s_cbranch_vccnz .LBB7_54
; %bb.41:
	v_cmp_gt_u32_e32 vcc_lo, s31, v30
	s_wait_xcnt 0x0
	s_and_saveexec_b32 s0, vcc_lo
	s_cbranch_execz .LBB7_43
; %bb.42:
	global_store_b32 v[14:15], v12, off
.LBB7_43:
	s_wait_xcnt 0x0
	s_or_b32 exec_lo, exec_lo, s0
	v_add_nc_u32_e32 v11, 0x100, v30
	s_delay_alu instid0(VALU_DEP_1)
	v_cmp_gt_u32_e64 s0, s31, v11
	s_and_saveexec_b32 s1, s0
	s_cbranch_execz .LBB7_45
; %bb.44:
	global_store_b32 v[14:15], v13, off offset:1024
.LBB7_45:
	s_wait_xcnt 0x0
	s_or_b32 exec_lo, exec_lo, s1
	v_add_nc_u32_e32 v11, 0x200, v30
	s_delay_alu instid0(VALU_DEP_1)
	v_cmp_gt_u32_e64 s1, s31, v11
	s_and_saveexec_b32 s2, s1
	s_cbranch_execz .LBB7_47
; %bb.46:
	global_store_b32 v[14:15], v8, off offset:2048
.LBB7_47:
	s_wait_xcnt 0x0
	s_or_b32 exec_lo, exec_lo, s2
	v_add_nc_u32_e32 v8, 0x300, v30
	s_delay_alu instid0(VALU_DEP_1)
	v_cmp_gt_u32_e64 s2, s31, v8
	s_and_saveexec_b32 s3, s2
	s_cbranch_execz .LBB7_49
; %bb.48:
	global_store_b32 v[14:15], v9, off offset:3072
.LBB7_49:
	s_wait_xcnt 0x0
	s_or_b32 exec_lo, exec_lo, s3
	v_mov_b32_e32 v11, 0
	s_lshl_b64 s[4:5], s[24:25], 3
	s_delay_alu instid0(SALU_CYCLE_1)
	s_add_nc_u64 s[4:5], s[22:23], s[4:5]
	s_delay_alu instid0(VALU_DEP_1) | instid1(SALU_CYCLE_1)
	v_add_nc_u64_e32 v[8:9], s[4:5], v[10:11]
	s_and_saveexec_b32 s3, vcc_lo
	s_cbranch_execnz .LBB7_55
; %bb.50:
	s_or_b32 exec_lo, exec_lo, s3
	s_and_saveexec_b32 s3, s0
	s_cbranch_execnz .LBB7_56
.LBB7_51:
	s_or_b32 exec_lo, exec_lo, s3
	s_and_saveexec_b32 s0, s1
	s_cbranch_execnz .LBB7_57
.LBB7_52:
	s_or_b32 exec_lo, exec_lo, s0
	s_and_saveexec_b32 s0, s2
	s_cbranch_execz .LBB7_54
.LBB7_53:
	s_wait_dscnt 0x0
	global_store_b64 v[8:9], v[2:3], off offset:6144
.LBB7_54:
	s_endpgm
.LBB7_55:
	s_wait_dscnt 0x1
	global_store_b64 v[8:9], v[4:5], off
	s_wait_xcnt 0x0
	s_or_b32 exec_lo, exec_lo, s3
	s_and_saveexec_b32 s3, s0
	s_cbranch_execz .LBB7_51
.LBB7_56:
	s_wait_dscnt 0x1
	global_store_b64 v[8:9], v[6:7], off offset:2048
	s_wait_xcnt 0x0
	s_or_b32 exec_lo, exec_lo, s3
	s_and_saveexec_b32 s0, s1
	s_cbranch_execz .LBB7_52
.LBB7_57:
	s_wait_dscnt 0x0
	global_store_b64 v[8:9], v[0:1], off offset:4096
	s_wait_xcnt 0x0
	s_or_b32 exec_lo, exec_lo, s0
	s_and_saveexec_b32 s0, s2
	s_cbranch_execnz .LBB7_53
	s_branch .LBB7_54
	.section	.rodata,"a",@progbits
	.p2align	6, 0x0
	.amdhsa_kernel _ZN7rocprim17ROCPRIM_400000_NS6detail17trampoline_kernelINS0_13kernel_configILj256ELj4ELj4294967295EEENS1_37radix_sort_block_sort_config_selectorIjN6thrust23THRUST_200600_302600_NS5tupleIffNS7_9null_typeES9_S9_S9_S9_S9_S9_S9_EEEEZNS1_21radix_sort_block_sortIS4_Lb0ENS7_6detail15normal_iteratorINS7_10device_ptrIjEEEESH_NSE_INSF_ISA_EEEESJ_NS0_19identity_decomposerEEE10hipError_tT1_T2_T3_T4_jRjT5_jjP12ihipStream_tbEUlT_E_NS1_11comp_targetILNS1_3genE0ELNS1_11target_archE4294967295ELNS1_3gpuE0ELNS1_3repE0EEENS1_44radix_sort_block_sort_config_static_selectorELNS0_4arch9wavefront6targetE0EEEvSM_
		.amdhsa_group_segment_fixed_size 8224
		.amdhsa_private_segment_fixed_size 0
		.amdhsa_kernarg_size 304
		.amdhsa_user_sgpr_count 2
		.amdhsa_user_sgpr_dispatch_ptr 0
		.amdhsa_user_sgpr_queue_ptr 0
		.amdhsa_user_sgpr_kernarg_segment_ptr 1
		.amdhsa_user_sgpr_dispatch_id 0
		.amdhsa_user_sgpr_kernarg_preload_length 0
		.amdhsa_user_sgpr_kernarg_preload_offset 0
		.amdhsa_user_sgpr_private_segment_size 0
		.amdhsa_wavefront_size32 1
		.amdhsa_uses_dynamic_stack 0
		.amdhsa_enable_private_segment 0
		.amdhsa_system_sgpr_workgroup_id_x 1
		.amdhsa_system_sgpr_workgroup_id_y 0
		.amdhsa_system_sgpr_workgroup_id_z 0
		.amdhsa_system_sgpr_workgroup_info 0
		.amdhsa_system_vgpr_workitem_id 2
		.amdhsa_next_free_vgpr 48
		.amdhsa_next_free_sgpr 34
		.amdhsa_named_barrier_count 0
		.amdhsa_reserve_vcc 1
		.amdhsa_float_round_mode_32 0
		.amdhsa_float_round_mode_16_64 0
		.amdhsa_float_denorm_mode_32 3
		.amdhsa_float_denorm_mode_16_64 3
		.amdhsa_fp16_overflow 0
		.amdhsa_memory_ordered 1
		.amdhsa_forward_progress 1
		.amdhsa_inst_pref_size 33
		.amdhsa_round_robin_scheduling 0
		.amdhsa_exception_fp_ieee_invalid_op 0
		.amdhsa_exception_fp_denorm_src 0
		.amdhsa_exception_fp_ieee_div_zero 0
		.amdhsa_exception_fp_ieee_overflow 0
		.amdhsa_exception_fp_ieee_underflow 0
		.amdhsa_exception_fp_ieee_inexact 0
		.amdhsa_exception_int_div_zero 0
	.end_amdhsa_kernel
	.section	.text._ZN7rocprim17ROCPRIM_400000_NS6detail17trampoline_kernelINS0_13kernel_configILj256ELj4ELj4294967295EEENS1_37radix_sort_block_sort_config_selectorIjN6thrust23THRUST_200600_302600_NS5tupleIffNS7_9null_typeES9_S9_S9_S9_S9_S9_S9_EEEEZNS1_21radix_sort_block_sortIS4_Lb0ENS7_6detail15normal_iteratorINS7_10device_ptrIjEEEESH_NSE_INSF_ISA_EEEESJ_NS0_19identity_decomposerEEE10hipError_tT1_T2_T3_T4_jRjT5_jjP12ihipStream_tbEUlT_E_NS1_11comp_targetILNS1_3genE0ELNS1_11target_archE4294967295ELNS1_3gpuE0ELNS1_3repE0EEENS1_44radix_sort_block_sort_config_static_selectorELNS0_4arch9wavefront6targetE0EEEvSM_,"axG",@progbits,_ZN7rocprim17ROCPRIM_400000_NS6detail17trampoline_kernelINS0_13kernel_configILj256ELj4ELj4294967295EEENS1_37radix_sort_block_sort_config_selectorIjN6thrust23THRUST_200600_302600_NS5tupleIffNS7_9null_typeES9_S9_S9_S9_S9_S9_S9_EEEEZNS1_21radix_sort_block_sortIS4_Lb0ENS7_6detail15normal_iteratorINS7_10device_ptrIjEEEESH_NSE_INSF_ISA_EEEESJ_NS0_19identity_decomposerEEE10hipError_tT1_T2_T3_T4_jRjT5_jjP12ihipStream_tbEUlT_E_NS1_11comp_targetILNS1_3genE0ELNS1_11target_archE4294967295ELNS1_3gpuE0ELNS1_3repE0EEENS1_44radix_sort_block_sort_config_static_selectorELNS0_4arch9wavefront6targetE0EEEvSM_,comdat
.Lfunc_end7:
	.size	_ZN7rocprim17ROCPRIM_400000_NS6detail17trampoline_kernelINS0_13kernel_configILj256ELj4ELj4294967295EEENS1_37radix_sort_block_sort_config_selectorIjN6thrust23THRUST_200600_302600_NS5tupleIffNS7_9null_typeES9_S9_S9_S9_S9_S9_S9_EEEEZNS1_21radix_sort_block_sortIS4_Lb0ENS7_6detail15normal_iteratorINS7_10device_ptrIjEEEESH_NSE_INSF_ISA_EEEESJ_NS0_19identity_decomposerEEE10hipError_tT1_T2_T3_T4_jRjT5_jjP12ihipStream_tbEUlT_E_NS1_11comp_targetILNS1_3genE0ELNS1_11target_archE4294967295ELNS1_3gpuE0ELNS1_3repE0EEENS1_44radix_sort_block_sort_config_static_selectorELNS0_4arch9wavefront6targetE0EEEvSM_, .Lfunc_end7-_ZN7rocprim17ROCPRIM_400000_NS6detail17trampoline_kernelINS0_13kernel_configILj256ELj4ELj4294967295EEENS1_37radix_sort_block_sort_config_selectorIjN6thrust23THRUST_200600_302600_NS5tupleIffNS7_9null_typeES9_S9_S9_S9_S9_S9_S9_EEEEZNS1_21radix_sort_block_sortIS4_Lb0ENS7_6detail15normal_iteratorINS7_10device_ptrIjEEEESH_NSE_INSF_ISA_EEEESJ_NS0_19identity_decomposerEEE10hipError_tT1_T2_T3_T4_jRjT5_jjP12ihipStream_tbEUlT_E_NS1_11comp_targetILNS1_3genE0ELNS1_11target_archE4294967295ELNS1_3gpuE0ELNS1_3repE0EEENS1_44radix_sort_block_sort_config_static_selectorELNS0_4arch9wavefront6targetE0EEEvSM_
                                        ; -- End function
	.set _ZN7rocprim17ROCPRIM_400000_NS6detail17trampoline_kernelINS0_13kernel_configILj256ELj4ELj4294967295EEENS1_37radix_sort_block_sort_config_selectorIjN6thrust23THRUST_200600_302600_NS5tupleIffNS7_9null_typeES9_S9_S9_S9_S9_S9_S9_EEEEZNS1_21radix_sort_block_sortIS4_Lb0ENS7_6detail15normal_iteratorINS7_10device_ptrIjEEEESH_NSE_INSF_ISA_EEEESJ_NS0_19identity_decomposerEEE10hipError_tT1_T2_T3_T4_jRjT5_jjP12ihipStream_tbEUlT_E_NS1_11comp_targetILNS1_3genE0ELNS1_11target_archE4294967295ELNS1_3gpuE0ELNS1_3repE0EEENS1_44radix_sort_block_sort_config_static_selectorELNS0_4arch9wavefront6targetE0EEEvSM_.num_vgpr, 48
	.set _ZN7rocprim17ROCPRIM_400000_NS6detail17trampoline_kernelINS0_13kernel_configILj256ELj4ELj4294967295EEENS1_37radix_sort_block_sort_config_selectorIjN6thrust23THRUST_200600_302600_NS5tupleIffNS7_9null_typeES9_S9_S9_S9_S9_S9_S9_EEEEZNS1_21radix_sort_block_sortIS4_Lb0ENS7_6detail15normal_iteratorINS7_10device_ptrIjEEEESH_NSE_INSF_ISA_EEEESJ_NS0_19identity_decomposerEEE10hipError_tT1_T2_T3_T4_jRjT5_jjP12ihipStream_tbEUlT_E_NS1_11comp_targetILNS1_3genE0ELNS1_11target_archE4294967295ELNS1_3gpuE0ELNS1_3repE0EEENS1_44radix_sort_block_sort_config_static_selectorELNS0_4arch9wavefront6targetE0EEEvSM_.num_agpr, 0
	.set _ZN7rocprim17ROCPRIM_400000_NS6detail17trampoline_kernelINS0_13kernel_configILj256ELj4ELj4294967295EEENS1_37radix_sort_block_sort_config_selectorIjN6thrust23THRUST_200600_302600_NS5tupleIffNS7_9null_typeES9_S9_S9_S9_S9_S9_S9_EEEEZNS1_21radix_sort_block_sortIS4_Lb0ENS7_6detail15normal_iteratorINS7_10device_ptrIjEEEESH_NSE_INSF_ISA_EEEESJ_NS0_19identity_decomposerEEE10hipError_tT1_T2_T3_T4_jRjT5_jjP12ihipStream_tbEUlT_E_NS1_11comp_targetILNS1_3genE0ELNS1_11target_archE4294967295ELNS1_3gpuE0ELNS1_3repE0EEENS1_44radix_sort_block_sort_config_static_selectorELNS0_4arch9wavefront6targetE0EEEvSM_.numbered_sgpr, 34
	.set _ZN7rocprim17ROCPRIM_400000_NS6detail17trampoline_kernelINS0_13kernel_configILj256ELj4ELj4294967295EEENS1_37radix_sort_block_sort_config_selectorIjN6thrust23THRUST_200600_302600_NS5tupleIffNS7_9null_typeES9_S9_S9_S9_S9_S9_S9_EEEEZNS1_21radix_sort_block_sortIS4_Lb0ENS7_6detail15normal_iteratorINS7_10device_ptrIjEEEESH_NSE_INSF_ISA_EEEESJ_NS0_19identity_decomposerEEE10hipError_tT1_T2_T3_T4_jRjT5_jjP12ihipStream_tbEUlT_E_NS1_11comp_targetILNS1_3genE0ELNS1_11target_archE4294967295ELNS1_3gpuE0ELNS1_3repE0EEENS1_44radix_sort_block_sort_config_static_selectorELNS0_4arch9wavefront6targetE0EEEvSM_.num_named_barrier, 0
	.set _ZN7rocprim17ROCPRIM_400000_NS6detail17trampoline_kernelINS0_13kernel_configILj256ELj4ELj4294967295EEENS1_37radix_sort_block_sort_config_selectorIjN6thrust23THRUST_200600_302600_NS5tupleIffNS7_9null_typeES9_S9_S9_S9_S9_S9_S9_EEEEZNS1_21radix_sort_block_sortIS4_Lb0ENS7_6detail15normal_iteratorINS7_10device_ptrIjEEEESH_NSE_INSF_ISA_EEEESJ_NS0_19identity_decomposerEEE10hipError_tT1_T2_T3_T4_jRjT5_jjP12ihipStream_tbEUlT_E_NS1_11comp_targetILNS1_3genE0ELNS1_11target_archE4294967295ELNS1_3gpuE0ELNS1_3repE0EEENS1_44radix_sort_block_sort_config_static_selectorELNS0_4arch9wavefront6targetE0EEEvSM_.private_seg_size, 0
	.set _ZN7rocprim17ROCPRIM_400000_NS6detail17trampoline_kernelINS0_13kernel_configILj256ELj4ELj4294967295EEENS1_37radix_sort_block_sort_config_selectorIjN6thrust23THRUST_200600_302600_NS5tupleIffNS7_9null_typeES9_S9_S9_S9_S9_S9_S9_EEEEZNS1_21radix_sort_block_sortIS4_Lb0ENS7_6detail15normal_iteratorINS7_10device_ptrIjEEEESH_NSE_INSF_ISA_EEEESJ_NS0_19identity_decomposerEEE10hipError_tT1_T2_T3_T4_jRjT5_jjP12ihipStream_tbEUlT_E_NS1_11comp_targetILNS1_3genE0ELNS1_11target_archE4294967295ELNS1_3gpuE0ELNS1_3repE0EEENS1_44radix_sort_block_sort_config_static_selectorELNS0_4arch9wavefront6targetE0EEEvSM_.uses_vcc, 1
	.set _ZN7rocprim17ROCPRIM_400000_NS6detail17trampoline_kernelINS0_13kernel_configILj256ELj4ELj4294967295EEENS1_37radix_sort_block_sort_config_selectorIjN6thrust23THRUST_200600_302600_NS5tupleIffNS7_9null_typeES9_S9_S9_S9_S9_S9_S9_EEEEZNS1_21radix_sort_block_sortIS4_Lb0ENS7_6detail15normal_iteratorINS7_10device_ptrIjEEEESH_NSE_INSF_ISA_EEEESJ_NS0_19identity_decomposerEEE10hipError_tT1_T2_T3_T4_jRjT5_jjP12ihipStream_tbEUlT_E_NS1_11comp_targetILNS1_3genE0ELNS1_11target_archE4294967295ELNS1_3gpuE0ELNS1_3repE0EEENS1_44radix_sort_block_sort_config_static_selectorELNS0_4arch9wavefront6targetE0EEEvSM_.uses_flat_scratch, 0
	.set _ZN7rocprim17ROCPRIM_400000_NS6detail17trampoline_kernelINS0_13kernel_configILj256ELj4ELj4294967295EEENS1_37radix_sort_block_sort_config_selectorIjN6thrust23THRUST_200600_302600_NS5tupleIffNS7_9null_typeES9_S9_S9_S9_S9_S9_S9_EEEEZNS1_21radix_sort_block_sortIS4_Lb0ENS7_6detail15normal_iteratorINS7_10device_ptrIjEEEESH_NSE_INSF_ISA_EEEESJ_NS0_19identity_decomposerEEE10hipError_tT1_T2_T3_T4_jRjT5_jjP12ihipStream_tbEUlT_E_NS1_11comp_targetILNS1_3genE0ELNS1_11target_archE4294967295ELNS1_3gpuE0ELNS1_3repE0EEENS1_44radix_sort_block_sort_config_static_selectorELNS0_4arch9wavefront6targetE0EEEvSM_.has_dyn_sized_stack, 0
	.set _ZN7rocprim17ROCPRIM_400000_NS6detail17trampoline_kernelINS0_13kernel_configILj256ELj4ELj4294967295EEENS1_37radix_sort_block_sort_config_selectorIjN6thrust23THRUST_200600_302600_NS5tupleIffNS7_9null_typeES9_S9_S9_S9_S9_S9_S9_EEEEZNS1_21radix_sort_block_sortIS4_Lb0ENS7_6detail15normal_iteratorINS7_10device_ptrIjEEEESH_NSE_INSF_ISA_EEEESJ_NS0_19identity_decomposerEEE10hipError_tT1_T2_T3_T4_jRjT5_jjP12ihipStream_tbEUlT_E_NS1_11comp_targetILNS1_3genE0ELNS1_11target_archE4294967295ELNS1_3gpuE0ELNS1_3repE0EEENS1_44radix_sort_block_sort_config_static_selectorELNS0_4arch9wavefront6targetE0EEEvSM_.has_recursion, 0
	.set _ZN7rocprim17ROCPRIM_400000_NS6detail17trampoline_kernelINS0_13kernel_configILj256ELj4ELj4294967295EEENS1_37radix_sort_block_sort_config_selectorIjN6thrust23THRUST_200600_302600_NS5tupleIffNS7_9null_typeES9_S9_S9_S9_S9_S9_S9_EEEEZNS1_21radix_sort_block_sortIS4_Lb0ENS7_6detail15normal_iteratorINS7_10device_ptrIjEEEESH_NSE_INSF_ISA_EEEESJ_NS0_19identity_decomposerEEE10hipError_tT1_T2_T3_T4_jRjT5_jjP12ihipStream_tbEUlT_E_NS1_11comp_targetILNS1_3genE0ELNS1_11target_archE4294967295ELNS1_3gpuE0ELNS1_3repE0EEENS1_44radix_sort_block_sort_config_static_selectorELNS0_4arch9wavefront6targetE0EEEvSM_.has_indirect_call, 0
	.section	.AMDGPU.csdata,"",@progbits
; Kernel info:
; codeLenInByte = 4108
; TotalNumSgprs: 36
; NumVgprs: 48
; ScratchSize: 0
; MemoryBound: 0
; FloatMode: 240
; IeeeMode: 1
; LDSByteSize: 8224 bytes/workgroup (compile time only)
; SGPRBlocks: 0
; VGPRBlocks: 2
; NumSGPRsForWavesPerEU: 36
; NumVGPRsForWavesPerEU: 48
; NamedBarCnt: 0
; Occupancy: 16
; WaveLimiterHint : 1
; COMPUTE_PGM_RSRC2:SCRATCH_EN: 0
; COMPUTE_PGM_RSRC2:USER_SGPR: 2
; COMPUTE_PGM_RSRC2:TRAP_HANDLER: 0
; COMPUTE_PGM_RSRC2:TGID_X_EN: 1
; COMPUTE_PGM_RSRC2:TGID_Y_EN: 0
; COMPUTE_PGM_RSRC2:TGID_Z_EN: 0
; COMPUTE_PGM_RSRC2:TIDIG_COMP_CNT: 2
	.section	.text._ZN7rocprim17ROCPRIM_400000_NS6detail17trampoline_kernelINS0_13kernel_configILj256ELj4ELj4294967295EEENS1_37radix_sort_block_sort_config_selectorIjN6thrust23THRUST_200600_302600_NS5tupleIffNS7_9null_typeES9_S9_S9_S9_S9_S9_S9_EEEEZNS1_21radix_sort_block_sortIS4_Lb0ENS7_6detail15normal_iteratorINS7_10device_ptrIjEEEESH_NSE_INSF_ISA_EEEESJ_NS0_19identity_decomposerEEE10hipError_tT1_T2_T3_T4_jRjT5_jjP12ihipStream_tbEUlT_E_NS1_11comp_targetILNS1_3genE5ELNS1_11target_archE942ELNS1_3gpuE9ELNS1_3repE0EEENS1_44radix_sort_block_sort_config_static_selectorELNS0_4arch9wavefront6targetE0EEEvSM_,"axG",@progbits,_ZN7rocprim17ROCPRIM_400000_NS6detail17trampoline_kernelINS0_13kernel_configILj256ELj4ELj4294967295EEENS1_37radix_sort_block_sort_config_selectorIjN6thrust23THRUST_200600_302600_NS5tupleIffNS7_9null_typeES9_S9_S9_S9_S9_S9_S9_EEEEZNS1_21radix_sort_block_sortIS4_Lb0ENS7_6detail15normal_iteratorINS7_10device_ptrIjEEEESH_NSE_INSF_ISA_EEEESJ_NS0_19identity_decomposerEEE10hipError_tT1_T2_T3_T4_jRjT5_jjP12ihipStream_tbEUlT_E_NS1_11comp_targetILNS1_3genE5ELNS1_11target_archE942ELNS1_3gpuE9ELNS1_3repE0EEENS1_44radix_sort_block_sort_config_static_selectorELNS0_4arch9wavefront6targetE0EEEvSM_,comdat
	.protected	_ZN7rocprim17ROCPRIM_400000_NS6detail17trampoline_kernelINS0_13kernel_configILj256ELj4ELj4294967295EEENS1_37radix_sort_block_sort_config_selectorIjN6thrust23THRUST_200600_302600_NS5tupleIffNS7_9null_typeES9_S9_S9_S9_S9_S9_S9_EEEEZNS1_21radix_sort_block_sortIS4_Lb0ENS7_6detail15normal_iteratorINS7_10device_ptrIjEEEESH_NSE_INSF_ISA_EEEESJ_NS0_19identity_decomposerEEE10hipError_tT1_T2_T3_T4_jRjT5_jjP12ihipStream_tbEUlT_E_NS1_11comp_targetILNS1_3genE5ELNS1_11target_archE942ELNS1_3gpuE9ELNS1_3repE0EEENS1_44radix_sort_block_sort_config_static_selectorELNS0_4arch9wavefront6targetE0EEEvSM_ ; -- Begin function _ZN7rocprim17ROCPRIM_400000_NS6detail17trampoline_kernelINS0_13kernel_configILj256ELj4ELj4294967295EEENS1_37radix_sort_block_sort_config_selectorIjN6thrust23THRUST_200600_302600_NS5tupleIffNS7_9null_typeES9_S9_S9_S9_S9_S9_S9_EEEEZNS1_21radix_sort_block_sortIS4_Lb0ENS7_6detail15normal_iteratorINS7_10device_ptrIjEEEESH_NSE_INSF_ISA_EEEESJ_NS0_19identity_decomposerEEE10hipError_tT1_T2_T3_T4_jRjT5_jjP12ihipStream_tbEUlT_E_NS1_11comp_targetILNS1_3genE5ELNS1_11target_archE942ELNS1_3gpuE9ELNS1_3repE0EEENS1_44radix_sort_block_sort_config_static_selectorELNS0_4arch9wavefront6targetE0EEEvSM_
	.globl	_ZN7rocprim17ROCPRIM_400000_NS6detail17trampoline_kernelINS0_13kernel_configILj256ELj4ELj4294967295EEENS1_37radix_sort_block_sort_config_selectorIjN6thrust23THRUST_200600_302600_NS5tupleIffNS7_9null_typeES9_S9_S9_S9_S9_S9_S9_EEEEZNS1_21radix_sort_block_sortIS4_Lb0ENS7_6detail15normal_iteratorINS7_10device_ptrIjEEEESH_NSE_INSF_ISA_EEEESJ_NS0_19identity_decomposerEEE10hipError_tT1_T2_T3_T4_jRjT5_jjP12ihipStream_tbEUlT_E_NS1_11comp_targetILNS1_3genE5ELNS1_11target_archE942ELNS1_3gpuE9ELNS1_3repE0EEENS1_44radix_sort_block_sort_config_static_selectorELNS0_4arch9wavefront6targetE0EEEvSM_
	.p2align	8
	.type	_ZN7rocprim17ROCPRIM_400000_NS6detail17trampoline_kernelINS0_13kernel_configILj256ELj4ELj4294967295EEENS1_37radix_sort_block_sort_config_selectorIjN6thrust23THRUST_200600_302600_NS5tupleIffNS7_9null_typeES9_S9_S9_S9_S9_S9_S9_EEEEZNS1_21radix_sort_block_sortIS4_Lb0ENS7_6detail15normal_iteratorINS7_10device_ptrIjEEEESH_NSE_INSF_ISA_EEEESJ_NS0_19identity_decomposerEEE10hipError_tT1_T2_T3_T4_jRjT5_jjP12ihipStream_tbEUlT_E_NS1_11comp_targetILNS1_3genE5ELNS1_11target_archE942ELNS1_3gpuE9ELNS1_3repE0EEENS1_44radix_sort_block_sort_config_static_selectorELNS0_4arch9wavefront6targetE0EEEvSM_,@function
_ZN7rocprim17ROCPRIM_400000_NS6detail17trampoline_kernelINS0_13kernel_configILj256ELj4ELj4294967295EEENS1_37radix_sort_block_sort_config_selectorIjN6thrust23THRUST_200600_302600_NS5tupleIffNS7_9null_typeES9_S9_S9_S9_S9_S9_S9_EEEEZNS1_21radix_sort_block_sortIS4_Lb0ENS7_6detail15normal_iteratorINS7_10device_ptrIjEEEESH_NSE_INSF_ISA_EEEESJ_NS0_19identity_decomposerEEE10hipError_tT1_T2_T3_T4_jRjT5_jjP12ihipStream_tbEUlT_E_NS1_11comp_targetILNS1_3genE5ELNS1_11target_archE942ELNS1_3gpuE9ELNS1_3repE0EEENS1_44radix_sort_block_sort_config_static_selectorELNS0_4arch9wavefront6targetE0EEEvSM_: ; @_ZN7rocprim17ROCPRIM_400000_NS6detail17trampoline_kernelINS0_13kernel_configILj256ELj4ELj4294967295EEENS1_37radix_sort_block_sort_config_selectorIjN6thrust23THRUST_200600_302600_NS5tupleIffNS7_9null_typeES9_S9_S9_S9_S9_S9_S9_EEEEZNS1_21radix_sort_block_sortIS4_Lb0ENS7_6detail15normal_iteratorINS7_10device_ptrIjEEEESH_NSE_INSF_ISA_EEEESJ_NS0_19identity_decomposerEEE10hipError_tT1_T2_T3_T4_jRjT5_jjP12ihipStream_tbEUlT_E_NS1_11comp_targetILNS1_3genE5ELNS1_11target_archE942ELNS1_3gpuE9ELNS1_3repE0EEENS1_44radix_sort_block_sort_config_static_selectorELNS0_4arch9wavefront6targetE0EEEvSM_
; %bb.0:
	.section	.rodata,"a",@progbits
	.p2align	6, 0x0
	.amdhsa_kernel _ZN7rocprim17ROCPRIM_400000_NS6detail17trampoline_kernelINS0_13kernel_configILj256ELj4ELj4294967295EEENS1_37radix_sort_block_sort_config_selectorIjN6thrust23THRUST_200600_302600_NS5tupleIffNS7_9null_typeES9_S9_S9_S9_S9_S9_S9_EEEEZNS1_21radix_sort_block_sortIS4_Lb0ENS7_6detail15normal_iteratorINS7_10device_ptrIjEEEESH_NSE_INSF_ISA_EEEESJ_NS0_19identity_decomposerEEE10hipError_tT1_T2_T3_T4_jRjT5_jjP12ihipStream_tbEUlT_E_NS1_11comp_targetILNS1_3genE5ELNS1_11target_archE942ELNS1_3gpuE9ELNS1_3repE0EEENS1_44radix_sort_block_sort_config_static_selectorELNS0_4arch9wavefront6targetE0EEEvSM_
		.amdhsa_group_segment_fixed_size 0
		.amdhsa_private_segment_fixed_size 0
		.amdhsa_kernarg_size 48
		.amdhsa_user_sgpr_count 2
		.amdhsa_user_sgpr_dispatch_ptr 0
		.amdhsa_user_sgpr_queue_ptr 0
		.amdhsa_user_sgpr_kernarg_segment_ptr 1
		.amdhsa_user_sgpr_dispatch_id 0
		.amdhsa_user_sgpr_kernarg_preload_length 0
		.amdhsa_user_sgpr_kernarg_preload_offset 0
		.amdhsa_user_sgpr_private_segment_size 0
		.amdhsa_wavefront_size32 1
		.amdhsa_uses_dynamic_stack 0
		.amdhsa_enable_private_segment 0
		.amdhsa_system_sgpr_workgroup_id_x 1
		.amdhsa_system_sgpr_workgroup_id_y 0
		.amdhsa_system_sgpr_workgroup_id_z 0
		.amdhsa_system_sgpr_workgroup_info 0
		.amdhsa_system_vgpr_workitem_id 0
		.amdhsa_next_free_vgpr 1
		.amdhsa_next_free_sgpr 1
		.amdhsa_named_barrier_count 0
		.amdhsa_reserve_vcc 0
		.amdhsa_float_round_mode_32 0
		.amdhsa_float_round_mode_16_64 0
		.amdhsa_float_denorm_mode_32 3
		.amdhsa_float_denorm_mode_16_64 3
		.amdhsa_fp16_overflow 0
		.amdhsa_memory_ordered 1
		.amdhsa_forward_progress 1
		.amdhsa_inst_pref_size 0
		.amdhsa_round_robin_scheduling 0
		.amdhsa_exception_fp_ieee_invalid_op 0
		.amdhsa_exception_fp_denorm_src 0
		.amdhsa_exception_fp_ieee_div_zero 0
		.amdhsa_exception_fp_ieee_overflow 0
		.amdhsa_exception_fp_ieee_underflow 0
		.amdhsa_exception_fp_ieee_inexact 0
		.amdhsa_exception_int_div_zero 0
	.end_amdhsa_kernel
	.section	.text._ZN7rocprim17ROCPRIM_400000_NS6detail17trampoline_kernelINS0_13kernel_configILj256ELj4ELj4294967295EEENS1_37radix_sort_block_sort_config_selectorIjN6thrust23THRUST_200600_302600_NS5tupleIffNS7_9null_typeES9_S9_S9_S9_S9_S9_S9_EEEEZNS1_21radix_sort_block_sortIS4_Lb0ENS7_6detail15normal_iteratorINS7_10device_ptrIjEEEESH_NSE_INSF_ISA_EEEESJ_NS0_19identity_decomposerEEE10hipError_tT1_T2_T3_T4_jRjT5_jjP12ihipStream_tbEUlT_E_NS1_11comp_targetILNS1_3genE5ELNS1_11target_archE942ELNS1_3gpuE9ELNS1_3repE0EEENS1_44radix_sort_block_sort_config_static_selectorELNS0_4arch9wavefront6targetE0EEEvSM_,"axG",@progbits,_ZN7rocprim17ROCPRIM_400000_NS6detail17trampoline_kernelINS0_13kernel_configILj256ELj4ELj4294967295EEENS1_37radix_sort_block_sort_config_selectorIjN6thrust23THRUST_200600_302600_NS5tupleIffNS7_9null_typeES9_S9_S9_S9_S9_S9_S9_EEEEZNS1_21radix_sort_block_sortIS4_Lb0ENS7_6detail15normal_iteratorINS7_10device_ptrIjEEEESH_NSE_INSF_ISA_EEEESJ_NS0_19identity_decomposerEEE10hipError_tT1_T2_T3_T4_jRjT5_jjP12ihipStream_tbEUlT_E_NS1_11comp_targetILNS1_3genE5ELNS1_11target_archE942ELNS1_3gpuE9ELNS1_3repE0EEENS1_44radix_sort_block_sort_config_static_selectorELNS0_4arch9wavefront6targetE0EEEvSM_,comdat
.Lfunc_end8:
	.size	_ZN7rocprim17ROCPRIM_400000_NS6detail17trampoline_kernelINS0_13kernel_configILj256ELj4ELj4294967295EEENS1_37radix_sort_block_sort_config_selectorIjN6thrust23THRUST_200600_302600_NS5tupleIffNS7_9null_typeES9_S9_S9_S9_S9_S9_S9_EEEEZNS1_21radix_sort_block_sortIS4_Lb0ENS7_6detail15normal_iteratorINS7_10device_ptrIjEEEESH_NSE_INSF_ISA_EEEESJ_NS0_19identity_decomposerEEE10hipError_tT1_T2_T3_T4_jRjT5_jjP12ihipStream_tbEUlT_E_NS1_11comp_targetILNS1_3genE5ELNS1_11target_archE942ELNS1_3gpuE9ELNS1_3repE0EEENS1_44radix_sort_block_sort_config_static_selectorELNS0_4arch9wavefront6targetE0EEEvSM_, .Lfunc_end8-_ZN7rocprim17ROCPRIM_400000_NS6detail17trampoline_kernelINS0_13kernel_configILj256ELj4ELj4294967295EEENS1_37radix_sort_block_sort_config_selectorIjN6thrust23THRUST_200600_302600_NS5tupleIffNS7_9null_typeES9_S9_S9_S9_S9_S9_S9_EEEEZNS1_21radix_sort_block_sortIS4_Lb0ENS7_6detail15normal_iteratorINS7_10device_ptrIjEEEESH_NSE_INSF_ISA_EEEESJ_NS0_19identity_decomposerEEE10hipError_tT1_T2_T3_T4_jRjT5_jjP12ihipStream_tbEUlT_E_NS1_11comp_targetILNS1_3genE5ELNS1_11target_archE942ELNS1_3gpuE9ELNS1_3repE0EEENS1_44radix_sort_block_sort_config_static_selectorELNS0_4arch9wavefront6targetE0EEEvSM_
                                        ; -- End function
	.set _ZN7rocprim17ROCPRIM_400000_NS6detail17trampoline_kernelINS0_13kernel_configILj256ELj4ELj4294967295EEENS1_37radix_sort_block_sort_config_selectorIjN6thrust23THRUST_200600_302600_NS5tupleIffNS7_9null_typeES9_S9_S9_S9_S9_S9_S9_EEEEZNS1_21radix_sort_block_sortIS4_Lb0ENS7_6detail15normal_iteratorINS7_10device_ptrIjEEEESH_NSE_INSF_ISA_EEEESJ_NS0_19identity_decomposerEEE10hipError_tT1_T2_T3_T4_jRjT5_jjP12ihipStream_tbEUlT_E_NS1_11comp_targetILNS1_3genE5ELNS1_11target_archE942ELNS1_3gpuE9ELNS1_3repE0EEENS1_44radix_sort_block_sort_config_static_selectorELNS0_4arch9wavefront6targetE0EEEvSM_.num_vgpr, 0
	.set _ZN7rocprim17ROCPRIM_400000_NS6detail17trampoline_kernelINS0_13kernel_configILj256ELj4ELj4294967295EEENS1_37radix_sort_block_sort_config_selectorIjN6thrust23THRUST_200600_302600_NS5tupleIffNS7_9null_typeES9_S9_S9_S9_S9_S9_S9_EEEEZNS1_21radix_sort_block_sortIS4_Lb0ENS7_6detail15normal_iteratorINS7_10device_ptrIjEEEESH_NSE_INSF_ISA_EEEESJ_NS0_19identity_decomposerEEE10hipError_tT1_T2_T3_T4_jRjT5_jjP12ihipStream_tbEUlT_E_NS1_11comp_targetILNS1_3genE5ELNS1_11target_archE942ELNS1_3gpuE9ELNS1_3repE0EEENS1_44radix_sort_block_sort_config_static_selectorELNS0_4arch9wavefront6targetE0EEEvSM_.num_agpr, 0
	.set _ZN7rocprim17ROCPRIM_400000_NS6detail17trampoline_kernelINS0_13kernel_configILj256ELj4ELj4294967295EEENS1_37radix_sort_block_sort_config_selectorIjN6thrust23THRUST_200600_302600_NS5tupleIffNS7_9null_typeES9_S9_S9_S9_S9_S9_S9_EEEEZNS1_21radix_sort_block_sortIS4_Lb0ENS7_6detail15normal_iteratorINS7_10device_ptrIjEEEESH_NSE_INSF_ISA_EEEESJ_NS0_19identity_decomposerEEE10hipError_tT1_T2_T3_T4_jRjT5_jjP12ihipStream_tbEUlT_E_NS1_11comp_targetILNS1_3genE5ELNS1_11target_archE942ELNS1_3gpuE9ELNS1_3repE0EEENS1_44radix_sort_block_sort_config_static_selectorELNS0_4arch9wavefront6targetE0EEEvSM_.numbered_sgpr, 0
	.set _ZN7rocprim17ROCPRIM_400000_NS6detail17trampoline_kernelINS0_13kernel_configILj256ELj4ELj4294967295EEENS1_37radix_sort_block_sort_config_selectorIjN6thrust23THRUST_200600_302600_NS5tupleIffNS7_9null_typeES9_S9_S9_S9_S9_S9_S9_EEEEZNS1_21radix_sort_block_sortIS4_Lb0ENS7_6detail15normal_iteratorINS7_10device_ptrIjEEEESH_NSE_INSF_ISA_EEEESJ_NS0_19identity_decomposerEEE10hipError_tT1_T2_T3_T4_jRjT5_jjP12ihipStream_tbEUlT_E_NS1_11comp_targetILNS1_3genE5ELNS1_11target_archE942ELNS1_3gpuE9ELNS1_3repE0EEENS1_44radix_sort_block_sort_config_static_selectorELNS0_4arch9wavefront6targetE0EEEvSM_.num_named_barrier, 0
	.set _ZN7rocprim17ROCPRIM_400000_NS6detail17trampoline_kernelINS0_13kernel_configILj256ELj4ELj4294967295EEENS1_37radix_sort_block_sort_config_selectorIjN6thrust23THRUST_200600_302600_NS5tupleIffNS7_9null_typeES9_S9_S9_S9_S9_S9_S9_EEEEZNS1_21radix_sort_block_sortIS4_Lb0ENS7_6detail15normal_iteratorINS7_10device_ptrIjEEEESH_NSE_INSF_ISA_EEEESJ_NS0_19identity_decomposerEEE10hipError_tT1_T2_T3_T4_jRjT5_jjP12ihipStream_tbEUlT_E_NS1_11comp_targetILNS1_3genE5ELNS1_11target_archE942ELNS1_3gpuE9ELNS1_3repE0EEENS1_44radix_sort_block_sort_config_static_selectorELNS0_4arch9wavefront6targetE0EEEvSM_.private_seg_size, 0
	.set _ZN7rocprim17ROCPRIM_400000_NS6detail17trampoline_kernelINS0_13kernel_configILj256ELj4ELj4294967295EEENS1_37radix_sort_block_sort_config_selectorIjN6thrust23THRUST_200600_302600_NS5tupleIffNS7_9null_typeES9_S9_S9_S9_S9_S9_S9_EEEEZNS1_21radix_sort_block_sortIS4_Lb0ENS7_6detail15normal_iteratorINS7_10device_ptrIjEEEESH_NSE_INSF_ISA_EEEESJ_NS0_19identity_decomposerEEE10hipError_tT1_T2_T3_T4_jRjT5_jjP12ihipStream_tbEUlT_E_NS1_11comp_targetILNS1_3genE5ELNS1_11target_archE942ELNS1_3gpuE9ELNS1_3repE0EEENS1_44radix_sort_block_sort_config_static_selectorELNS0_4arch9wavefront6targetE0EEEvSM_.uses_vcc, 0
	.set _ZN7rocprim17ROCPRIM_400000_NS6detail17trampoline_kernelINS0_13kernel_configILj256ELj4ELj4294967295EEENS1_37radix_sort_block_sort_config_selectorIjN6thrust23THRUST_200600_302600_NS5tupleIffNS7_9null_typeES9_S9_S9_S9_S9_S9_S9_EEEEZNS1_21radix_sort_block_sortIS4_Lb0ENS7_6detail15normal_iteratorINS7_10device_ptrIjEEEESH_NSE_INSF_ISA_EEEESJ_NS0_19identity_decomposerEEE10hipError_tT1_T2_T3_T4_jRjT5_jjP12ihipStream_tbEUlT_E_NS1_11comp_targetILNS1_3genE5ELNS1_11target_archE942ELNS1_3gpuE9ELNS1_3repE0EEENS1_44radix_sort_block_sort_config_static_selectorELNS0_4arch9wavefront6targetE0EEEvSM_.uses_flat_scratch, 0
	.set _ZN7rocprim17ROCPRIM_400000_NS6detail17trampoline_kernelINS0_13kernel_configILj256ELj4ELj4294967295EEENS1_37radix_sort_block_sort_config_selectorIjN6thrust23THRUST_200600_302600_NS5tupleIffNS7_9null_typeES9_S9_S9_S9_S9_S9_S9_EEEEZNS1_21radix_sort_block_sortIS4_Lb0ENS7_6detail15normal_iteratorINS7_10device_ptrIjEEEESH_NSE_INSF_ISA_EEEESJ_NS0_19identity_decomposerEEE10hipError_tT1_T2_T3_T4_jRjT5_jjP12ihipStream_tbEUlT_E_NS1_11comp_targetILNS1_3genE5ELNS1_11target_archE942ELNS1_3gpuE9ELNS1_3repE0EEENS1_44radix_sort_block_sort_config_static_selectorELNS0_4arch9wavefront6targetE0EEEvSM_.has_dyn_sized_stack, 0
	.set _ZN7rocprim17ROCPRIM_400000_NS6detail17trampoline_kernelINS0_13kernel_configILj256ELj4ELj4294967295EEENS1_37radix_sort_block_sort_config_selectorIjN6thrust23THRUST_200600_302600_NS5tupleIffNS7_9null_typeES9_S9_S9_S9_S9_S9_S9_EEEEZNS1_21radix_sort_block_sortIS4_Lb0ENS7_6detail15normal_iteratorINS7_10device_ptrIjEEEESH_NSE_INSF_ISA_EEEESJ_NS0_19identity_decomposerEEE10hipError_tT1_T2_T3_T4_jRjT5_jjP12ihipStream_tbEUlT_E_NS1_11comp_targetILNS1_3genE5ELNS1_11target_archE942ELNS1_3gpuE9ELNS1_3repE0EEENS1_44radix_sort_block_sort_config_static_selectorELNS0_4arch9wavefront6targetE0EEEvSM_.has_recursion, 0
	.set _ZN7rocprim17ROCPRIM_400000_NS6detail17trampoline_kernelINS0_13kernel_configILj256ELj4ELj4294967295EEENS1_37radix_sort_block_sort_config_selectorIjN6thrust23THRUST_200600_302600_NS5tupleIffNS7_9null_typeES9_S9_S9_S9_S9_S9_S9_EEEEZNS1_21radix_sort_block_sortIS4_Lb0ENS7_6detail15normal_iteratorINS7_10device_ptrIjEEEESH_NSE_INSF_ISA_EEEESJ_NS0_19identity_decomposerEEE10hipError_tT1_T2_T3_T4_jRjT5_jjP12ihipStream_tbEUlT_E_NS1_11comp_targetILNS1_3genE5ELNS1_11target_archE942ELNS1_3gpuE9ELNS1_3repE0EEENS1_44radix_sort_block_sort_config_static_selectorELNS0_4arch9wavefront6targetE0EEEvSM_.has_indirect_call, 0
	.section	.AMDGPU.csdata,"",@progbits
; Kernel info:
; codeLenInByte = 0
; TotalNumSgprs: 0
; NumVgprs: 0
; ScratchSize: 0
; MemoryBound: 0
; FloatMode: 240
; IeeeMode: 1
; LDSByteSize: 0 bytes/workgroup (compile time only)
; SGPRBlocks: 0
; VGPRBlocks: 0
; NumSGPRsForWavesPerEU: 1
; NumVGPRsForWavesPerEU: 1
; NamedBarCnt: 0
; Occupancy: 16
; WaveLimiterHint : 0
; COMPUTE_PGM_RSRC2:SCRATCH_EN: 0
; COMPUTE_PGM_RSRC2:USER_SGPR: 2
; COMPUTE_PGM_RSRC2:TRAP_HANDLER: 0
; COMPUTE_PGM_RSRC2:TGID_X_EN: 1
; COMPUTE_PGM_RSRC2:TGID_Y_EN: 0
; COMPUTE_PGM_RSRC2:TGID_Z_EN: 0
; COMPUTE_PGM_RSRC2:TIDIG_COMP_CNT: 0
	.section	.text._ZN7rocprim17ROCPRIM_400000_NS6detail17trampoline_kernelINS0_13kernel_configILj256ELj4ELj4294967295EEENS1_37radix_sort_block_sort_config_selectorIjN6thrust23THRUST_200600_302600_NS5tupleIffNS7_9null_typeES9_S9_S9_S9_S9_S9_S9_EEEEZNS1_21radix_sort_block_sortIS4_Lb0ENS7_6detail15normal_iteratorINS7_10device_ptrIjEEEESH_NSE_INSF_ISA_EEEESJ_NS0_19identity_decomposerEEE10hipError_tT1_T2_T3_T4_jRjT5_jjP12ihipStream_tbEUlT_E_NS1_11comp_targetILNS1_3genE4ELNS1_11target_archE910ELNS1_3gpuE8ELNS1_3repE0EEENS1_44radix_sort_block_sort_config_static_selectorELNS0_4arch9wavefront6targetE0EEEvSM_,"axG",@progbits,_ZN7rocprim17ROCPRIM_400000_NS6detail17trampoline_kernelINS0_13kernel_configILj256ELj4ELj4294967295EEENS1_37radix_sort_block_sort_config_selectorIjN6thrust23THRUST_200600_302600_NS5tupleIffNS7_9null_typeES9_S9_S9_S9_S9_S9_S9_EEEEZNS1_21radix_sort_block_sortIS4_Lb0ENS7_6detail15normal_iteratorINS7_10device_ptrIjEEEESH_NSE_INSF_ISA_EEEESJ_NS0_19identity_decomposerEEE10hipError_tT1_T2_T3_T4_jRjT5_jjP12ihipStream_tbEUlT_E_NS1_11comp_targetILNS1_3genE4ELNS1_11target_archE910ELNS1_3gpuE8ELNS1_3repE0EEENS1_44radix_sort_block_sort_config_static_selectorELNS0_4arch9wavefront6targetE0EEEvSM_,comdat
	.protected	_ZN7rocprim17ROCPRIM_400000_NS6detail17trampoline_kernelINS0_13kernel_configILj256ELj4ELj4294967295EEENS1_37radix_sort_block_sort_config_selectorIjN6thrust23THRUST_200600_302600_NS5tupleIffNS7_9null_typeES9_S9_S9_S9_S9_S9_S9_EEEEZNS1_21radix_sort_block_sortIS4_Lb0ENS7_6detail15normal_iteratorINS7_10device_ptrIjEEEESH_NSE_INSF_ISA_EEEESJ_NS0_19identity_decomposerEEE10hipError_tT1_T2_T3_T4_jRjT5_jjP12ihipStream_tbEUlT_E_NS1_11comp_targetILNS1_3genE4ELNS1_11target_archE910ELNS1_3gpuE8ELNS1_3repE0EEENS1_44radix_sort_block_sort_config_static_selectorELNS0_4arch9wavefront6targetE0EEEvSM_ ; -- Begin function _ZN7rocprim17ROCPRIM_400000_NS6detail17trampoline_kernelINS0_13kernel_configILj256ELj4ELj4294967295EEENS1_37radix_sort_block_sort_config_selectorIjN6thrust23THRUST_200600_302600_NS5tupleIffNS7_9null_typeES9_S9_S9_S9_S9_S9_S9_EEEEZNS1_21radix_sort_block_sortIS4_Lb0ENS7_6detail15normal_iteratorINS7_10device_ptrIjEEEESH_NSE_INSF_ISA_EEEESJ_NS0_19identity_decomposerEEE10hipError_tT1_T2_T3_T4_jRjT5_jjP12ihipStream_tbEUlT_E_NS1_11comp_targetILNS1_3genE4ELNS1_11target_archE910ELNS1_3gpuE8ELNS1_3repE0EEENS1_44radix_sort_block_sort_config_static_selectorELNS0_4arch9wavefront6targetE0EEEvSM_
	.globl	_ZN7rocprim17ROCPRIM_400000_NS6detail17trampoline_kernelINS0_13kernel_configILj256ELj4ELj4294967295EEENS1_37radix_sort_block_sort_config_selectorIjN6thrust23THRUST_200600_302600_NS5tupleIffNS7_9null_typeES9_S9_S9_S9_S9_S9_S9_EEEEZNS1_21radix_sort_block_sortIS4_Lb0ENS7_6detail15normal_iteratorINS7_10device_ptrIjEEEESH_NSE_INSF_ISA_EEEESJ_NS0_19identity_decomposerEEE10hipError_tT1_T2_T3_T4_jRjT5_jjP12ihipStream_tbEUlT_E_NS1_11comp_targetILNS1_3genE4ELNS1_11target_archE910ELNS1_3gpuE8ELNS1_3repE0EEENS1_44radix_sort_block_sort_config_static_selectorELNS0_4arch9wavefront6targetE0EEEvSM_
	.p2align	8
	.type	_ZN7rocprim17ROCPRIM_400000_NS6detail17trampoline_kernelINS0_13kernel_configILj256ELj4ELj4294967295EEENS1_37radix_sort_block_sort_config_selectorIjN6thrust23THRUST_200600_302600_NS5tupleIffNS7_9null_typeES9_S9_S9_S9_S9_S9_S9_EEEEZNS1_21radix_sort_block_sortIS4_Lb0ENS7_6detail15normal_iteratorINS7_10device_ptrIjEEEESH_NSE_INSF_ISA_EEEESJ_NS0_19identity_decomposerEEE10hipError_tT1_T2_T3_T4_jRjT5_jjP12ihipStream_tbEUlT_E_NS1_11comp_targetILNS1_3genE4ELNS1_11target_archE910ELNS1_3gpuE8ELNS1_3repE0EEENS1_44radix_sort_block_sort_config_static_selectorELNS0_4arch9wavefront6targetE0EEEvSM_,@function
_ZN7rocprim17ROCPRIM_400000_NS6detail17trampoline_kernelINS0_13kernel_configILj256ELj4ELj4294967295EEENS1_37radix_sort_block_sort_config_selectorIjN6thrust23THRUST_200600_302600_NS5tupleIffNS7_9null_typeES9_S9_S9_S9_S9_S9_S9_EEEEZNS1_21radix_sort_block_sortIS4_Lb0ENS7_6detail15normal_iteratorINS7_10device_ptrIjEEEESH_NSE_INSF_ISA_EEEESJ_NS0_19identity_decomposerEEE10hipError_tT1_T2_T3_T4_jRjT5_jjP12ihipStream_tbEUlT_E_NS1_11comp_targetILNS1_3genE4ELNS1_11target_archE910ELNS1_3gpuE8ELNS1_3repE0EEENS1_44radix_sort_block_sort_config_static_selectorELNS0_4arch9wavefront6targetE0EEEvSM_: ; @_ZN7rocprim17ROCPRIM_400000_NS6detail17trampoline_kernelINS0_13kernel_configILj256ELj4ELj4294967295EEENS1_37radix_sort_block_sort_config_selectorIjN6thrust23THRUST_200600_302600_NS5tupleIffNS7_9null_typeES9_S9_S9_S9_S9_S9_S9_EEEEZNS1_21radix_sort_block_sortIS4_Lb0ENS7_6detail15normal_iteratorINS7_10device_ptrIjEEEESH_NSE_INSF_ISA_EEEESJ_NS0_19identity_decomposerEEE10hipError_tT1_T2_T3_T4_jRjT5_jjP12ihipStream_tbEUlT_E_NS1_11comp_targetILNS1_3genE4ELNS1_11target_archE910ELNS1_3gpuE8ELNS1_3repE0EEENS1_44radix_sort_block_sort_config_static_selectorELNS0_4arch9wavefront6targetE0EEEvSM_
; %bb.0:
	.section	.rodata,"a",@progbits
	.p2align	6, 0x0
	.amdhsa_kernel _ZN7rocprim17ROCPRIM_400000_NS6detail17trampoline_kernelINS0_13kernel_configILj256ELj4ELj4294967295EEENS1_37radix_sort_block_sort_config_selectorIjN6thrust23THRUST_200600_302600_NS5tupleIffNS7_9null_typeES9_S9_S9_S9_S9_S9_S9_EEEEZNS1_21radix_sort_block_sortIS4_Lb0ENS7_6detail15normal_iteratorINS7_10device_ptrIjEEEESH_NSE_INSF_ISA_EEEESJ_NS0_19identity_decomposerEEE10hipError_tT1_T2_T3_T4_jRjT5_jjP12ihipStream_tbEUlT_E_NS1_11comp_targetILNS1_3genE4ELNS1_11target_archE910ELNS1_3gpuE8ELNS1_3repE0EEENS1_44radix_sort_block_sort_config_static_selectorELNS0_4arch9wavefront6targetE0EEEvSM_
		.amdhsa_group_segment_fixed_size 0
		.amdhsa_private_segment_fixed_size 0
		.amdhsa_kernarg_size 48
		.amdhsa_user_sgpr_count 2
		.amdhsa_user_sgpr_dispatch_ptr 0
		.amdhsa_user_sgpr_queue_ptr 0
		.amdhsa_user_sgpr_kernarg_segment_ptr 1
		.amdhsa_user_sgpr_dispatch_id 0
		.amdhsa_user_sgpr_kernarg_preload_length 0
		.amdhsa_user_sgpr_kernarg_preload_offset 0
		.amdhsa_user_sgpr_private_segment_size 0
		.amdhsa_wavefront_size32 1
		.amdhsa_uses_dynamic_stack 0
		.amdhsa_enable_private_segment 0
		.amdhsa_system_sgpr_workgroup_id_x 1
		.amdhsa_system_sgpr_workgroup_id_y 0
		.amdhsa_system_sgpr_workgroup_id_z 0
		.amdhsa_system_sgpr_workgroup_info 0
		.amdhsa_system_vgpr_workitem_id 0
		.amdhsa_next_free_vgpr 1
		.amdhsa_next_free_sgpr 1
		.amdhsa_named_barrier_count 0
		.amdhsa_reserve_vcc 0
		.amdhsa_float_round_mode_32 0
		.amdhsa_float_round_mode_16_64 0
		.amdhsa_float_denorm_mode_32 3
		.amdhsa_float_denorm_mode_16_64 3
		.amdhsa_fp16_overflow 0
		.amdhsa_memory_ordered 1
		.amdhsa_forward_progress 1
		.amdhsa_inst_pref_size 0
		.amdhsa_round_robin_scheduling 0
		.amdhsa_exception_fp_ieee_invalid_op 0
		.amdhsa_exception_fp_denorm_src 0
		.amdhsa_exception_fp_ieee_div_zero 0
		.amdhsa_exception_fp_ieee_overflow 0
		.amdhsa_exception_fp_ieee_underflow 0
		.amdhsa_exception_fp_ieee_inexact 0
		.amdhsa_exception_int_div_zero 0
	.end_amdhsa_kernel
	.section	.text._ZN7rocprim17ROCPRIM_400000_NS6detail17trampoline_kernelINS0_13kernel_configILj256ELj4ELj4294967295EEENS1_37radix_sort_block_sort_config_selectorIjN6thrust23THRUST_200600_302600_NS5tupleIffNS7_9null_typeES9_S9_S9_S9_S9_S9_S9_EEEEZNS1_21radix_sort_block_sortIS4_Lb0ENS7_6detail15normal_iteratorINS7_10device_ptrIjEEEESH_NSE_INSF_ISA_EEEESJ_NS0_19identity_decomposerEEE10hipError_tT1_T2_T3_T4_jRjT5_jjP12ihipStream_tbEUlT_E_NS1_11comp_targetILNS1_3genE4ELNS1_11target_archE910ELNS1_3gpuE8ELNS1_3repE0EEENS1_44radix_sort_block_sort_config_static_selectorELNS0_4arch9wavefront6targetE0EEEvSM_,"axG",@progbits,_ZN7rocprim17ROCPRIM_400000_NS6detail17trampoline_kernelINS0_13kernel_configILj256ELj4ELj4294967295EEENS1_37radix_sort_block_sort_config_selectorIjN6thrust23THRUST_200600_302600_NS5tupleIffNS7_9null_typeES9_S9_S9_S9_S9_S9_S9_EEEEZNS1_21radix_sort_block_sortIS4_Lb0ENS7_6detail15normal_iteratorINS7_10device_ptrIjEEEESH_NSE_INSF_ISA_EEEESJ_NS0_19identity_decomposerEEE10hipError_tT1_T2_T3_T4_jRjT5_jjP12ihipStream_tbEUlT_E_NS1_11comp_targetILNS1_3genE4ELNS1_11target_archE910ELNS1_3gpuE8ELNS1_3repE0EEENS1_44radix_sort_block_sort_config_static_selectorELNS0_4arch9wavefront6targetE0EEEvSM_,comdat
.Lfunc_end9:
	.size	_ZN7rocprim17ROCPRIM_400000_NS6detail17trampoline_kernelINS0_13kernel_configILj256ELj4ELj4294967295EEENS1_37radix_sort_block_sort_config_selectorIjN6thrust23THRUST_200600_302600_NS5tupleIffNS7_9null_typeES9_S9_S9_S9_S9_S9_S9_EEEEZNS1_21radix_sort_block_sortIS4_Lb0ENS7_6detail15normal_iteratorINS7_10device_ptrIjEEEESH_NSE_INSF_ISA_EEEESJ_NS0_19identity_decomposerEEE10hipError_tT1_T2_T3_T4_jRjT5_jjP12ihipStream_tbEUlT_E_NS1_11comp_targetILNS1_3genE4ELNS1_11target_archE910ELNS1_3gpuE8ELNS1_3repE0EEENS1_44radix_sort_block_sort_config_static_selectorELNS0_4arch9wavefront6targetE0EEEvSM_, .Lfunc_end9-_ZN7rocprim17ROCPRIM_400000_NS6detail17trampoline_kernelINS0_13kernel_configILj256ELj4ELj4294967295EEENS1_37radix_sort_block_sort_config_selectorIjN6thrust23THRUST_200600_302600_NS5tupleIffNS7_9null_typeES9_S9_S9_S9_S9_S9_S9_EEEEZNS1_21radix_sort_block_sortIS4_Lb0ENS7_6detail15normal_iteratorINS7_10device_ptrIjEEEESH_NSE_INSF_ISA_EEEESJ_NS0_19identity_decomposerEEE10hipError_tT1_T2_T3_T4_jRjT5_jjP12ihipStream_tbEUlT_E_NS1_11comp_targetILNS1_3genE4ELNS1_11target_archE910ELNS1_3gpuE8ELNS1_3repE0EEENS1_44radix_sort_block_sort_config_static_selectorELNS0_4arch9wavefront6targetE0EEEvSM_
                                        ; -- End function
	.set _ZN7rocprim17ROCPRIM_400000_NS6detail17trampoline_kernelINS0_13kernel_configILj256ELj4ELj4294967295EEENS1_37radix_sort_block_sort_config_selectorIjN6thrust23THRUST_200600_302600_NS5tupleIffNS7_9null_typeES9_S9_S9_S9_S9_S9_S9_EEEEZNS1_21radix_sort_block_sortIS4_Lb0ENS7_6detail15normal_iteratorINS7_10device_ptrIjEEEESH_NSE_INSF_ISA_EEEESJ_NS0_19identity_decomposerEEE10hipError_tT1_T2_T3_T4_jRjT5_jjP12ihipStream_tbEUlT_E_NS1_11comp_targetILNS1_3genE4ELNS1_11target_archE910ELNS1_3gpuE8ELNS1_3repE0EEENS1_44radix_sort_block_sort_config_static_selectorELNS0_4arch9wavefront6targetE0EEEvSM_.num_vgpr, 0
	.set _ZN7rocprim17ROCPRIM_400000_NS6detail17trampoline_kernelINS0_13kernel_configILj256ELj4ELj4294967295EEENS1_37radix_sort_block_sort_config_selectorIjN6thrust23THRUST_200600_302600_NS5tupleIffNS7_9null_typeES9_S9_S9_S9_S9_S9_S9_EEEEZNS1_21radix_sort_block_sortIS4_Lb0ENS7_6detail15normal_iteratorINS7_10device_ptrIjEEEESH_NSE_INSF_ISA_EEEESJ_NS0_19identity_decomposerEEE10hipError_tT1_T2_T3_T4_jRjT5_jjP12ihipStream_tbEUlT_E_NS1_11comp_targetILNS1_3genE4ELNS1_11target_archE910ELNS1_3gpuE8ELNS1_3repE0EEENS1_44radix_sort_block_sort_config_static_selectorELNS0_4arch9wavefront6targetE0EEEvSM_.num_agpr, 0
	.set _ZN7rocprim17ROCPRIM_400000_NS6detail17trampoline_kernelINS0_13kernel_configILj256ELj4ELj4294967295EEENS1_37radix_sort_block_sort_config_selectorIjN6thrust23THRUST_200600_302600_NS5tupleIffNS7_9null_typeES9_S9_S9_S9_S9_S9_S9_EEEEZNS1_21radix_sort_block_sortIS4_Lb0ENS7_6detail15normal_iteratorINS7_10device_ptrIjEEEESH_NSE_INSF_ISA_EEEESJ_NS0_19identity_decomposerEEE10hipError_tT1_T2_T3_T4_jRjT5_jjP12ihipStream_tbEUlT_E_NS1_11comp_targetILNS1_3genE4ELNS1_11target_archE910ELNS1_3gpuE8ELNS1_3repE0EEENS1_44radix_sort_block_sort_config_static_selectorELNS0_4arch9wavefront6targetE0EEEvSM_.numbered_sgpr, 0
	.set _ZN7rocprim17ROCPRIM_400000_NS6detail17trampoline_kernelINS0_13kernel_configILj256ELj4ELj4294967295EEENS1_37radix_sort_block_sort_config_selectorIjN6thrust23THRUST_200600_302600_NS5tupleIffNS7_9null_typeES9_S9_S9_S9_S9_S9_S9_EEEEZNS1_21radix_sort_block_sortIS4_Lb0ENS7_6detail15normal_iteratorINS7_10device_ptrIjEEEESH_NSE_INSF_ISA_EEEESJ_NS0_19identity_decomposerEEE10hipError_tT1_T2_T3_T4_jRjT5_jjP12ihipStream_tbEUlT_E_NS1_11comp_targetILNS1_3genE4ELNS1_11target_archE910ELNS1_3gpuE8ELNS1_3repE0EEENS1_44radix_sort_block_sort_config_static_selectorELNS0_4arch9wavefront6targetE0EEEvSM_.num_named_barrier, 0
	.set _ZN7rocprim17ROCPRIM_400000_NS6detail17trampoline_kernelINS0_13kernel_configILj256ELj4ELj4294967295EEENS1_37radix_sort_block_sort_config_selectorIjN6thrust23THRUST_200600_302600_NS5tupleIffNS7_9null_typeES9_S9_S9_S9_S9_S9_S9_EEEEZNS1_21radix_sort_block_sortIS4_Lb0ENS7_6detail15normal_iteratorINS7_10device_ptrIjEEEESH_NSE_INSF_ISA_EEEESJ_NS0_19identity_decomposerEEE10hipError_tT1_T2_T3_T4_jRjT5_jjP12ihipStream_tbEUlT_E_NS1_11comp_targetILNS1_3genE4ELNS1_11target_archE910ELNS1_3gpuE8ELNS1_3repE0EEENS1_44radix_sort_block_sort_config_static_selectorELNS0_4arch9wavefront6targetE0EEEvSM_.private_seg_size, 0
	.set _ZN7rocprim17ROCPRIM_400000_NS6detail17trampoline_kernelINS0_13kernel_configILj256ELj4ELj4294967295EEENS1_37radix_sort_block_sort_config_selectorIjN6thrust23THRUST_200600_302600_NS5tupleIffNS7_9null_typeES9_S9_S9_S9_S9_S9_S9_EEEEZNS1_21radix_sort_block_sortIS4_Lb0ENS7_6detail15normal_iteratorINS7_10device_ptrIjEEEESH_NSE_INSF_ISA_EEEESJ_NS0_19identity_decomposerEEE10hipError_tT1_T2_T3_T4_jRjT5_jjP12ihipStream_tbEUlT_E_NS1_11comp_targetILNS1_3genE4ELNS1_11target_archE910ELNS1_3gpuE8ELNS1_3repE0EEENS1_44radix_sort_block_sort_config_static_selectorELNS0_4arch9wavefront6targetE0EEEvSM_.uses_vcc, 0
	.set _ZN7rocprim17ROCPRIM_400000_NS6detail17trampoline_kernelINS0_13kernel_configILj256ELj4ELj4294967295EEENS1_37radix_sort_block_sort_config_selectorIjN6thrust23THRUST_200600_302600_NS5tupleIffNS7_9null_typeES9_S9_S9_S9_S9_S9_S9_EEEEZNS1_21radix_sort_block_sortIS4_Lb0ENS7_6detail15normal_iteratorINS7_10device_ptrIjEEEESH_NSE_INSF_ISA_EEEESJ_NS0_19identity_decomposerEEE10hipError_tT1_T2_T3_T4_jRjT5_jjP12ihipStream_tbEUlT_E_NS1_11comp_targetILNS1_3genE4ELNS1_11target_archE910ELNS1_3gpuE8ELNS1_3repE0EEENS1_44radix_sort_block_sort_config_static_selectorELNS0_4arch9wavefront6targetE0EEEvSM_.uses_flat_scratch, 0
	.set _ZN7rocprim17ROCPRIM_400000_NS6detail17trampoline_kernelINS0_13kernel_configILj256ELj4ELj4294967295EEENS1_37radix_sort_block_sort_config_selectorIjN6thrust23THRUST_200600_302600_NS5tupleIffNS7_9null_typeES9_S9_S9_S9_S9_S9_S9_EEEEZNS1_21radix_sort_block_sortIS4_Lb0ENS7_6detail15normal_iteratorINS7_10device_ptrIjEEEESH_NSE_INSF_ISA_EEEESJ_NS0_19identity_decomposerEEE10hipError_tT1_T2_T3_T4_jRjT5_jjP12ihipStream_tbEUlT_E_NS1_11comp_targetILNS1_3genE4ELNS1_11target_archE910ELNS1_3gpuE8ELNS1_3repE0EEENS1_44radix_sort_block_sort_config_static_selectorELNS0_4arch9wavefront6targetE0EEEvSM_.has_dyn_sized_stack, 0
	.set _ZN7rocprim17ROCPRIM_400000_NS6detail17trampoline_kernelINS0_13kernel_configILj256ELj4ELj4294967295EEENS1_37radix_sort_block_sort_config_selectorIjN6thrust23THRUST_200600_302600_NS5tupleIffNS7_9null_typeES9_S9_S9_S9_S9_S9_S9_EEEEZNS1_21radix_sort_block_sortIS4_Lb0ENS7_6detail15normal_iteratorINS7_10device_ptrIjEEEESH_NSE_INSF_ISA_EEEESJ_NS0_19identity_decomposerEEE10hipError_tT1_T2_T3_T4_jRjT5_jjP12ihipStream_tbEUlT_E_NS1_11comp_targetILNS1_3genE4ELNS1_11target_archE910ELNS1_3gpuE8ELNS1_3repE0EEENS1_44radix_sort_block_sort_config_static_selectorELNS0_4arch9wavefront6targetE0EEEvSM_.has_recursion, 0
	.set _ZN7rocprim17ROCPRIM_400000_NS6detail17trampoline_kernelINS0_13kernel_configILj256ELj4ELj4294967295EEENS1_37radix_sort_block_sort_config_selectorIjN6thrust23THRUST_200600_302600_NS5tupleIffNS7_9null_typeES9_S9_S9_S9_S9_S9_S9_EEEEZNS1_21radix_sort_block_sortIS4_Lb0ENS7_6detail15normal_iteratorINS7_10device_ptrIjEEEESH_NSE_INSF_ISA_EEEESJ_NS0_19identity_decomposerEEE10hipError_tT1_T2_T3_T4_jRjT5_jjP12ihipStream_tbEUlT_E_NS1_11comp_targetILNS1_3genE4ELNS1_11target_archE910ELNS1_3gpuE8ELNS1_3repE0EEENS1_44radix_sort_block_sort_config_static_selectorELNS0_4arch9wavefront6targetE0EEEvSM_.has_indirect_call, 0
	.section	.AMDGPU.csdata,"",@progbits
; Kernel info:
; codeLenInByte = 0
; TotalNumSgprs: 0
; NumVgprs: 0
; ScratchSize: 0
; MemoryBound: 0
; FloatMode: 240
; IeeeMode: 1
; LDSByteSize: 0 bytes/workgroup (compile time only)
; SGPRBlocks: 0
; VGPRBlocks: 0
; NumSGPRsForWavesPerEU: 1
; NumVGPRsForWavesPerEU: 1
; NamedBarCnt: 0
; Occupancy: 16
; WaveLimiterHint : 0
; COMPUTE_PGM_RSRC2:SCRATCH_EN: 0
; COMPUTE_PGM_RSRC2:USER_SGPR: 2
; COMPUTE_PGM_RSRC2:TRAP_HANDLER: 0
; COMPUTE_PGM_RSRC2:TGID_X_EN: 1
; COMPUTE_PGM_RSRC2:TGID_Y_EN: 0
; COMPUTE_PGM_RSRC2:TGID_Z_EN: 0
; COMPUTE_PGM_RSRC2:TIDIG_COMP_CNT: 0
	.section	.text._ZN7rocprim17ROCPRIM_400000_NS6detail17trampoline_kernelINS0_13kernel_configILj256ELj4ELj4294967295EEENS1_37radix_sort_block_sort_config_selectorIjN6thrust23THRUST_200600_302600_NS5tupleIffNS7_9null_typeES9_S9_S9_S9_S9_S9_S9_EEEEZNS1_21radix_sort_block_sortIS4_Lb0ENS7_6detail15normal_iteratorINS7_10device_ptrIjEEEESH_NSE_INSF_ISA_EEEESJ_NS0_19identity_decomposerEEE10hipError_tT1_T2_T3_T4_jRjT5_jjP12ihipStream_tbEUlT_E_NS1_11comp_targetILNS1_3genE3ELNS1_11target_archE908ELNS1_3gpuE7ELNS1_3repE0EEENS1_44radix_sort_block_sort_config_static_selectorELNS0_4arch9wavefront6targetE0EEEvSM_,"axG",@progbits,_ZN7rocprim17ROCPRIM_400000_NS6detail17trampoline_kernelINS0_13kernel_configILj256ELj4ELj4294967295EEENS1_37radix_sort_block_sort_config_selectorIjN6thrust23THRUST_200600_302600_NS5tupleIffNS7_9null_typeES9_S9_S9_S9_S9_S9_S9_EEEEZNS1_21radix_sort_block_sortIS4_Lb0ENS7_6detail15normal_iteratorINS7_10device_ptrIjEEEESH_NSE_INSF_ISA_EEEESJ_NS0_19identity_decomposerEEE10hipError_tT1_T2_T3_T4_jRjT5_jjP12ihipStream_tbEUlT_E_NS1_11comp_targetILNS1_3genE3ELNS1_11target_archE908ELNS1_3gpuE7ELNS1_3repE0EEENS1_44radix_sort_block_sort_config_static_selectorELNS0_4arch9wavefront6targetE0EEEvSM_,comdat
	.protected	_ZN7rocprim17ROCPRIM_400000_NS6detail17trampoline_kernelINS0_13kernel_configILj256ELj4ELj4294967295EEENS1_37radix_sort_block_sort_config_selectorIjN6thrust23THRUST_200600_302600_NS5tupleIffNS7_9null_typeES9_S9_S9_S9_S9_S9_S9_EEEEZNS1_21radix_sort_block_sortIS4_Lb0ENS7_6detail15normal_iteratorINS7_10device_ptrIjEEEESH_NSE_INSF_ISA_EEEESJ_NS0_19identity_decomposerEEE10hipError_tT1_T2_T3_T4_jRjT5_jjP12ihipStream_tbEUlT_E_NS1_11comp_targetILNS1_3genE3ELNS1_11target_archE908ELNS1_3gpuE7ELNS1_3repE0EEENS1_44radix_sort_block_sort_config_static_selectorELNS0_4arch9wavefront6targetE0EEEvSM_ ; -- Begin function _ZN7rocprim17ROCPRIM_400000_NS6detail17trampoline_kernelINS0_13kernel_configILj256ELj4ELj4294967295EEENS1_37radix_sort_block_sort_config_selectorIjN6thrust23THRUST_200600_302600_NS5tupleIffNS7_9null_typeES9_S9_S9_S9_S9_S9_S9_EEEEZNS1_21radix_sort_block_sortIS4_Lb0ENS7_6detail15normal_iteratorINS7_10device_ptrIjEEEESH_NSE_INSF_ISA_EEEESJ_NS0_19identity_decomposerEEE10hipError_tT1_T2_T3_T4_jRjT5_jjP12ihipStream_tbEUlT_E_NS1_11comp_targetILNS1_3genE3ELNS1_11target_archE908ELNS1_3gpuE7ELNS1_3repE0EEENS1_44radix_sort_block_sort_config_static_selectorELNS0_4arch9wavefront6targetE0EEEvSM_
	.globl	_ZN7rocprim17ROCPRIM_400000_NS6detail17trampoline_kernelINS0_13kernel_configILj256ELj4ELj4294967295EEENS1_37radix_sort_block_sort_config_selectorIjN6thrust23THRUST_200600_302600_NS5tupleIffNS7_9null_typeES9_S9_S9_S9_S9_S9_S9_EEEEZNS1_21radix_sort_block_sortIS4_Lb0ENS7_6detail15normal_iteratorINS7_10device_ptrIjEEEESH_NSE_INSF_ISA_EEEESJ_NS0_19identity_decomposerEEE10hipError_tT1_T2_T3_T4_jRjT5_jjP12ihipStream_tbEUlT_E_NS1_11comp_targetILNS1_3genE3ELNS1_11target_archE908ELNS1_3gpuE7ELNS1_3repE0EEENS1_44radix_sort_block_sort_config_static_selectorELNS0_4arch9wavefront6targetE0EEEvSM_
	.p2align	8
	.type	_ZN7rocprim17ROCPRIM_400000_NS6detail17trampoline_kernelINS0_13kernel_configILj256ELj4ELj4294967295EEENS1_37radix_sort_block_sort_config_selectorIjN6thrust23THRUST_200600_302600_NS5tupleIffNS7_9null_typeES9_S9_S9_S9_S9_S9_S9_EEEEZNS1_21radix_sort_block_sortIS4_Lb0ENS7_6detail15normal_iteratorINS7_10device_ptrIjEEEESH_NSE_INSF_ISA_EEEESJ_NS0_19identity_decomposerEEE10hipError_tT1_T2_T3_T4_jRjT5_jjP12ihipStream_tbEUlT_E_NS1_11comp_targetILNS1_3genE3ELNS1_11target_archE908ELNS1_3gpuE7ELNS1_3repE0EEENS1_44radix_sort_block_sort_config_static_selectorELNS0_4arch9wavefront6targetE0EEEvSM_,@function
_ZN7rocprim17ROCPRIM_400000_NS6detail17trampoline_kernelINS0_13kernel_configILj256ELj4ELj4294967295EEENS1_37radix_sort_block_sort_config_selectorIjN6thrust23THRUST_200600_302600_NS5tupleIffNS7_9null_typeES9_S9_S9_S9_S9_S9_S9_EEEEZNS1_21radix_sort_block_sortIS4_Lb0ENS7_6detail15normal_iteratorINS7_10device_ptrIjEEEESH_NSE_INSF_ISA_EEEESJ_NS0_19identity_decomposerEEE10hipError_tT1_T2_T3_T4_jRjT5_jjP12ihipStream_tbEUlT_E_NS1_11comp_targetILNS1_3genE3ELNS1_11target_archE908ELNS1_3gpuE7ELNS1_3repE0EEENS1_44radix_sort_block_sort_config_static_selectorELNS0_4arch9wavefront6targetE0EEEvSM_: ; @_ZN7rocprim17ROCPRIM_400000_NS6detail17trampoline_kernelINS0_13kernel_configILj256ELj4ELj4294967295EEENS1_37radix_sort_block_sort_config_selectorIjN6thrust23THRUST_200600_302600_NS5tupleIffNS7_9null_typeES9_S9_S9_S9_S9_S9_S9_EEEEZNS1_21radix_sort_block_sortIS4_Lb0ENS7_6detail15normal_iteratorINS7_10device_ptrIjEEEESH_NSE_INSF_ISA_EEEESJ_NS0_19identity_decomposerEEE10hipError_tT1_T2_T3_T4_jRjT5_jjP12ihipStream_tbEUlT_E_NS1_11comp_targetILNS1_3genE3ELNS1_11target_archE908ELNS1_3gpuE7ELNS1_3repE0EEENS1_44radix_sort_block_sort_config_static_selectorELNS0_4arch9wavefront6targetE0EEEvSM_
; %bb.0:
	.section	.rodata,"a",@progbits
	.p2align	6, 0x0
	.amdhsa_kernel _ZN7rocprim17ROCPRIM_400000_NS6detail17trampoline_kernelINS0_13kernel_configILj256ELj4ELj4294967295EEENS1_37radix_sort_block_sort_config_selectorIjN6thrust23THRUST_200600_302600_NS5tupleIffNS7_9null_typeES9_S9_S9_S9_S9_S9_S9_EEEEZNS1_21radix_sort_block_sortIS4_Lb0ENS7_6detail15normal_iteratorINS7_10device_ptrIjEEEESH_NSE_INSF_ISA_EEEESJ_NS0_19identity_decomposerEEE10hipError_tT1_T2_T3_T4_jRjT5_jjP12ihipStream_tbEUlT_E_NS1_11comp_targetILNS1_3genE3ELNS1_11target_archE908ELNS1_3gpuE7ELNS1_3repE0EEENS1_44radix_sort_block_sort_config_static_selectorELNS0_4arch9wavefront6targetE0EEEvSM_
		.amdhsa_group_segment_fixed_size 0
		.amdhsa_private_segment_fixed_size 0
		.amdhsa_kernarg_size 48
		.amdhsa_user_sgpr_count 2
		.amdhsa_user_sgpr_dispatch_ptr 0
		.amdhsa_user_sgpr_queue_ptr 0
		.amdhsa_user_sgpr_kernarg_segment_ptr 1
		.amdhsa_user_sgpr_dispatch_id 0
		.amdhsa_user_sgpr_kernarg_preload_length 0
		.amdhsa_user_sgpr_kernarg_preload_offset 0
		.amdhsa_user_sgpr_private_segment_size 0
		.amdhsa_wavefront_size32 1
		.amdhsa_uses_dynamic_stack 0
		.amdhsa_enable_private_segment 0
		.amdhsa_system_sgpr_workgroup_id_x 1
		.amdhsa_system_sgpr_workgroup_id_y 0
		.amdhsa_system_sgpr_workgroup_id_z 0
		.amdhsa_system_sgpr_workgroup_info 0
		.amdhsa_system_vgpr_workitem_id 0
		.amdhsa_next_free_vgpr 1
		.amdhsa_next_free_sgpr 1
		.amdhsa_named_barrier_count 0
		.amdhsa_reserve_vcc 0
		.amdhsa_float_round_mode_32 0
		.amdhsa_float_round_mode_16_64 0
		.amdhsa_float_denorm_mode_32 3
		.amdhsa_float_denorm_mode_16_64 3
		.amdhsa_fp16_overflow 0
		.amdhsa_memory_ordered 1
		.amdhsa_forward_progress 1
		.amdhsa_inst_pref_size 0
		.amdhsa_round_robin_scheduling 0
		.amdhsa_exception_fp_ieee_invalid_op 0
		.amdhsa_exception_fp_denorm_src 0
		.amdhsa_exception_fp_ieee_div_zero 0
		.amdhsa_exception_fp_ieee_overflow 0
		.amdhsa_exception_fp_ieee_underflow 0
		.amdhsa_exception_fp_ieee_inexact 0
		.amdhsa_exception_int_div_zero 0
	.end_amdhsa_kernel
	.section	.text._ZN7rocprim17ROCPRIM_400000_NS6detail17trampoline_kernelINS0_13kernel_configILj256ELj4ELj4294967295EEENS1_37radix_sort_block_sort_config_selectorIjN6thrust23THRUST_200600_302600_NS5tupleIffNS7_9null_typeES9_S9_S9_S9_S9_S9_S9_EEEEZNS1_21radix_sort_block_sortIS4_Lb0ENS7_6detail15normal_iteratorINS7_10device_ptrIjEEEESH_NSE_INSF_ISA_EEEESJ_NS0_19identity_decomposerEEE10hipError_tT1_T2_T3_T4_jRjT5_jjP12ihipStream_tbEUlT_E_NS1_11comp_targetILNS1_3genE3ELNS1_11target_archE908ELNS1_3gpuE7ELNS1_3repE0EEENS1_44radix_sort_block_sort_config_static_selectorELNS0_4arch9wavefront6targetE0EEEvSM_,"axG",@progbits,_ZN7rocprim17ROCPRIM_400000_NS6detail17trampoline_kernelINS0_13kernel_configILj256ELj4ELj4294967295EEENS1_37radix_sort_block_sort_config_selectorIjN6thrust23THRUST_200600_302600_NS5tupleIffNS7_9null_typeES9_S9_S9_S9_S9_S9_S9_EEEEZNS1_21radix_sort_block_sortIS4_Lb0ENS7_6detail15normal_iteratorINS7_10device_ptrIjEEEESH_NSE_INSF_ISA_EEEESJ_NS0_19identity_decomposerEEE10hipError_tT1_T2_T3_T4_jRjT5_jjP12ihipStream_tbEUlT_E_NS1_11comp_targetILNS1_3genE3ELNS1_11target_archE908ELNS1_3gpuE7ELNS1_3repE0EEENS1_44radix_sort_block_sort_config_static_selectorELNS0_4arch9wavefront6targetE0EEEvSM_,comdat
.Lfunc_end10:
	.size	_ZN7rocprim17ROCPRIM_400000_NS6detail17trampoline_kernelINS0_13kernel_configILj256ELj4ELj4294967295EEENS1_37radix_sort_block_sort_config_selectorIjN6thrust23THRUST_200600_302600_NS5tupleIffNS7_9null_typeES9_S9_S9_S9_S9_S9_S9_EEEEZNS1_21radix_sort_block_sortIS4_Lb0ENS7_6detail15normal_iteratorINS7_10device_ptrIjEEEESH_NSE_INSF_ISA_EEEESJ_NS0_19identity_decomposerEEE10hipError_tT1_T2_T3_T4_jRjT5_jjP12ihipStream_tbEUlT_E_NS1_11comp_targetILNS1_3genE3ELNS1_11target_archE908ELNS1_3gpuE7ELNS1_3repE0EEENS1_44radix_sort_block_sort_config_static_selectorELNS0_4arch9wavefront6targetE0EEEvSM_, .Lfunc_end10-_ZN7rocprim17ROCPRIM_400000_NS6detail17trampoline_kernelINS0_13kernel_configILj256ELj4ELj4294967295EEENS1_37radix_sort_block_sort_config_selectorIjN6thrust23THRUST_200600_302600_NS5tupleIffNS7_9null_typeES9_S9_S9_S9_S9_S9_S9_EEEEZNS1_21radix_sort_block_sortIS4_Lb0ENS7_6detail15normal_iteratorINS7_10device_ptrIjEEEESH_NSE_INSF_ISA_EEEESJ_NS0_19identity_decomposerEEE10hipError_tT1_T2_T3_T4_jRjT5_jjP12ihipStream_tbEUlT_E_NS1_11comp_targetILNS1_3genE3ELNS1_11target_archE908ELNS1_3gpuE7ELNS1_3repE0EEENS1_44radix_sort_block_sort_config_static_selectorELNS0_4arch9wavefront6targetE0EEEvSM_
                                        ; -- End function
	.set _ZN7rocprim17ROCPRIM_400000_NS6detail17trampoline_kernelINS0_13kernel_configILj256ELj4ELj4294967295EEENS1_37radix_sort_block_sort_config_selectorIjN6thrust23THRUST_200600_302600_NS5tupleIffNS7_9null_typeES9_S9_S9_S9_S9_S9_S9_EEEEZNS1_21radix_sort_block_sortIS4_Lb0ENS7_6detail15normal_iteratorINS7_10device_ptrIjEEEESH_NSE_INSF_ISA_EEEESJ_NS0_19identity_decomposerEEE10hipError_tT1_T2_T3_T4_jRjT5_jjP12ihipStream_tbEUlT_E_NS1_11comp_targetILNS1_3genE3ELNS1_11target_archE908ELNS1_3gpuE7ELNS1_3repE0EEENS1_44radix_sort_block_sort_config_static_selectorELNS0_4arch9wavefront6targetE0EEEvSM_.num_vgpr, 0
	.set _ZN7rocprim17ROCPRIM_400000_NS6detail17trampoline_kernelINS0_13kernel_configILj256ELj4ELj4294967295EEENS1_37radix_sort_block_sort_config_selectorIjN6thrust23THRUST_200600_302600_NS5tupleIffNS7_9null_typeES9_S9_S9_S9_S9_S9_S9_EEEEZNS1_21radix_sort_block_sortIS4_Lb0ENS7_6detail15normal_iteratorINS7_10device_ptrIjEEEESH_NSE_INSF_ISA_EEEESJ_NS0_19identity_decomposerEEE10hipError_tT1_T2_T3_T4_jRjT5_jjP12ihipStream_tbEUlT_E_NS1_11comp_targetILNS1_3genE3ELNS1_11target_archE908ELNS1_3gpuE7ELNS1_3repE0EEENS1_44radix_sort_block_sort_config_static_selectorELNS0_4arch9wavefront6targetE0EEEvSM_.num_agpr, 0
	.set _ZN7rocprim17ROCPRIM_400000_NS6detail17trampoline_kernelINS0_13kernel_configILj256ELj4ELj4294967295EEENS1_37radix_sort_block_sort_config_selectorIjN6thrust23THRUST_200600_302600_NS5tupleIffNS7_9null_typeES9_S9_S9_S9_S9_S9_S9_EEEEZNS1_21radix_sort_block_sortIS4_Lb0ENS7_6detail15normal_iteratorINS7_10device_ptrIjEEEESH_NSE_INSF_ISA_EEEESJ_NS0_19identity_decomposerEEE10hipError_tT1_T2_T3_T4_jRjT5_jjP12ihipStream_tbEUlT_E_NS1_11comp_targetILNS1_3genE3ELNS1_11target_archE908ELNS1_3gpuE7ELNS1_3repE0EEENS1_44radix_sort_block_sort_config_static_selectorELNS0_4arch9wavefront6targetE0EEEvSM_.numbered_sgpr, 0
	.set _ZN7rocprim17ROCPRIM_400000_NS6detail17trampoline_kernelINS0_13kernel_configILj256ELj4ELj4294967295EEENS1_37radix_sort_block_sort_config_selectorIjN6thrust23THRUST_200600_302600_NS5tupleIffNS7_9null_typeES9_S9_S9_S9_S9_S9_S9_EEEEZNS1_21radix_sort_block_sortIS4_Lb0ENS7_6detail15normal_iteratorINS7_10device_ptrIjEEEESH_NSE_INSF_ISA_EEEESJ_NS0_19identity_decomposerEEE10hipError_tT1_T2_T3_T4_jRjT5_jjP12ihipStream_tbEUlT_E_NS1_11comp_targetILNS1_3genE3ELNS1_11target_archE908ELNS1_3gpuE7ELNS1_3repE0EEENS1_44radix_sort_block_sort_config_static_selectorELNS0_4arch9wavefront6targetE0EEEvSM_.num_named_barrier, 0
	.set _ZN7rocprim17ROCPRIM_400000_NS6detail17trampoline_kernelINS0_13kernel_configILj256ELj4ELj4294967295EEENS1_37radix_sort_block_sort_config_selectorIjN6thrust23THRUST_200600_302600_NS5tupleIffNS7_9null_typeES9_S9_S9_S9_S9_S9_S9_EEEEZNS1_21radix_sort_block_sortIS4_Lb0ENS7_6detail15normal_iteratorINS7_10device_ptrIjEEEESH_NSE_INSF_ISA_EEEESJ_NS0_19identity_decomposerEEE10hipError_tT1_T2_T3_T4_jRjT5_jjP12ihipStream_tbEUlT_E_NS1_11comp_targetILNS1_3genE3ELNS1_11target_archE908ELNS1_3gpuE7ELNS1_3repE0EEENS1_44radix_sort_block_sort_config_static_selectorELNS0_4arch9wavefront6targetE0EEEvSM_.private_seg_size, 0
	.set _ZN7rocprim17ROCPRIM_400000_NS6detail17trampoline_kernelINS0_13kernel_configILj256ELj4ELj4294967295EEENS1_37radix_sort_block_sort_config_selectorIjN6thrust23THRUST_200600_302600_NS5tupleIffNS7_9null_typeES9_S9_S9_S9_S9_S9_S9_EEEEZNS1_21radix_sort_block_sortIS4_Lb0ENS7_6detail15normal_iteratorINS7_10device_ptrIjEEEESH_NSE_INSF_ISA_EEEESJ_NS0_19identity_decomposerEEE10hipError_tT1_T2_T3_T4_jRjT5_jjP12ihipStream_tbEUlT_E_NS1_11comp_targetILNS1_3genE3ELNS1_11target_archE908ELNS1_3gpuE7ELNS1_3repE0EEENS1_44radix_sort_block_sort_config_static_selectorELNS0_4arch9wavefront6targetE0EEEvSM_.uses_vcc, 0
	.set _ZN7rocprim17ROCPRIM_400000_NS6detail17trampoline_kernelINS0_13kernel_configILj256ELj4ELj4294967295EEENS1_37radix_sort_block_sort_config_selectorIjN6thrust23THRUST_200600_302600_NS5tupleIffNS7_9null_typeES9_S9_S9_S9_S9_S9_S9_EEEEZNS1_21radix_sort_block_sortIS4_Lb0ENS7_6detail15normal_iteratorINS7_10device_ptrIjEEEESH_NSE_INSF_ISA_EEEESJ_NS0_19identity_decomposerEEE10hipError_tT1_T2_T3_T4_jRjT5_jjP12ihipStream_tbEUlT_E_NS1_11comp_targetILNS1_3genE3ELNS1_11target_archE908ELNS1_3gpuE7ELNS1_3repE0EEENS1_44radix_sort_block_sort_config_static_selectorELNS0_4arch9wavefront6targetE0EEEvSM_.uses_flat_scratch, 0
	.set _ZN7rocprim17ROCPRIM_400000_NS6detail17trampoline_kernelINS0_13kernel_configILj256ELj4ELj4294967295EEENS1_37radix_sort_block_sort_config_selectorIjN6thrust23THRUST_200600_302600_NS5tupleIffNS7_9null_typeES9_S9_S9_S9_S9_S9_S9_EEEEZNS1_21radix_sort_block_sortIS4_Lb0ENS7_6detail15normal_iteratorINS7_10device_ptrIjEEEESH_NSE_INSF_ISA_EEEESJ_NS0_19identity_decomposerEEE10hipError_tT1_T2_T3_T4_jRjT5_jjP12ihipStream_tbEUlT_E_NS1_11comp_targetILNS1_3genE3ELNS1_11target_archE908ELNS1_3gpuE7ELNS1_3repE0EEENS1_44radix_sort_block_sort_config_static_selectorELNS0_4arch9wavefront6targetE0EEEvSM_.has_dyn_sized_stack, 0
	.set _ZN7rocprim17ROCPRIM_400000_NS6detail17trampoline_kernelINS0_13kernel_configILj256ELj4ELj4294967295EEENS1_37radix_sort_block_sort_config_selectorIjN6thrust23THRUST_200600_302600_NS5tupleIffNS7_9null_typeES9_S9_S9_S9_S9_S9_S9_EEEEZNS1_21radix_sort_block_sortIS4_Lb0ENS7_6detail15normal_iteratorINS7_10device_ptrIjEEEESH_NSE_INSF_ISA_EEEESJ_NS0_19identity_decomposerEEE10hipError_tT1_T2_T3_T4_jRjT5_jjP12ihipStream_tbEUlT_E_NS1_11comp_targetILNS1_3genE3ELNS1_11target_archE908ELNS1_3gpuE7ELNS1_3repE0EEENS1_44radix_sort_block_sort_config_static_selectorELNS0_4arch9wavefront6targetE0EEEvSM_.has_recursion, 0
	.set _ZN7rocprim17ROCPRIM_400000_NS6detail17trampoline_kernelINS0_13kernel_configILj256ELj4ELj4294967295EEENS1_37radix_sort_block_sort_config_selectorIjN6thrust23THRUST_200600_302600_NS5tupleIffNS7_9null_typeES9_S9_S9_S9_S9_S9_S9_EEEEZNS1_21radix_sort_block_sortIS4_Lb0ENS7_6detail15normal_iteratorINS7_10device_ptrIjEEEESH_NSE_INSF_ISA_EEEESJ_NS0_19identity_decomposerEEE10hipError_tT1_T2_T3_T4_jRjT5_jjP12ihipStream_tbEUlT_E_NS1_11comp_targetILNS1_3genE3ELNS1_11target_archE908ELNS1_3gpuE7ELNS1_3repE0EEENS1_44radix_sort_block_sort_config_static_selectorELNS0_4arch9wavefront6targetE0EEEvSM_.has_indirect_call, 0
	.section	.AMDGPU.csdata,"",@progbits
; Kernel info:
; codeLenInByte = 0
; TotalNumSgprs: 0
; NumVgprs: 0
; ScratchSize: 0
; MemoryBound: 0
; FloatMode: 240
; IeeeMode: 1
; LDSByteSize: 0 bytes/workgroup (compile time only)
; SGPRBlocks: 0
; VGPRBlocks: 0
; NumSGPRsForWavesPerEU: 1
; NumVGPRsForWavesPerEU: 1
; NamedBarCnt: 0
; Occupancy: 16
; WaveLimiterHint : 0
; COMPUTE_PGM_RSRC2:SCRATCH_EN: 0
; COMPUTE_PGM_RSRC2:USER_SGPR: 2
; COMPUTE_PGM_RSRC2:TRAP_HANDLER: 0
; COMPUTE_PGM_RSRC2:TGID_X_EN: 1
; COMPUTE_PGM_RSRC2:TGID_Y_EN: 0
; COMPUTE_PGM_RSRC2:TGID_Z_EN: 0
; COMPUTE_PGM_RSRC2:TIDIG_COMP_CNT: 0
	.section	.text._ZN7rocprim17ROCPRIM_400000_NS6detail17trampoline_kernelINS0_13kernel_configILj256ELj4ELj4294967295EEENS1_37radix_sort_block_sort_config_selectorIjN6thrust23THRUST_200600_302600_NS5tupleIffNS7_9null_typeES9_S9_S9_S9_S9_S9_S9_EEEEZNS1_21radix_sort_block_sortIS4_Lb0ENS7_6detail15normal_iteratorINS7_10device_ptrIjEEEESH_NSE_INSF_ISA_EEEESJ_NS0_19identity_decomposerEEE10hipError_tT1_T2_T3_T4_jRjT5_jjP12ihipStream_tbEUlT_E_NS1_11comp_targetILNS1_3genE2ELNS1_11target_archE906ELNS1_3gpuE6ELNS1_3repE0EEENS1_44radix_sort_block_sort_config_static_selectorELNS0_4arch9wavefront6targetE0EEEvSM_,"axG",@progbits,_ZN7rocprim17ROCPRIM_400000_NS6detail17trampoline_kernelINS0_13kernel_configILj256ELj4ELj4294967295EEENS1_37radix_sort_block_sort_config_selectorIjN6thrust23THRUST_200600_302600_NS5tupleIffNS7_9null_typeES9_S9_S9_S9_S9_S9_S9_EEEEZNS1_21radix_sort_block_sortIS4_Lb0ENS7_6detail15normal_iteratorINS7_10device_ptrIjEEEESH_NSE_INSF_ISA_EEEESJ_NS0_19identity_decomposerEEE10hipError_tT1_T2_T3_T4_jRjT5_jjP12ihipStream_tbEUlT_E_NS1_11comp_targetILNS1_3genE2ELNS1_11target_archE906ELNS1_3gpuE6ELNS1_3repE0EEENS1_44radix_sort_block_sort_config_static_selectorELNS0_4arch9wavefront6targetE0EEEvSM_,comdat
	.protected	_ZN7rocprim17ROCPRIM_400000_NS6detail17trampoline_kernelINS0_13kernel_configILj256ELj4ELj4294967295EEENS1_37radix_sort_block_sort_config_selectorIjN6thrust23THRUST_200600_302600_NS5tupleIffNS7_9null_typeES9_S9_S9_S9_S9_S9_S9_EEEEZNS1_21radix_sort_block_sortIS4_Lb0ENS7_6detail15normal_iteratorINS7_10device_ptrIjEEEESH_NSE_INSF_ISA_EEEESJ_NS0_19identity_decomposerEEE10hipError_tT1_T2_T3_T4_jRjT5_jjP12ihipStream_tbEUlT_E_NS1_11comp_targetILNS1_3genE2ELNS1_11target_archE906ELNS1_3gpuE6ELNS1_3repE0EEENS1_44radix_sort_block_sort_config_static_selectorELNS0_4arch9wavefront6targetE0EEEvSM_ ; -- Begin function _ZN7rocprim17ROCPRIM_400000_NS6detail17trampoline_kernelINS0_13kernel_configILj256ELj4ELj4294967295EEENS1_37radix_sort_block_sort_config_selectorIjN6thrust23THRUST_200600_302600_NS5tupleIffNS7_9null_typeES9_S9_S9_S9_S9_S9_S9_EEEEZNS1_21radix_sort_block_sortIS4_Lb0ENS7_6detail15normal_iteratorINS7_10device_ptrIjEEEESH_NSE_INSF_ISA_EEEESJ_NS0_19identity_decomposerEEE10hipError_tT1_T2_T3_T4_jRjT5_jjP12ihipStream_tbEUlT_E_NS1_11comp_targetILNS1_3genE2ELNS1_11target_archE906ELNS1_3gpuE6ELNS1_3repE0EEENS1_44radix_sort_block_sort_config_static_selectorELNS0_4arch9wavefront6targetE0EEEvSM_
	.globl	_ZN7rocprim17ROCPRIM_400000_NS6detail17trampoline_kernelINS0_13kernel_configILj256ELj4ELj4294967295EEENS1_37radix_sort_block_sort_config_selectorIjN6thrust23THRUST_200600_302600_NS5tupleIffNS7_9null_typeES9_S9_S9_S9_S9_S9_S9_EEEEZNS1_21radix_sort_block_sortIS4_Lb0ENS7_6detail15normal_iteratorINS7_10device_ptrIjEEEESH_NSE_INSF_ISA_EEEESJ_NS0_19identity_decomposerEEE10hipError_tT1_T2_T3_T4_jRjT5_jjP12ihipStream_tbEUlT_E_NS1_11comp_targetILNS1_3genE2ELNS1_11target_archE906ELNS1_3gpuE6ELNS1_3repE0EEENS1_44radix_sort_block_sort_config_static_selectorELNS0_4arch9wavefront6targetE0EEEvSM_
	.p2align	8
	.type	_ZN7rocprim17ROCPRIM_400000_NS6detail17trampoline_kernelINS0_13kernel_configILj256ELj4ELj4294967295EEENS1_37radix_sort_block_sort_config_selectorIjN6thrust23THRUST_200600_302600_NS5tupleIffNS7_9null_typeES9_S9_S9_S9_S9_S9_S9_EEEEZNS1_21radix_sort_block_sortIS4_Lb0ENS7_6detail15normal_iteratorINS7_10device_ptrIjEEEESH_NSE_INSF_ISA_EEEESJ_NS0_19identity_decomposerEEE10hipError_tT1_T2_T3_T4_jRjT5_jjP12ihipStream_tbEUlT_E_NS1_11comp_targetILNS1_3genE2ELNS1_11target_archE906ELNS1_3gpuE6ELNS1_3repE0EEENS1_44radix_sort_block_sort_config_static_selectorELNS0_4arch9wavefront6targetE0EEEvSM_,@function
_ZN7rocprim17ROCPRIM_400000_NS6detail17trampoline_kernelINS0_13kernel_configILj256ELj4ELj4294967295EEENS1_37radix_sort_block_sort_config_selectorIjN6thrust23THRUST_200600_302600_NS5tupleIffNS7_9null_typeES9_S9_S9_S9_S9_S9_S9_EEEEZNS1_21radix_sort_block_sortIS4_Lb0ENS7_6detail15normal_iteratorINS7_10device_ptrIjEEEESH_NSE_INSF_ISA_EEEESJ_NS0_19identity_decomposerEEE10hipError_tT1_T2_T3_T4_jRjT5_jjP12ihipStream_tbEUlT_E_NS1_11comp_targetILNS1_3genE2ELNS1_11target_archE906ELNS1_3gpuE6ELNS1_3repE0EEENS1_44radix_sort_block_sort_config_static_selectorELNS0_4arch9wavefront6targetE0EEEvSM_: ; @_ZN7rocprim17ROCPRIM_400000_NS6detail17trampoline_kernelINS0_13kernel_configILj256ELj4ELj4294967295EEENS1_37radix_sort_block_sort_config_selectorIjN6thrust23THRUST_200600_302600_NS5tupleIffNS7_9null_typeES9_S9_S9_S9_S9_S9_S9_EEEEZNS1_21radix_sort_block_sortIS4_Lb0ENS7_6detail15normal_iteratorINS7_10device_ptrIjEEEESH_NSE_INSF_ISA_EEEESJ_NS0_19identity_decomposerEEE10hipError_tT1_T2_T3_T4_jRjT5_jjP12ihipStream_tbEUlT_E_NS1_11comp_targetILNS1_3genE2ELNS1_11target_archE906ELNS1_3gpuE6ELNS1_3repE0EEENS1_44radix_sort_block_sort_config_static_selectorELNS0_4arch9wavefront6targetE0EEEvSM_
; %bb.0:
	.section	.rodata,"a",@progbits
	.p2align	6, 0x0
	.amdhsa_kernel _ZN7rocprim17ROCPRIM_400000_NS6detail17trampoline_kernelINS0_13kernel_configILj256ELj4ELj4294967295EEENS1_37radix_sort_block_sort_config_selectorIjN6thrust23THRUST_200600_302600_NS5tupleIffNS7_9null_typeES9_S9_S9_S9_S9_S9_S9_EEEEZNS1_21radix_sort_block_sortIS4_Lb0ENS7_6detail15normal_iteratorINS7_10device_ptrIjEEEESH_NSE_INSF_ISA_EEEESJ_NS0_19identity_decomposerEEE10hipError_tT1_T2_T3_T4_jRjT5_jjP12ihipStream_tbEUlT_E_NS1_11comp_targetILNS1_3genE2ELNS1_11target_archE906ELNS1_3gpuE6ELNS1_3repE0EEENS1_44radix_sort_block_sort_config_static_selectorELNS0_4arch9wavefront6targetE0EEEvSM_
		.amdhsa_group_segment_fixed_size 0
		.amdhsa_private_segment_fixed_size 0
		.amdhsa_kernarg_size 48
		.amdhsa_user_sgpr_count 2
		.amdhsa_user_sgpr_dispatch_ptr 0
		.amdhsa_user_sgpr_queue_ptr 0
		.amdhsa_user_sgpr_kernarg_segment_ptr 1
		.amdhsa_user_sgpr_dispatch_id 0
		.amdhsa_user_sgpr_kernarg_preload_length 0
		.amdhsa_user_sgpr_kernarg_preload_offset 0
		.amdhsa_user_sgpr_private_segment_size 0
		.amdhsa_wavefront_size32 1
		.amdhsa_uses_dynamic_stack 0
		.amdhsa_enable_private_segment 0
		.amdhsa_system_sgpr_workgroup_id_x 1
		.amdhsa_system_sgpr_workgroup_id_y 0
		.amdhsa_system_sgpr_workgroup_id_z 0
		.amdhsa_system_sgpr_workgroup_info 0
		.amdhsa_system_vgpr_workitem_id 0
		.amdhsa_next_free_vgpr 1
		.amdhsa_next_free_sgpr 1
		.amdhsa_named_barrier_count 0
		.amdhsa_reserve_vcc 0
		.amdhsa_float_round_mode_32 0
		.amdhsa_float_round_mode_16_64 0
		.amdhsa_float_denorm_mode_32 3
		.amdhsa_float_denorm_mode_16_64 3
		.amdhsa_fp16_overflow 0
		.amdhsa_memory_ordered 1
		.amdhsa_forward_progress 1
		.amdhsa_inst_pref_size 0
		.amdhsa_round_robin_scheduling 0
		.amdhsa_exception_fp_ieee_invalid_op 0
		.amdhsa_exception_fp_denorm_src 0
		.amdhsa_exception_fp_ieee_div_zero 0
		.amdhsa_exception_fp_ieee_overflow 0
		.amdhsa_exception_fp_ieee_underflow 0
		.amdhsa_exception_fp_ieee_inexact 0
		.amdhsa_exception_int_div_zero 0
	.end_amdhsa_kernel
	.section	.text._ZN7rocprim17ROCPRIM_400000_NS6detail17trampoline_kernelINS0_13kernel_configILj256ELj4ELj4294967295EEENS1_37radix_sort_block_sort_config_selectorIjN6thrust23THRUST_200600_302600_NS5tupleIffNS7_9null_typeES9_S9_S9_S9_S9_S9_S9_EEEEZNS1_21radix_sort_block_sortIS4_Lb0ENS7_6detail15normal_iteratorINS7_10device_ptrIjEEEESH_NSE_INSF_ISA_EEEESJ_NS0_19identity_decomposerEEE10hipError_tT1_T2_T3_T4_jRjT5_jjP12ihipStream_tbEUlT_E_NS1_11comp_targetILNS1_3genE2ELNS1_11target_archE906ELNS1_3gpuE6ELNS1_3repE0EEENS1_44radix_sort_block_sort_config_static_selectorELNS0_4arch9wavefront6targetE0EEEvSM_,"axG",@progbits,_ZN7rocprim17ROCPRIM_400000_NS6detail17trampoline_kernelINS0_13kernel_configILj256ELj4ELj4294967295EEENS1_37radix_sort_block_sort_config_selectorIjN6thrust23THRUST_200600_302600_NS5tupleIffNS7_9null_typeES9_S9_S9_S9_S9_S9_S9_EEEEZNS1_21radix_sort_block_sortIS4_Lb0ENS7_6detail15normal_iteratorINS7_10device_ptrIjEEEESH_NSE_INSF_ISA_EEEESJ_NS0_19identity_decomposerEEE10hipError_tT1_T2_T3_T4_jRjT5_jjP12ihipStream_tbEUlT_E_NS1_11comp_targetILNS1_3genE2ELNS1_11target_archE906ELNS1_3gpuE6ELNS1_3repE0EEENS1_44radix_sort_block_sort_config_static_selectorELNS0_4arch9wavefront6targetE0EEEvSM_,comdat
.Lfunc_end11:
	.size	_ZN7rocprim17ROCPRIM_400000_NS6detail17trampoline_kernelINS0_13kernel_configILj256ELj4ELj4294967295EEENS1_37radix_sort_block_sort_config_selectorIjN6thrust23THRUST_200600_302600_NS5tupleIffNS7_9null_typeES9_S9_S9_S9_S9_S9_S9_EEEEZNS1_21radix_sort_block_sortIS4_Lb0ENS7_6detail15normal_iteratorINS7_10device_ptrIjEEEESH_NSE_INSF_ISA_EEEESJ_NS0_19identity_decomposerEEE10hipError_tT1_T2_T3_T4_jRjT5_jjP12ihipStream_tbEUlT_E_NS1_11comp_targetILNS1_3genE2ELNS1_11target_archE906ELNS1_3gpuE6ELNS1_3repE0EEENS1_44radix_sort_block_sort_config_static_selectorELNS0_4arch9wavefront6targetE0EEEvSM_, .Lfunc_end11-_ZN7rocprim17ROCPRIM_400000_NS6detail17trampoline_kernelINS0_13kernel_configILj256ELj4ELj4294967295EEENS1_37radix_sort_block_sort_config_selectorIjN6thrust23THRUST_200600_302600_NS5tupleIffNS7_9null_typeES9_S9_S9_S9_S9_S9_S9_EEEEZNS1_21radix_sort_block_sortIS4_Lb0ENS7_6detail15normal_iteratorINS7_10device_ptrIjEEEESH_NSE_INSF_ISA_EEEESJ_NS0_19identity_decomposerEEE10hipError_tT1_T2_T3_T4_jRjT5_jjP12ihipStream_tbEUlT_E_NS1_11comp_targetILNS1_3genE2ELNS1_11target_archE906ELNS1_3gpuE6ELNS1_3repE0EEENS1_44radix_sort_block_sort_config_static_selectorELNS0_4arch9wavefront6targetE0EEEvSM_
                                        ; -- End function
	.set _ZN7rocprim17ROCPRIM_400000_NS6detail17trampoline_kernelINS0_13kernel_configILj256ELj4ELj4294967295EEENS1_37radix_sort_block_sort_config_selectorIjN6thrust23THRUST_200600_302600_NS5tupleIffNS7_9null_typeES9_S9_S9_S9_S9_S9_S9_EEEEZNS1_21radix_sort_block_sortIS4_Lb0ENS7_6detail15normal_iteratorINS7_10device_ptrIjEEEESH_NSE_INSF_ISA_EEEESJ_NS0_19identity_decomposerEEE10hipError_tT1_T2_T3_T4_jRjT5_jjP12ihipStream_tbEUlT_E_NS1_11comp_targetILNS1_3genE2ELNS1_11target_archE906ELNS1_3gpuE6ELNS1_3repE0EEENS1_44radix_sort_block_sort_config_static_selectorELNS0_4arch9wavefront6targetE0EEEvSM_.num_vgpr, 0
	.set _ZN7rocprim17ROCPRIM_400000_NS6detail17trampoline_kernelINS0_13kernel_configILj256ELj4ELj4294967295EEENS1_37radix_sort_block_sort_config_selectorIjN6thrust23THRUST_200600_302600_NS5tupleIffNS7_9null_typeES9_S9_S9_S9_S9_S9_S9_EEEEZNS1_21radix_sort_block_sortIS4_Lb0ENS7_6detail15normal_iteratorINS7_10device_ptrIjEEEESH_NSE_INSF_ISA_EEEESJ_NS0_19identity_decomposerEEE10hipError_tT1_T2_T3_T4_jRjT5_jjP12ihipStream_tbEUlT_E_NS1_11comp_targetILNS1_3genE2ELNS1_11target_archE906ELNS1_3gpuE6ELNS1_3repE0EEENS1_44radix_sort_block_sort_config_static_selectorELNS0_4arch9wavefront6targetE0EEEvSM_.num_agpr, 0
	.set _ZN7rocprim17ROCPRIM_400000_NS6detail17trampoline_kernelINS0_13kernel_configILj256ELj4ELj4294967295EEENS1_37radix_sort_block_sort_config_selectorIjN6thrust23THRUST_200600_302600_NS5tupleIffNS7_9null_typeES9_S9_S9_S9_S9_S9_S9_EEEEZNS1_21radix_sort_block_sortIS4_Lb0ENS7_6detail15normal_iteratorINS7_10device_ptrIjEEEESH_NSE_INSF_ISA_EEEESJ_NS0_19identity_decomposerEEE10hipError_tT1_T2_T3_T4_jRjT5_jjP12ihipStream_tbEUlT_E_NS1_11comp_targetILNS1_3genE2ELNS1_11target_archE906ELNS1_3gpuE6ELNS1_3repE0EEENS1_44radix_sort_block_sort_config_static_selectorELNS0_4arch9wavefront6targetE0EEEvSM_.numbered_sgpr, 0
	.set _ZN7rocprim17ROCPRIM_400000_NS6detail17trampoline_kernelINS0_13kernel_configILj256ELj4ELj4294967295EEENS1_37radix_sort_block_sort_config_selectorIjN6thrust23THRUST_200600_302600_NS5tupleIffNS7_9null_typeES9_S9_S9_S9_S9_S9_S9_EEEEZNS1_21radix_sort_block_sortIS4_Lb0ENS7_6detail15normal_iteratorINS7_10device_ptrIjEEEESH_NSE_INSF_ISA_EEEESJ_NS0_19identity_decomposerEEE10hipError_tT1_T2_T3_T4_jRjT5_jjP12ihipStream_tbEUlT_E_NS1_11comp_targetILNS1_3genE2ELNS1_11target_archE906ELNS1_3gpuE6ELNS1_3repE0EEENS1_44radix_sort_block_sort_config_static_selectorELNS0_4arch9wavefront6targetE0EEEvSM_.num_named_barrier, 0
	.set _ZN7rocprim17ROCPRIM_400000_NS6detail17trampoline_kernelINS0_13kernel_configILj256ELj4ELj4294967295EEENS1_37radix_sort_block_sort_config_selectorIjN6thrust23THRUST_200600_302600_NS5tupleIffNS7_9null_typeES9_S9_S9_S9_S9_S9_S9_EEEEZNS1_21radix_sort_block_sortIS4_Lb0ENS7_6detail15normal_iteratorINS7_10device_ptrIjEEEESH_NSE_INSF_ISA_EEEESJ_NS0_19identity_decomposerEEE10hipError_tT1_T2_T3_T4_jRjT5_jjP12ihipStream_tbEUlT_E_NS1_11comp_targetILNS1_3genE2ELNS1_11target_archE906ELNS1_3gpuE6ELNS1_3repE0EEENS1_44radix_sort_block_sort_config_static_selectorELNS0_4arch9wavefront6targetE0EEEvSM_.private_seg_size, 0
	.set _ZN7rocprim17ROCPRIM_400000_NS6detail17trampoline_kernelINS0_13kernel_configILj256ELj4ELj4294967295EEENS1_37radix_sort_block_sort_config_selectorIjN6thrust23THRUST_200600_302600_NS5tupleIffNS7_9null_typeES9_S9_S9_S9_S9_S9_S9_EEEEZNS1_21radix_sort_block_sortIS4_Lb0ENS7_6detail15normal_iteratorINS7_10device_ptrIjEEEESH_NSE_INSF_ISA_EEEESJ_NS0_19identity_decomposerEEE10hipError_tT1_T2_T3_T4_jRjT5_jjP12ihipStream_tbEUlT_E_NS1_11comp_targetILNS1_3genE2ELNS1_11target_archE906ELNS1_3gpuE6ELNS1_3repE0EEENS1_44radix_sort_block_sort_config_static_selectorELNS0_4arch9wavefront6targetE0EEEvSM_.uses_vcc, 0
	.set _ZN7rocprim17ROCPRIM_400000_NS6detail17trampoline_kernelINS0_13kernel_configILj256ELj4ELj4294967295EEENS1_37radix_sort_block_sort_config_selectorIjN6thrust23THRUST_200600_302600_NS5tupleIffNS7_9null_typeES9_S9_S9_S9_S9_S9_S9_EEEEZNS1_21radix_sort_block_sortIS4_Lb0ENS7_6detail15normal_iteratorINS7_10device_ptrIjEEEESH_NSE_INSF_ISA_EEEESJ_NS0_19identity_decomposerEEE10hipError_tT1_T2_T3_T4_jRjT5_jjP12ihipStream_tbEUlT_E_NS1_11comp_targetILNS1_3genE2ELNS1_11target_archE906ELNS1_3gpuE6ELNS1_3repE0EEENS1_44radix_sort_block_sort_config_static_selectorELNS0_4arch9wavefront6targetE0EEEvSM_.uses_flat_scratch, 0
	.set _ZN7rocprim17ROCPRIM_400000_NS6detail17trampoline_kernelINS0_13kernel_configILj256ELj4ELj4294967295EEENS1_37radix_sort_block_sort_config_selectorIjN6thrust23THRUST_200600_302600_NS5tupleIffNS7_9null_typeES9_S9_S9_S9_S9_S9_S9_EEEEZNS1_21radix_sort_block_sortIS4_Lb0ENS7_6detail15normal_iteratorINS7_10device_ptrIjEEEESH_NSE_INSF_ISA_EEEESJ_NS0_19identity_decomposerEEE10hipError_tT1_T2_T3_T4_jRjT5_jjP12ihipStream_tbEUlT_E_NS1_11comp_targetILNS1_3genE2ELNS1_11target_archE906ELNS1_3gpuE6ELNS1_3repE0EEENS1_44radix_sort_block_sort_config_static_selectorELNS0_4arch9wavefront6targetE0EEEvSM_.has_dyn_sized_stack, 0
	.set _ZN7rocprim17ROCPRIM_400000_NS6detail17trampoline_kernelINS0_13kernel_configILj256ELj4ELj4294967295EEENS1_37radix_sort_block_sort_config_selectorIjN6thrust23THRUST_200600_302600_NS5tupleIffNS7_9null_typeES9_S9_S9_S9_S9_S9_S9_EEEEZNS1_21radix_sort_block_sortIS4_Lb0ENS7_6detail15normal_iteratorINS7_10device_ptrIjEEEESH_NSE_INSF_ISA_EEEESJ_NS0_19identity_decomposerEEE10hipError_tT1_T2_T3_T4_jRjT5_jjP12ihipStream_tbEUlT_E_NS1_11comp_targetILNS1_3genE2ELNS1_11target_archE906ELNS1_3gpuE6ELNS1_3repE0EEENS1_44radix_sort_block_sort_config_static_selectorELNS0_4arch9wavefront6targetE0EEEvSM_.has_recursion, 0
	.set _ZN7rocprim17ROCPRIM_400000_NS6detail17trampoline_kernelINS0_13kernel_configILj256ELj4ELj4294967295EEENS1_37radix_sort_block_sort_config_selectorIjN6thrust23THRUST_200600_302600_NS5tupleIffNS7_9null_typeES9_S9_S9_S9_S9_S9_S9_EEEEZNS1_21radix_sort_block_sortIS4_Lb0ENS7_6detail15normal_iteratorINS7_10device_ptrIjEEEESH_NSE_INSF_ISA_EEEESJ_NS0_19identity_decomposerEEE10hipError_tT1_T2_T3_T4_jRjT5_jjP12ihipStream_tbEUlT_E_NS1_11comp_targetILNS1_3genE2ELNS1_11target_archE906ELNS1_3gpuE6ELNS1_3repE0EEENS1_44radix_sort_block_sort_config_static_selectorELNS0_4arch9wavefront6targetE0EEEvSM_.has_indirect_call, 0
	.section	.AMDGPU.csdata,"",@progbits
; Kernel info:
; codeLenInByte = 0
; TotalNumSgprs: 0
; NumVgprs: 0
; ScratchSize: 0
; MemoryBound: 0
; FloatMode: 240
; IeeeMode: 1
; LDSByteSize: 0 bytes/workgroup (compile time only)
; SGPRBlocks: 0
; VGPRBlocks: 0
; NumSGPRsForWavesPerEU: 1
; NumVGPRsForWavesPerEU: 1
; NamedBarCnt: 0
; Occupancy: 16
; WaveLimiterHint : 0
; COMPUTE_PGM_RSRC2:SCRATCH_EN: 0
; COMPUTE_PGM_RSRC2:USER_SGPR: 2
; COMPUTE_PGM_RSRC2:TRAP_HANDLER: 0
; COMPUTE_PGM_RSRC2:TGID_X_EN: 1
; COMPUTE_PGM_RSRC2:TGID_Y_EN: 0
; COMPUTE_PGM_RSRC2:TGID_Z_EN: 0
; COMPUTE_PGM_RSRC2:TIDIG_COMP_CNT: 0
	.section	.text._ZN7rocprim17ROCPRIM_400000_NS6detail17trampoline_kernelINS0_13kernel_configILj256ELj4ELj4294967295EEENS1_37radix_sort_block_sort_config_selectorIjN6thrust23THRUST_200600_302600_NS5tupleIffNS7_9null_typeES9_S9_S9_S9_S9_S9_S9_EEEEZNS1_21radix_sort_block_sortIS4_Lb0ENS7_6detail15normal_iteratorINS7_10device_ptrIjEEEESH_NSE_INSF_ISA_EEEESJ_NS0_19identity_decomposerEEE10hipError_tT1_T2_T3_T4_jRjT5_jjP12ihipStream_tbEUlT_E_NS1_11comp_targetILNS1_3genE10ELNS1_11target_archE1201ELNS1_3gpuE5ELNS1_3repE0EEENS1_44radix_sort_block_sort_config_static_selectorELNS0_4arch9wavefront6targetE0EEEvSM_,"axG",@progbits,_ZN7rocprim17ROCPRIM_400000_NS6detail17trampoline_kernelINS0_13kernel_configILj256ELj4ELj4294967295EEENS1_37radix_sort_block_sort_config_selectorIjN6thrust23THRUST_200600_302600_NS5tupleIffNS7_9null_typeES9_S9_S9_S9_S9_S9_S9_EEEEZNS1_21radix_sort_block_sortIS4_Lb0ENS7_6detail15normal_iteratorINS7_10device_ptrIjEEEESH_NSE_INSF_ISA_EEEESJ_NS0_19identity_decomposerEEE10hipError_tT1_T2_T3_T4_jRjT5_jjP12ihipStream_tbEUlT_E_NS1_11comp_targetILNS1_3genE10ELNS1_11target_archE1201ELNS1_3gpuE5ELNS1_3repE0EEENS1_44radix_sort_block_sort_config_static_selectorELNS0_4arch9wavefront6targetE0EEEvSM_,comdat
	.protected	_ZN7rocprim17ROCPRIM_400000_NS6detail17trampoline_kernelINS0_13kernel_configILj256ELj4ELj4294967295EEENS1_37radix_sort_block_sort_config_selectorIjN6thrust23THRUST_200600_302600_NS5tupleIffNS7_9null_typeES9_S9_S9_S9_S9_S9_S9_EEEEZNS1_21radix_sort_block_sortIS4_Lb0ENS7_6detail15normal_iteratorINS7_10device_ptrIjEEEESH_NSE_INSF_ISA_EEEESJ_NS0_19identity_decomposerEEE10hipError_tT1_T2_T3_T4_jRjT5_jjP12ihipStream_tbEUlT_E_NS1_11comp_targetILNS1_3genE10ELNS1_11target_archE1201ELNS1_3gpuE5ELNS1_3repE0EEENS1_44radix_sort_block_sort_config_static_selectorELNS0_4arch9wavefront6targetE0EEEvSM_ ; -- Begin function _ZN7rocprim17ROCPRIM_400000_NS6detail17trampoline_kernelINS0_13kernel_configILj256ELj4ELj4294967295EEENS1_37radix_sort_block_sort_config_selectorIjN6thrust23THRUST_200600_302600_NS5tupleIffNS7_9null_typeES9_S9_S9_S9_S9_S9_S9_EEEEZNS1_21radix_sort_block_sortIS4_Lb0ENS7_6detail15normal_iteratorINS7_10device_ptrIjEEEESH_NSE_INSF_ISA_EEEESJ_NS0_19identity_decomposerEEE10hipError_tT1_T2_T3_T4_jRjT5_jjP12ihipStream_tbEUlT_E_NS1_11comp_targetILNS1_3genE10ELNS1_11target_archE1201ELNS1_3gpuE5ELNS1_3repE0EEENS1_44radix_sort_block_sort_config_static_selectorELNS0_4arch9wavefront6targetE0EEEvSM_
	.globl	_ZN7rocprim17ROCPRIM_400000_NS6detail17trampoline_kernelINS0_13kernel_configILj256ELj4ELj4294967295EEENS1_37radix_sort_block_sort_config_selectorIjN6thrust23THRUST_200600_302600_NS5tupleIffNS7_9null_typeES9_S9_S9_S9_S9_S9_S9_EEEEZNS1_21radix_sort_block_sortIS4_Lb0ENS7_6detail15normal_iteratorINS7_10device_ptrIjEEEESH_NSE_INSF_ISA_EEEESJ_NS0_19identity_decomposerEEE10hipError_tT1_T2_T3_T4_jRjT5_jjP12ihipStream_tbEUlT_E_NS1_11comp_targetILNS1_3genE10ELNS1_11target_archE1201ELNS1_3gpuE5ELNS1_3repE0EEENS1_44radix_sort_block_sort_config_static_selectorELNS0_4arch9wavefront6targetE0EEEvSM_
	.p2align	8
	.type	_ZN7rocprim17ROCPRIM_400000_NS6detail17trampoline_kernelINS0_13kernel_configILj256ELj4ELj4294967295EEENS1_37radix_sort_block_sort_config_selectorIjN6thrust23THRUST_200600_302600_NS5tupleIffNS7_9null_typeES9_S9_S9_S9_S9_S9_S9_EEEEZNS1_21radix_sort_block_sortIS4_Lb0ENS7_6detail15normal_iteratorINS7_10device_ptrIjEEEESH_NSE_INSF_ISA_EEEESJ_NS0_19identity_decomposerEEE10hipError_tT1_T2_T3_T4_jRjT5_jjP12ihipStream_tbEUlT_E_NS1_11comp_targetILNS1_3genE10ELNS1_11target_archE1201ELNS1_3gpuE5ELNS1_3repE0EEENS1_44radix_sort_block_sort_config_static_selectorELNS0_4arch9wavefront6targetE0EEEvSM_,@function
_ZN7rocprim17ROCPRIM_400000_NS6detail17trampoline_kernelINS0_13kernel_configILj256ELj4ELj4294967295EEENS1_37radix_sort_block_sort_config_selectorIjN6thrust23THRUST_200600_302600_NS5tupleIffNS7_9null_typeES9_S9_S9_S9_S9_S9_S9_EEEEZNS1_21radix_sort_block_sortIS4_Lb0ENS7_6detail15normal_iteratorINS7_10device_ptrIjEEEESH_NSE_INSF_ISA_EEEESJ_NS0_19identity_decomposerEEE10hipError_tT1_T2_T3_T4_jRjT5_jjP12ihipStream_tbEUlT_E_NS1_11comp_targetILNS1_3genE10ELNS1_11target_archE1201ELNS1_3gpuE5ELNS1_3repE0EEENS1_44radix_sort_block_sort_config_static_selectorELNS0_4arch9wavefront6targetE0EEEvSM_: ; @_ZN7rocprim17ROCPRIM_400000_NS6detail17trampoline_kernelINS0_13kernel_configILj256ELj4ELj4294967295EEENS1_37radix_sort_block_sort_config_selectorIjN6thrust23THRUST_200600_302600_NS5tupleIffNS7_9null_typeES9_S9_S9_S9_S9_S9_S9_EEEEZNS1_21radix_sort_block_sortIS4_Lb0ENS7_6detail15normal_iteratorINS7_10device_ptrIjEEEESH_NSE_INSF_ISA_EEEESJ_NS0_19identity_decomposerEEE10hipError_tT1_T2_T3_T4_jRjT5_jjP12ihipStream_tbEUlT_E_NS1_11comp_targetILNS1_3genE10ELNS1_11target_archE1201ELNS1_3gpuE5ELNS1_3repE0EEENS1_44radix_sort_block_sort_config_static_selectorELNS0_4arch9wavefront6targetE0EEEvSM_
; %bb.0:
	.section	.rodata,"a",@progbits
	.p2align	6, 0x0
	.amdhsa_kernel _ZN7rocprim17ROCPRIM_400000_NS6detail17trampoline_kernelINS0_13kernel_configILj256ELj4ELj4294967295EEENS1_37radix_sort_block_sort_config_selectorIjN6thrust23THRUST_200600_302600_NS5tupleIffNS7_9null_typeES9_S9_S9_S9_S9_S9_S9_EEEEZNS1_21radix_sort_block_sortIS4_Lb0ENS7_6detail15normal_iteratorINS7_10device_ptrIjEEEESH_NSE_INSF_ISA_EEEESJ_NS0_19identity_decomposerEEE10hipError_tT1_T2_T3_T4_jRjT5_jjP12ihipStream_tbEUlT_E_NS1_11comp_targetILNS1_3genE10ELNS1_11target_archE1201ELNS1_3gpuE5ELNS1_3repE0EEENS1_44radix_sort_block_sort_config_static_selectorELNS0_4arch9wavefront6targetE0EEEvSM_
		.amdhsa_group_segment_fixed_size 0
		.amdhsa_private_segment_fixed_size 0
		.amdhsa_kernarg_size 48
		.amdhsa_user_sgpr_count 2
		.amdhsa_user_sgpr_dispatch_ptr 0
		.amdhsa_user_sgpr_queue_ptr 0
		.amdhsa_user_sgpr_kernarg_segment_ptr 1
		.amdhsa_user_sgpr_dispatch_id 0
		.amdhsa_user_sgpr_kernarg_preload_length 0
		.amdhsa_user_sgpr_kernarg_preload_offset 0
		.amdhsa_user_sgpr_private_segment_size 0
		.amdhsa_wavefront_size32 1
		.amdhsa_uses_dynamic_stack 0
		.amdhsa_enable_private_segment 0
		.amdhsa_system_sgpr_workgroup_id_x 1
		.amdhsa_system_sgpr_workgroup_id_y 0
		.amdhsa_system_sgpr_workgroup_id_z 0
		.amdhsa_system_sgpr_workgroup_info 0
		.amdhsa_system_vgpr_workitem_id 0
		.amdhsa_next_free_vgpr 1
		.amdhsa_next_free_sgpr 1
		.amdhsa_named_barrier_count 0
		.amdhsa_reserve_vcc 0
		.amdhsa_float_round_mode_32 0
		.amdhsa_float_round_mode_16_64 0
		.amdhsa_float_denorm_mode_32 3
		.amdhsa_float_denorm_mode_16_64 3
		.amdhsa_fp16_overflow 0
		.amdhsa_memory_ordered 1
		.amdhsa_forward_progress 1
		.amdhsa_inst_pref_size 0
		.amdhsa_round_robin_scheduling 0
		.amdhsa_exception_fp_ieee_invalid_op 0
		.amdhsa_exception_fp_denorm_src 0
		.amdhsa_exception_fp_ieee_div_zero 0
		.amdhsa_exception_fp_ieee_overflow 0
		.amdhsa_exception_fp_ieee_underflow 0
		.amdhsa_exception_fp_ieee_inexact 0
		.amdhsa_exception_int_div_zero 0
	.end_amdhsa_kernel
	.section	.text._ZN7rocprim17ROCPRIM_400000_NS6detail17trampoline_kernelINS0_13kernel_configILj256ELj4ELj4294967295EEENS1_37radix_sort_block_sort_config_selectorIjN6thrust23THRUST_200600_302600_NS5tupleIffNS7_9null_typeES9_S9_S9_S9_S9_S9_S9_EEEEZNS1_21radix_sort_block_sortIS4_Lb0ENS7_6detail15normal_iteratorINS7_10device_ptrIjEEEESH_NSE_INSF_ISA_EEEESJ_NS0_19identity_decomposerEEE10hipError_tT1_T2_T3_T4_jRjT5_jjP12ihipStream_tbEUlT_E_NS1_11comp_targetILNS1_3genE10ELNS1_11target_archE1201ELNS1_3gpuE5ELNS1_3repE0EEENS1_44radix_sort_block_sort_config_static_selectorELNS0_4arch9wavefront6targetE0EEEvSM_,"axG",@progbits,_ZN7rocprim17ROCPRIM_400000_NS6detail17trampoline_kernelINS0_13kernel_configILj256ELj4ELj4294967295EEENS1_37radix_sort_block_sort_config_selectorIjN6thrust23THRUST_200600_302600_NS5tupleIffNS7_9null_typeES9_S9_S9_S9_S9_S9_S9_EEEEZNS1_21radix_sort_block_sortIS4_Lb0ENS7_6detail15normal_iteratorINS7_10device_ptrIjEEEESH_NSE_INSF_ISA_EEEESJ_NS0_19identity_decomposerEEE10hipError_tT1_T2_T3_T4_jRjT5_jjP12ihipStream_tbEUlT_E_NS1_11comp_targetILNS1_3genE10ELNS1_11target_archE1201ELNS1_3gpuE5ELNS1_3repE0EEENS1_44radix_sort_block_sort_config_static_selectorELNS0_4arch9wavefront6targetE0EEEvSM_,comdat
.Lfunc_end12:
	.size	_ZN7rocprim17ROCPRIM_400000_NS6detail17trampoline_kernelINS0_13kernel_configILj256ELj4ELj4294967295EEENS1_37radix_sort_block_sort_config_selectorIjN6thrust23THRUST_200600_302600_NS5tupleIffNS7_9null_typeES9_S9_S9_S9_S9_S9_S9_EEEEZNS1_21radix_sort_block_sortIS4_Lb0ENS7_6detail15normal_iteratorINS7_10device_ptrIjEEEESH_NSE_INSF_ISA_EEEESJ_NS0_19identity_decomposerEEE10hipError_tT1_T2_T3_T4_jRjT5_jjP12ihipStream_tbEUlT_E_NS1_11comp_targetILNS1_3genE10ELNS1_11target_archE1201ELNS1_3gpuE5ELNS1_3repE0EEENS1_44radix_sort_block_sort_config_static_selectorELNS0_4arch9wavefront6targetE0EEEvSM_, .Lfunc_end12-_ZN7rocprim17ROCPRIM_400000_NS6detail17trampoline_kernelINS0_13kernel_configILj256ELj4ELj4294967295EEENS1_37radix_sort_block_sort_config_selectorIjN6thrust23THRUST_200600_302600_NS5tupleIffNS7_9null_typeES9_S9_S9_S9_S9_S9_S9_EEEEZNS1_21radix_sort_block_sortIS4_Lb0ENS7_6detail15normal_iteratorINS7_10device_ptrIjEEEESH_NSE_INSF_ISA_EEEESJ_NS0_19identity_decomposerEEE10hipError_tT1_T2_T3_T4_jRjT5_jjP12ihipStream_tbEUlT_E_NS1_11comp_targetILNS1_3genE10ELNS1_11target_archE1201ELNS1_3gpuE5ELNS1_3repE0EEENS1_44radix_sort_block_sort_config_static_selectorELNS0_4arch9wavefront6targetE0EEEvSM_
                                        ; -- End function
	.set _ZN7rocprim17ROCPRIM_400000_NS6detail17trampoline_kernelINS0_13kernel_configILj256ELj4ELj4294967295EEENS1_37radix_sort_block_sort_config_selectorIjN6thrust23THRUST_200600_302600_NS5tupleIffNS7_9null_typeES9_S9_S9_S9_S9_S9_S9_EEEEZNS1_21radix_sort_block_sortIS4_Lb0ENS7_6detail15normal_iteratorINS7_10device_ptrIjEEEESH_NSE_INSF_ISA_EEEESJ_NS0_19identity_decomposerEEE10hipError_tT1_T2_T3_T4_jRjT5_jjP12ihipStream_tbEUlT_E_NS1_11comp_targetILNS1_3genE10ELNS1_11target_archE1201ELNS1_3gpuE5ELNS1_3repE0EEENS1_44radix_sort_block_sort_config_static_selectorELNS0_4arch9wavefront6targetE0EEEvSM_.num_vgpr, 0
	.set _ZN7rocprim17ROCPRIM_400000_NS6detail17trampoline_kernelINS0_13kernel_configILj256ELj4ELj4294967295EEENS1_37radix_sort_block_sort_config_selectorIjN6thrust23THRUST_200600_302600_NS5tupleIffNS7_9null_typeES9_S9_S9_S9_S9_S9_S9_EEEEZNS1_21radix_sort_block_sortIS4_Lb0ENS7_6detail15normal_iteratorINS7_10device_ptrIjEEEESH_NSE_INSF_ISA_EEEESJ_NS0_19identity_decomposerEEE10hipError_tT1_T2_T3_T4_jRjT5_jjP12ihipStream_tbEUlT_E_NS1_11comp_targetILNS1_3genE10ELNS1_11target_archE1201ELNS1_3gpuE5ELNS1_3repE0EEENS1_44radix_sort_block_sort_config_static_selectorELNS0_4arch9wavefront6targetE0EEEvSM_.num_agpr, 0
	.set _ZN7rocprim17ROCPRIM_400000_NS6detail17trampoline_kernelINS0_13kernel_configILj256ELj4ELj4294967295EEENS1_37radix_sort_block_sort_config_selectorIjN6thrust23THRUST_200600_302600_NS5tupleIffNS7_9null_typeES9_S9_S9_S9_S9_S9_S9_EEEEZNS1_21radix_sort_block_sortIS4_Lb0ENS7_6detail15normal_iteratorINS7_10device_ptrIjEEEESH_NSE_INSF_ISA_EEEESJ_NS0_19identity_decomposerEEE10hipError_tT1_T2_T3_T4_jRjT5_jjP12ihipStream_tbEUlT_E_NS1_11comp_targetILNS1_3genE10ELNS1_11target_archE1201ELNS1_3gpuE5ELNS1_3repE0EEENS1_44radix_sort_block_sort_config_static_selectorELNS0_4arch9wavefront6targetE0EEEvSM_.numbered_sgpr, 0
	.set _ZN7rocprim17ROCPRIM_400000_NS6detail17trampoline_kernelINS0_13kernel_configILj256ELj4ELj4294967295EEENS1_37radix_sort_block_sort_config_selectorIjN6thrust23THRUST_200600_302600_NS5tupleIffNS7_9null_typeES9_S9_S9_S9_S9_S9_S9_EEEEZNS1_21radix_sort_block_sortIS4_Lb0ENS7_6detail15normal_iteratorINS7_10device_ptrIjEEEESH_NSE_INSF_ISA_EEEESJ_NS0_19identity_decomposerEEE10hipError_tT1_T2_T3_T4_jRjT5_jjP12ihipStream_tbEUlT_E_NS1_11comp_targetILNS1_3genE10ELNS1_11target_archE1201ELNS1_3gpuE5ELNS1_3repE0EEENS1_44radix_sort_block_sort_config_static_selectorELNS0_4arch9wavefront6targetE0EEEvSM_.num_named_barrier, 0
	.set _ZN7rocprim17ROCPRIM_400000_NS6detail17trampoline_kernelINS0_13kernel_configILj256ELj4ELj4294967295EEENS1_37radix_sort_block_sort_config_selectorIjN6thrust23THRUST_200600_302600_NS5tupleIffNS7_9null_typeES9_S9_S9_S9_S9_S9_S9_EEEEZNS1_21radix_sort_block_sortIS4_Lb0ENS7_6detail15normal_iteratorINS7_10device_ptrIjEEEESH_NSE_INSF_ISA_EEEESJ_NS0_19identity_decomposerEEE10hipError_tT1_T2_T3_T4_jRjT5_jjP12ihipStream_tbEUlT_E_NS1_11comp_targetILNS1_3genE10ELNS1_11target_archE1201ELNS1_3gpuE5ELNS1_3repE0EEENS1_44radix_sort_block_sort_config_static_selectorELNS0_4arch9wavefront6targetE0EEEvSM_.private_seg_size, 0
	.set _ZN7rocprim17ROCPRIM_400000_NS6detail17trampoline_kernelINS0_13kernel_configILj256ELj4ELj4294967295EEENS1_37radix_sort_block_sort_config_selectorIjN6thrust23THRUST_200600_302600_NS5tupleIffNS7_9null_typeES9_S9_S9_S9_S9_S9_S9_EEEEZNS1_21radix_sort_block_sortIS4_Lb0ENS7_6detail15normal_iteratorINS7_10device_ptrIjEEEESH_NSE_INSF_ISA_EEEESJ_NS0_19identity_decomposerEEE10hipError_tT1_T2_T3_T4_jRjT5_jjP12ihipStream_tbEUlT_E_NS1_11comp_targetILNS1_3genE10ELNS1_11target_archE1201ELNS1_3gpuE5ELNS1_3repE0EEENS1_44radix_sort_block_sort_config_static_selectorELNS0_4arch9wavefront6targetE0EEEvSM_.uses_vcc, 0
	.set _ZN7rocprim17ROCPRIM_400000_NS6detail17trampoline_kernelINS0_13kernel_configILj256ELj4ELj4294967295EEENS1_37radix_sort_block_sort_config_selectorIjN6thrust23THRUST_200600_302600_NS5tupleIffNS7_9null_typeES9_S9_S9_S9_S9_S9_S9_EEEEZNS1_21radix_sort_block_sortIS4_Lb0ENS7_6detail15normal_iteratorINS7_10device_ptrIjEEEESH_NSE_INSF_ISA_EEEESJ_NS0_19identity_decomposerEEE10hipError_tT1_T2_T3_T4_jRjT5_jjP12ihipStream_tbEUlT_E_NS1_11comp_targetILNS1_3genE10ELNS1_11target_archE1201ELNS1_3gpuE5ELNS1_3repE0EEENS1_44radix_sort_block_sort_config_static_selectorELNS0_4arch9wavefront6targetE0EEEvSM_.uses_flat_scratch, 0
	.set _ZN7rocprim17ROCPRIM_400000_NS6detail17trampoline_kernelINS0_13kernel_configILj256ELj4ELj4294967295EEENS1_37radix_sort_block_sort_config_selectorIjN6thrust23THRUST_200600_302600_NS5tupleIffNS7_9null_typeES9_S9_S9_S9_S9_S9_S9_EEEEZNS1_21radix_sort_block_sortIS4_Lb0ENS7_6detail15normal_iteratorINS7_10device_ptrIjEEEESH_NSE_INSF_ISA_EEEESJ_NS0_19identity_decomposerEEE10hipError_tT1_T2_T3_T4_jRjT5_jjP12ihipStream_tbEUlT_E_NS1_11comp_targetILNS1_3genE10ELNS1_11target_archE1201ELNS1_3gpuE5ELNS1_3repE0EEENS1_44radix_sort_block_sort_config_static_selectorELNS0_4arch9wavefront6targetE0EEEvSM_.has_dyn_sized_stack, 0
	.set _ZN7rocprim17ROCPRIM_400000_NS6detail17trampoline_kernelINS0_13kernel_configILj256ELj4ELj4294967295EEENS1_37radix_sort_block_sort_config_selectorIjN6thrust23THRUST_200600_302600_NS5tupleIffNS7_9null_typeES9_S9_S9_S9_S9_S9_S9_EEEEZNS1_21radix_sort_block_sortIS4_Lb0ENS7_6detail15normal_iteratorINS7_10device_ptrIjEEEESH_NSE_INSF_ISA_EEEESJ_NS0_19identity_decomposerEEE10hipError_tT1_T2_T3_T4_jRjT5_jjP12ihipStream_tbEUlT_E_NS1_11comp_targetILNS1_3genE10ELNS1_11target_archE1201ELNS1_3gpuE5ELNS1_3repE0EEENS1_44radix_sort_block_sort_config_static_selectorELNS0_4arch9wavefront6targetE0EEEvSM_.has_recursion, 0
	.set _ZN7rocprim17ROCPRIM_400000_NS6detail17trampoline_kernelINS0_13kernel_configILj256ELj4ELj4294967295EEENS1_37radix_sort_block_sort_config_selectorIjN6thrust23THRUST_200600_302600_NS5tupleIffNS7_9null_typeES9_S9_S9_S9_S9_S9_S9_EEEEZNS1_21radix_sort_block_sortIS4_Lb0ENS7_6detail15normal_iteratorINS7_10device_ptrIjEEEESH_NSE_INSF_ISA_EEEESJ_NS0_19identity_decomposerEEE10hipError_tT1_T2_T3_T4_jRjT5_jjP12ihipStream_tbEUlT_E_NS1_11comp_targetILNS1_3genE10ELNS1_11target_archE1201ELNS1_3gpuE5ELNS1_3repE0EEENS1_44radix_sort_block_sort_config_static_selectorELNS0_4arch9wavefront6targetE0EEEvSM_.has_indirect_call, 0
	.section	.AMDGPU.csdata,"",@progbits
; Kernel info:
; codeLenInByte = 0
; TotalNumSgprs: 0
; NumVgprs: 0
; ScratchSize: 0
; MemoryBound: 0
; FloatMode: 240
; IeeeMode: 1
; LDSByteSize: 0 bytes/workgroup (compile time only)
; SGPRBlocks: 0
; VGPRBlocks: 0
; NumSGPRsForWavesPerEU: 1
; NumVGPRsForWavesPerEU: 1
; NamedBarCnt: 0
; Occupancy: 16
; WaveLimiterHint : 0
; COMPUTE_PGM_RSRC2:SCRATCH_EN: 0
; COMPUTE_PGM_RSRC2:USER_SGPR: 2
; COMPUTE_PGM_RSRC2:TRAP_HANDLER: 0
; COMPUTE_PGM_RSRC2:TGID_X_EN: 1
; COMPUTE_PGM_RSRC2:TGID_Y_EN: 0
; COMPUTE_PGM_RSRC2:TGID_Z_EN: 0
; COMPUTE_PGM_RSRC2:TIDIG_COMP_CNT: 0
	.section	.text._ZN7rocprim17ROCPRIM_400000_NS6detail17trampoline_kernelINS0_13kernel_configILj256ELj4ELj4294967295EEENS1_37radix_sort_block_sort_config_selectorIjN6thrust23THRUST_200600_302600_NS5tupleIffNS7_9null_typeES9_S9_S9_S9_S9_S9_S9_EEEEZNS1_21radix_sort_block_sortIS4_Lb0ENS7_6detail15normal_iteratorINS7_10device_ptrIjEEEESH_NSE_INSF_ISA_EEEESJ_NS0_19identity_decomposerEEE10hipError_tT1_T2_T3_T4_jRjT5_jjP12ihipStream_tbEUlT_E_NS1_11comp_targetILNS1_3genE10ELNS1_11target_archE1200ELNS1_3gpuE4ELNS1_3repE0EEENS1_44radix_sort_block_sort_config_static_selectorELNS0_4arch9wavefront6targetE0EEEvSM_,"axG",@progbits,_ZN7rocprim17ROCPRIM_400000_NS6detail17trampoline_kernelINS0_13kernel_configILj256ELj4ELj4294967295EEENS1_37radix_sort_block_sort_config_selectorIjN6thrust23THRUST_200600_302600_NS5tupleIffNS7_9null_typeES9_S9_S9_S9_S9_S9_S9_EEEEZNS1_21radix_sort_block_sortIS4_Lb0ENS7_6detail15normal_iteratorINS7_10device_ptrIjEEEESH_NSE_INSF_ISA_EEEESJ_NS0_19identity_decomposerEEE10hipError_tT1_T2_T3_T4_jRjT5_jjP12ihipStream_tbEUlT_E_NS1_11comp_targetILNS1_3genE10ELNS1_11target_archE1200ELNS1_3gpuE4ELNS1_3repE0EEENS1_44radix_sort_block_sort_config_static_selectorELNS0_4arch9wavefront6targetE0EEEvSM_,comdat
	.protected	_ZN7rocprim17ROCPRIM_400000_NS6detail17trampoline_kernelINS0_13kernel_configILj256ELj4ELj4294967295EEENS1_37radix_sort_block_sort_config_selectorIjN6thrust23THRUST_200600_302600_NS5tupleIffNS7_9null_typeES9_S9_S9_S9_S9_S9_S9_EEEEZNS1_21radix_sort_block_sortIS4_Lb0ENS7_6detail15normal_iteratorINS7_10device_ptrIjEEEESH_NSE_INSF_ISA_EEEESJ_NS0_19identity_decomposerEEE10hipError_tT1_T2_T3_T4_jRjT5_jjP12ihipStream_tbEUlT_E_NS1_11comp_targetILNS1_3genE10ELNS1_11target_archE1200ELNS1_3gpuE4ELNS1_3repE0EEENS1_44radix_sort_block_sort_config_static_selectorELNS0_4arch9wavefront6targetE0EEEvSM_ ; -- Begin function _ZN7rocprim17ROCPRIM_400000_NS6detail17trampoline_kernelINS0_13kernel_configILj256ELj4ELj4294967295EEENS1_37radix_sort_block_sort_config_selectorIjN6thrust23THRUST_200600_302600_NS5tupleIffNS7_9null_typeES9_S9_S9_S9_S9_S9_S9_EEEEZNS1_21radix_sort_block_sortIS4_Lb0ENS7_6detail15normal_iteratorINS7_10device_ptrIjEEEESH_NSE_INSF_ISA_EEEESJ_NS0_19identity_decomposerEEE10hipError_tT1_T2_T3_T4_jRjT5_jjP12ihipStream_tbEUlT_E_NS1_11comp_targetILNS1_3genE10ELNS1_11target_archE1200ELNS1_3gpuE4ELNS1_3repE0EEENS1_44radix_sort_block_sort_config_static_selectorELNS0_4arch9wavefront6targetE0EEEvSM_
	.globl	_ZN7rocprim17ROCPRIM_400000_NS6detail17trampoline_kernelINS0_13kernel_configILj256ELj4ELj4294967295EEENS1_37radix_sort_block_sort_config_selectorIjN6thrust23THRUST_200600_302600_NS5tupleIffNS7_9null_typeES9_S9_S9_S9_S9_S9_S9_EEEEZNS1_21radix_sort_block_sortIS4_Lb0ENS7_6detail15normal_iteratorINS7_10device_ptrIjEEEESH_NSE_INSF_ISA_EEEESJ_NS0_19identity_decomposerEEE10hipError_tT1_T2_T3_T4_jRjT5_jjP12ihipStream_tbEUlT_E_NS1_11comp_targetILNS1_3genE10ELNS1_11target_archE1200ELNS1_3gpuE4ELNS1_3repE0EEENS1_44radix_sort_block_sort_config_static_selectorELNS0_4arch9wavefront6targetE0EEEvSM_
	.p2align	8
	.type	_ZN7rocprim17ROCPRIM_400000_NS6detail17trampoline_kernelINS0_13kernel_configILj256ELj4ELj4294967295EEENS1_37radix_sort_block_sort_config_selectorIjN6thrust23THRUST_200600_302600_NS5tupleIffNS7_9null_typeES9_S9_S9_S9_S9_S9_S9_EEEEZNS1_21radix_sort_block_sortIS4_Lb0ENS7_6detail15normal_iteratorINS7_10device_ptrIjEEEESH_NSE_INSF_ISA_EEEESJ_NS0_19identity_decomposerEEE10hipError_tT1_T2_T3_T4_jRjT5_jjP12ihipStream_tbEUlT_E_NS1_11comp_targetILNS1_3genE10ELNS1_11target_archE1200ELNS1_3gpuE4ELNS1_3repE0EEENS1_44radix_sort_block_sort_config_static_selectorELNS0_4arch9wavefront6targetE0EEEvSM_,@function
_ZN7rocprim17ROCPRIM_400000_NS6detail17trampoline_kernelINS0_13kernel_configILj256ELj4ELj4294967295EEENS1_37radix_sort_block_sort_config_selectorIjN6thrust23THRUST_200600_302600_NS5tupleIffNS7_9null_typeES9_S9_S9_S9_S9_S9_S9_EEEEZNS1_21radix_sort_block_sortIS4_Lb0ENS7_6detail15normal_iteratorINS7_10device_ptrIjEEEESH_NSE_INSF_ISA_EEEESJ_NS0_19identity_decomposerEEE10hipError_tT1_T2_T3_T4_jRjT5_jjP12ihipStream_tbEUlT_E_NS1_11comp_targetILNS1_3genE10ELNS1_11target_archE1200ELNS1_3gpuE4ELNS1_3repE0EEENS1_44radix_sort_block_sort_config_static_selectorELNS0_4arch9wavefront6targetE0EEEvSM_: ; @_ZN7rocprim17ROCPRIM_400000_NS6detail17trampoline_kernelINS0_13kernel_configILj256ELj4ELj4294967295EEENS1_37radix_sort_block_sort_config_selectorIjN6thrust23THRUST_200600_302600_NS5tupleIffNS7_9null_typeES9_S9_S9_S9_S9_S9_S9_EEEEZNS1_21radix_sort_block_sortIS4_Lb0ENS7_6detail15normal_iteratorINS7_10device_ptrIjEEEESH_NSE_INSF_ISA_EEEESJ_NS0_19identity_decomposerEEE10hipError_tT1_T2_T3_T4_jRjT5_jjP12ihipStream_tbEUlT_E_NS1_11comp_targetILNS1_3genE10ELNS1_11target_archE1200ELNS1_3gpuE4ELNS1_3repE0EEENS1_44radix_sort_block_sort_config_static_selectorELNS0_4arch9wavefront6targetE0EEEvSM_
; %bb.0:
	.section	.rodata,"a",@progbits
	.p2align	6, 0x0
	.amdhsa_kernel _ZN7rocprim17ROCPRIM_400000_NS6detail17trampoline_kernelINS0_13kernel_configILj256ELj4ELj4294967295EEENS1_37radix_sort_block_sort_config_selectorIjN6thrust23THRUST_200600_302600_NS5tupleIffNS7_9null_typeES9_S9_S9_S9_S9_S9_S9_EEEEZNS1_21radix_sort_block_sortIS4_Lb0ENS7_6detail15normal_iteratorINS7_10device_ptrIjEEEESH_NSE_INSF_ISA_EEEESJ_NS0_19identity_decomposerEEE10hipError_tT1_T2_T3_T4_jRjT5_jjP12ihipStream_tbEUlT_E_NS1_11comp_targetILNS1_3genE10ELNS1_11target_archE1200ELNS1_3gpuE4ELNS1_3repE0EEENS1_44radix_sort_block_sort_config_static_selectorELNS0_4arch9wavefront6targetE0EEEvSM_
		.amdhsa_group_segment_fixed_size 0
		.amdhsa_private_segment_fixed_size 0
		.amdhsa_kernarg_size 48
		.amdhsa_user_sgpr_count 2
		.amdhsa_user_sgpr_dispatch_ptr 0
		.amdhsa_user_sgpr_queue_ptr 0
		.amdhsa_user_sgpr_kernarg_segment_ptr 1
		.amdhsa_user_sgpr_dispatch_id 0
		.amdhsa_user_sgpr_kernarg_preload_length 0
		.amdhsa_user_sgpr_kernarg_preload_offset 0
		.amdhsa_user_sgpr_private_segment_size 0
		.amdhsa_wavefront_size32 1
		.amdhsa_uses_dynamic_stack 0
		.amdhsa_enable_private_segment 0
		.amdhsa_system_sgpr_workgroup_id_x 1
		.amdhsa_system_sgpr_workgroup_id_y 0
		.amdhsa_system_sgpr_workgroup_id_z 0
		.amdhsa_system_sgpr_workgroup_info 0
		.amdhsa_system_vgpr_workitem_id 0
		.amdhsa_next_free_vgpr 1
		.amdhsa_next_free_sgpr 1
		.amdhsa_named_barrier_count 0
		.amdhsa_reserve_vcc 0
		.amdhsa_float_round_mode_32 0
		.amdhsa_float_round_mode_16_64 0
		.amdhsa_float_denorm_mode_32 3
		.amdhsa_float_denorm_mode_16_64 3
		.amdhsa_fp16_overflow 0
		.amdhsa_memory_ordered 1
		.amdhsa_forward_progress 1
		.amdhsa_inst_pref_size 0
		.amdhsa_round_robin_scheduling 0
		.amdhsa_exception_fp_ieee_invalid_op 0
		.amdhsa_exception_fp_denorm_src 0
		.amdhsa_exception_fp_ieee_div_zero 0
		.amdhsa_exception_fp_ieee_overflow 0
		.amdhsa_exception_fp_ieee_underflow 0
		.amdhsa_exception_fp_ieee_inexact 0
		.amdhsa_exception_int_div_zero 0
	.end_amdhsa_kernel
	.section	.text._ZN7rocprim17ROCPRIM_400000_NS6detail17trampoline_kernelINS0_13kernel_configILj256ELj4ELj4294967295EEENS1_37radix_sort_block_sort_config_selectorIjN6thrust23THRUST_200600_302600_NS5tupleIffNS7_9null_typeES9_S9_S9_S9_S9_S9_S9_EEEEZNS1_21radix_sort_block_sortIS4_Lb0ENS7_6detail15normal_iteratorINS7_10device_ptrIjEEEESH_NSE_INSF_ISA_EEEESJ_NS0_19identity_decomposerEEE10hipError_tT1_T2_T3_T4_jRjT5_jjP12ihipStream_tbEUlT_E_NS1_11comp_targetILNS1_3genE10ELNS1_11target_archE1200ELNS1_3gpuE4ELNS1_3repE0EEENS1_44radix_sort_block_sort_config_static_selectorELNS0_4arch9wavefront6targetE0EEEvSM_,"axG",@progbits,_ZN7rocprim17ROCPRIM_400000_NS6detail17trampoline_kernelINS0_13kernel_configILj256ELj4ELj4294967295EEENS1_37radix_sort_block_sort_config_selectorIjN6thrust23THRUST_200600_302600_NS5tupleIffNS7_9null_typeES9_S9_S9_S9_S9_S9_S9_EEEEZNS1_21radix_sort_block_sortIS4_Lb0ENS7_6detail15normal_iteratorINS7_10device_ptrIjEEEESH_NSE_INSF_ISA_EEEESJ_NS0_19identity_decomposerEEE10hipError_tT1_T2_T3_T4_jRjT5_jjP12ihipStream_tbEUlT_E_NS1_11comp_targetILNS1_3genE10ELNS1_11target_archE1200ELNS1_3gpuE4ELNS1_3repE0EEENS1_44radix_sort_block_sort_config_static_selectorELNS0_4arch9wavefront6targetE0EEEvSM_,comdat
.Lfunc_end13:
	.size	_ZN7rocprim17ROCPRIM_400000_NS6detail17trampoline_kernelINS0_13kernel_configILj256ELj4ELj4294967295EEENS1_37radix_sort_block_sort_config_selectorIjN6thrust23THRUST_200600_302600_NS5tupleIffNS7_9null_typeES9_S9_S9_S9_S9_S9_S9_EEEEZNS1_21radix_sort_block_sortIS4_Lb0ENS7_6detail15normal_iteratorINS7_10device_ptrIjEEEESH_NSE_INSF_ISA_EEEESJ_NS0_19identity_decomposerEEE10hipError_tT1_T2_T3_T4_jRjT5_jjP12ihipStream_tbEUlT_E_NS1_11comp_targetILNS1_3genE10ELNS1_11target_archE1200ELNS1_3gpuE4ELNS1_3repE0EEENS1_44radix_sort_block_sort_config_static_selectorELNS0_4arch9wavefront6targetE0EEEvSM_, .Lfunc_end13-_ZN7rocprim17ROCPRIM_400000_NS6detail17trampoline_kernelINS0_13kernel_configILj256ELj4ELj4294967295EEENS1_37radix_sort_block_sort_config_selectorIjN6thrust23THRUST_200600_302600_NS5tupleIffNS7_9null_typeES9_S9_S9_S9_S9_S9_S9_EEEEZNS1_21radix_sort_block_sortIS4_Lb0ENS7_6detail15normal_iteratorINS7_10device_ptrIjEEEESH_NSE_INSF_ISA_EEEESJ_NS0_19identity_decomposerEEE10hipError_tT1_T2_T3_T4_jRjT5_jjP12ihipStream_tbEUlT_E_NS1_11comp_targetILNS1_3genE10ELNS1_11target_archE1200ELNS1_3gpuE4ELNS1_3repE0EEENS1_44radix_sort_block_sort_config_static_selectorELNS0_4arch9wavefront6targetE0EEEvSM_
                                        ; -- End function
	.set _ZN7rocprim17ROCPRIM_400000_NS6detail17trampoline_kernelINS0_13kernel_configILj256ELj4ELj4294967295EEENS1_37radix_sort_block_sort_config_selectorIjN6thrust23THRUST_200600_302600_NS5tupleIffNS7_9null_typeES9_S9_S9_S9_S9_S9_S9_EEEEZNS1_21radix_sort_block_sortIS4_Lb0ENS7_6detail15normal_iteratorINS7_10device_ptrIjEEEESH_NSE_INSF_ISA_EEEESJ_NS0_19identity_decomposerEEE10hipError_tT1_T2_T3_T4_jRjT5_jjP12ihipStream_tbEUlT_E_NS1_11comp_targetILNS1_3genE10ELNS1_11target_archE1200ELNS1_3gpuE4ELNS1_3repE0EEENS1_44radix_sort_block_sort_config_static_selectorELNS0_4arch9wavefront6targetE0EEEvSM_.num_vgpr, 0
	.set _ZN7rocprim17ROCPRIM_400000_NS6detail17trampoline_kernelINS0_13kernel_configILj256ELj4ELj4294967295EEENS1_37radix_sort_block_sort_config_selectorIjN6thrust23THRUST_200600_302600_NS5tupleIffNS7_9null_typeES9_S9_S9_S9_S9_S9_S9_EEEEZNS1_21radix_sort_block_sortIS4_Lb0ENS7_6detail15normal_iteratorINS7_10device_ptrIjEEEESH_NSE_INSF_ISA_EEEESJ_NS0_19identity_decomposerEEE10hipError_tT1_T2_T3_T4_jRjT5_jjP12ihipStream_tbEUlT_E_NS1_11comp_targetILNS1_3genE10ELNS1_11target_archE1200ELNS1_3gpuE4ELNS1_3repE0EEENS1_44radix_sort_block_sort_config_static_selectorELNS0_4arch9wavefront6targetE0EEEvSM_.num_agpr, 0
	.set _ZN7rocprim17ROCPRIM_400000_NS6detail17trampoline_kernelINS0_13kernel_configILj256ELj4ELj4294967295EEENS1_37radix_sort_block_sort_config_selectorIjN6thrust23THRUST_200600_302600_NS5tupleIffNS7_9null_typeES9_S9_S9_S9_S9_S9_S9_EEEEZNS1_21radix_sort_block_sortIS4_Lb0ENS7_6detail15normal_iteratorINS7_10device_ptrIjEEEESH_NSE_INSF_ISA_EEEESJ_NS0_19identity_decomposerEEE10hipError_tT1_T2_T3_T4_jRjT5_jjP12ihipStream_tbEUlT_E_NS1_11comp_targetILNS1_3genE10ELNS1_11target_archE1200ELNS1_3gpuE4ELNS1_3repE0EEENS1_44radix_sort_block_sort_config_static_selectorELNS0_4arch9wavefront6targetE0EEEvSM_.numbered_sgpr, 0
	.set _ZN7rocprim17ROCPRIM_400000_NS6detail17trampoline_kernelINS0_13kernel_configILj256ELj4ELj4294967295EEENS1_37radix_sort_block_sort_config_selectorIjN6thrust23THRUST_200600_302600_NS5tupleIffNS7_9null_typeES9_S9_S9_S9_S9_S9_S9_EEEEZNS1_21radix_sort_block_sortIS4_Lb0ENS7_6detail15normal_iteratorINS7_10device_ptrIjEEEESH_NSE_INSF_ISA_EEEESJ_NS0_19identity_decomposerEEE10hipError_tT1_T2_T3_T4_jRjT5_jjP12ihipStream_tbEUlT_E_NS1_11comp_targetILNS1_3genE10ELNS1_11target_archE1200ELNS1_3gpuE4ELNS1_3repE0EEENS1_44radix_sort_block_sort_config_static_selectorELNS0_4arch9wavefront6targetE0EEEvSM_.num_named_barrier, 0
	.set _ZN7rocprim17ROCPRIM_400000_NS6detail17trampoline_kernelINS0_13kernel_configILj256ELj4ELj4294967295EEENS1_37radix_sort_block_sort_config_selectorIjN6thrust23THRUST_200600_302600_NS5tupleIffNS7_9null_typeES9_S9_S9_S9_S9_S9_S9_EEEEZNS1_21radix_sort_block_sortIS4_Lb0ENS7_6detail15normal_iteratorINS7_10device_ptrIjEEEESH_NSE_INSF_ISA_EEEESJ_NS0_19identity_decomposerEEE10hipError_tT1_T2_T3_T4_jRjT5_jjP12ihipStream_tbEUlT_E_NS1_11comp_targetILNS1_3genE10ELNS1_11target_archE1200ELNS1_3gpuE4ELNS1_3repE0EEENS1_44radix_sort_block_sort_config_static_selectorELNS0_4arch9wavefront6targetE0EEEvSM_.private_seg_size, 0
	.set _ZN7rocprim17ROCPRIM_400000_NS6detail17trampoline_kernelINS0_13kernel_configILj256ELj4ELj4294967295EEENS1_37radix_sort_block_sort_config_selectorIjN6thrust23THRUST_200600_302600_NS5tupleIffNS7_9null_typeES9_S9_S9_S9_S9_S9_S9_EEEEZNS1_21radix_sort_block_sortIS4_Lb0ENS7_6detail15normal_iteratorINS7_10device_ptrIjEEEESH_NSE_INSF_ISA_EEEESJ_NS0_19identity_decomposerEEE10hipError_tT1_T2_T3_T4_jRjT5_jjP12ihipStream_tbEUlT_E_NS1_11comp_targetILNS1_3genE10ELNS1_11target_archE1200ELNS1_3gpuE4ELNS1_3repE0EEENS1_44radix_sort_block_sort_config_static_selectorELNS0_4arch9wavefront6targetE0EEEvSM_.uses_vcc, 0
	.set _ZN7rocprim17ROCPRIM_400000_NS6detail17trampoline_kernelINS0_13kernel_configILj256ELj4ELj4294967295EEENS1_37radix_sort_block_sort_config_selectorIjN6thrust23THRUST_200600_302600_NS5tupleIffNS7_9null_typeES9_S9_S9_S9_S9_S9_S9_EEEEZNS1_21radix_sort_block_sortIS4_Lb0ENS7_6detail15normal_iteratorINS7_10device_ptrIjEEEESH_NSE_INSF_ISA_EEEESJ_NS0_19identity_decomposerEEE10hipError_tT1_T2_T3_T4_jRjT5_jjP12ihipStream_tbEUlT_E_NS1_11comp_targetILNS1_3genE10ELNS1_11target_archE1200ELNS1_3gpuE4ELNS1_3repE0EEENS1_44radix_sort_block_sort_config_static_selectorELNS0_4arch9wavefront6targetE0EEEvSM_.uses_flat_scratch, 0
	.set _ZN7rocprim17ROCPRIM_400000_NS6detail17trampoline_kernelINS0_13kernel_configILj256ELj4ELj4294967295EEENS1_37radix_sort_block_sort_config_selectorIjN6thrust23THRUST_200600_302600_NS5tupleIffNS7_9null_typeES9_S9_S9_S9_S9_S9_S9_EEEEZNS1_21radix_sort_block_sortIS4_Lb0ENS7_6detail15normal_iteratorINS7_10device_ptrIjEEEESH_NSE_INSF_ISA_EEEESJ_NS0_19identity_decomposerEEE10hipError_tT1_T2_T3_T4_jRjT5_jjP12ihipStream_tbEUlT_E_NS1_11comp_targetILNS1_3genE10ELNS1_11target_archE1200ELNS1_3gpuE4ELNS1_3repE0EEENS1_44radix_sort_block_sort_config_static_selectorELNS0_4arch9wavefront6targetE0EEEvSM_.has_dyn_sized_stack, 0
	.set _ZN7rocprim17ROCPRIM_400000_NS6detail17trampoline_kernelINS0_13kernel_configILj256ELj4ELj4294967295EEENS1_37radix_sort_block_sort_config_selectorIjN6thrust23THRUST_200600_302600_NS5tupleIffNS7_9null_typeES9_S9_S9_S9_S9_S9_S9_EEEEZNS1_21radix_sort_block_sortIS4_Lb0ENS7_6detail15normal_iteratorINS7_10device_ptrIjEEEESH_NSE_INSF_ISA_EEEESJ_NS0_19identity_decomposerEEE10hipError_tT1_T2_T3_T4_jRjT5_jjP12ihipStream_tbEUlT_E_NS1_11comp_targetILNS1_3genE10ELNS1_11target_archE1200ELNS1_3gpuE4ELNS1_3repE0EEENS1_44radix_sort_block_sort_config_static_selectorELNS0_4arch9wavefront6targetE0EEEvSM_.has_recursion, 0
	.set _ZN7rocprim17ROCPRIM_400000_NS6detail17trampoline_kernelINS0_13kernel_configILj256ELj4ELj4294967295EEENS1_37radix_sort_block_sort_config_selectorIjN6thrust23THRUST_200600_302600_NS5tupleIffNS7_9null_typeES9_S9_S9_S9_S9_S9_S9_EEEEZNS1_21radix_sort_block_sortIS4_Lb0ENS7_6detail15normal_iteratorINS7_10device_ptrIjEEEESH_NSE_INSF_ISA_EEEESJ_NS0_19identity_decomposerEEE10hipError_tT1_T2_T3_T4_jRjT5_jjP12ihipStream_tbEUlT_E_NS1_11comp_targetILNS1_3genE10ELNS1_11target_archE1200ELNS1_3gpuE4ELNS1_3repE0EEENS1_44radix_sort_block_sort_config_static_selectorELNS0_4arch9wavefront6targetE0EEEvSM_.has_indirect_call, 0
	.section	.AMDGPU.csdata,"",@progbits
; Kernel info:
; codeLenInByte = 0
; TotalNumSgprs: 0
; NumVgprs: 0
; ScratchSize: 0
; MemoryBound: 0
; FloatMode: 240
; IeeeMode: 1
; LDSByteSize: 0 bytes/workgroup (compile time only)
; SGPRBlocks: 0
; VGPRBlocks: 0
; NumSGPRsForWavesPerEU: 1
; NumVGPRsForWavesPerEU: 1
; NamedBarCnt: 0
; Occupancy: 16
; WaveLimiterHint : 0
; COMPUTE_PGM_RSRC2:SCRATCH_EN: 0
; COMPUTE_PGM_RSRC2:USER_SGPR: 2
; COMPUTE_PGM_RSRC2:TRAP_HANDLER: 0
; COMPUTE_PGM_RSRC2:TGID_X_EN: 1
; COMPUTE_PGM_RSRC2:TGID_Y_EN: 0
; COMPUTE_PGM_RSRC2:TGID_Z_EN: 0
; COMPUTE_PGM_RSRC2:TIDIG_COMP_CNT: 0
	.section	.text._ZN7rocprim17ROCPRIM_400000_NS6detail17trampoline_kernelINS0_13kernel_configILj256ELj4ELj4294967295EEENS1_37radix_sort_block_sort_config_selectorIjN6thrust23THRUST_200600_302600_NS5tupleIffNS7_9null_typeES9_S9_S9_S9_S9_S9_S9_EEEEZNS1_21radix_sort_block_sortIS4_Lb0ENS7_6detail15normal_iteratorINS7_10device_ptrIjEEEESH_NSE_INSF_ISA_EEEESJ_NS0_19identity_decomposerEEE10hipError_tT1_T2_T3_T4_jRjT5_jjP12ihipStream_tbEUlT_E_NS1_11comp_targetILNS1_3genE9ELNS1_11target_archE1100ELNS1_3gpuE3ELNS1_3repE0EEENS1_44radix_sort_block_sort_config_static_selectorELNS0_4arch9wavefront6targetE0EEEvSM_,"axG",@progbits,_ZN7rocprim17ROCPRIM_400000_NS6detail17trampoline_kernelINS0_13kernel_configILj256ELj4ELj4294967295EEENS1_37radix_sort_block_sort_config_selectorIjN6thrust23THRUST_200600_302600_NS5tupleIffNS7_9null_typeES9_S9_S9_S9_S9_S9_S9_EEEEZNS1_21radix_sort_block_sortIS4_Lb0ENS7_6detail15normal_iteratorINS7_10device_ptrIjEEEESH_NSE_INSF_ISA_EEEESJ_NS0_19identity_decomposerEEE10hipError_tT1_T2_T3_T4_jRjT5_jjP12ihipStream_tbEUlT_E_NS1_11comp_targetILNS1_3genE9ELNS1_11target_archE1100ELNS1_3gpuE3ELNS1_3repE0EEENS1_44radix_sort_block_sort_config_static_selectorELNS0_4arch9wavefront6targetE0EEEvSM_,comdat
	.protected	_ZN7rocprim17ROCPRIM_400000_NS6detail17trampoline_kernelINS0_13kernel_configILj256ELj4ELj4294967295EEENS1_37radix_sort_block_sort_config_selectorIjN6thrust23THRUST_200600_302600_NS5tupleIffNS7_9null_typeES9_S9_S9_S9_S9_S9_S9_EEEEZNS1_21radix_sort_block_sortIS4_Lb0ENS7_6detail15normal_iteratorINS7_10device_ptrIjEEEESH_NSE_INSF_ISA_EEEESJ_NS0_19identity_decomposerEEE10hipError_tT1_T2_T3_T4_jRjT5_jjP12ihipStream_tbEUlT_E_NS1_11comp_targetILNS1_3genE9ELNS1_11target_archE1100ELNS1_3gpuE3ELNS1_3repE0EEENS1_44radix_sort_block_sort_config_static_selectorELNS0_4arch9wavefront6targetE0EEEvSM_ ; -- Begin function _ZN7rocprim17ROCPRIM_400000_NS6detail17trampoline_kernelINS0_13kernel_configILj256ELj4ELj4294967295EEENS1_37radix_sort_block_sort_config_selectorIjN6thrust23THRUST_200600_302600_NS5tupleIffNS7_9null_typeES9_S9_S9_S9_S9_S9_S9_EEEEZNS1_21radix_sort_block_sortIS4_Lb0ENS7_6detail15normal_iteratorINS7_10device_ptrIjEEEESH_NSE_INSF_ISA_EEEESJ_NS0_19identity_decomposerEEE10hipError_tT1_T2_T3_T4_jRjT5_jjP12ihipStream_tbEUlT_E_NS1_11comp_targetILNS1_3genE9ELNS1_11target_archE1100ELNS1_3gpuE3ELNS1_3repE0EEENS1_44radix_sort_block_sort_config_static_selectorELNS0_4arch9wavefront6targetE0EEEvSM_
	.globl	_ZN7rocprim17ROCPRIM_400000_NS6detail17trampoline_kernelINS0_13kernel_configILj256ELj4ELj4294967295EEENS1_37radix_sort_block_sort_config_selectorIjN6thrust23THRUST_200600_302600_NS5tupleIffNS7_9null_typeES9_S9_S9_S9_S9_S9_S9_EEEEZNS1_21radix_sort_block_sortIS4_Lb0ENS7_6detail15normal_iteratorINS7_10device_ptrIjEEEESH_NSE_INSF_ISA_EEEESJ_NS0_19identity_decomposerEEE10hipError_tT1_T2_T3_T4_jRjT5_jjP12ihipStream_tbEUlT_E_NS1_11comp_targetILNS1_3genE9ELNS1_11target_archE1100ELNS1_3gpuE3ELNS1_3repE0EEENS1_44radix_sort_block_sort_config_static_selectorELNS0_4arch9wavefront6targetE0EEEvSM_
	.p2align	8
	.type	_ZN7rocprim17ROCPRIM_400000_NS6detail17trampoline_kernelINS0_13kernel_configILj256ELj4ELj4294967295EEENS1_37radix_sort_block_sort_config_selectorIjN6thrust23THRUST_200600_302600_NS5tupleIffNS7_9null_typeES9_S9_S9_S9_S9_S9_S9_EEEEZNS1_21radix_sort_block_sortIS4_Lb0ENS7_6detail15normal_iteratorINS7_10device_ptrIjEEEESH_NSE_INSF_ISA_EEEESJ_NS0_19identity_decomposerEEE10hipError_tT1_T2_T3_T4_jRjT5_jjP12ihipStream_tbEUlT_E_NS1_11comp_targetILNS1_3genE9ELNS1_11target_archE1100ELNS1_3gpuE3ELNS1_3repE0EEENS1_44radix_sort_block_sort_config_static_selectorELNS0_4arch9wavefront6targetE0EEEvSM_,@function
_ZN7rocprim17ROCPRIM_400000_NS6detail17trampoline_kernelINS0_13kernel_configILj256ELj4ELj4294967295EEENS1_37radix_sort_block_sort_config_selectorIjN6thrust23THRUST_200600_302600_NS5tupleIffNS7_9null_typeES9_S9_S9_S9_S9_S9_S9_EEEEZNS1_21radix_sort_block_sortIS4_Lb0ENS7_6detail15normal_iteratorINS7_10device_ptrIjEEEESH_NSE_INSF_ISA_EEEESJ_NS0_19identity_decomposerEEE10hipError_tT1_T2_T3_T4_jRjT5_jjP12ihipStream_tbEUlT_E_NS1_11comp_targetILNS1_3genE9ELNS1_11target_archE1100ELNS1_3gpuE3ELNS1_3repE0EEENS1_44radix_sort_block_sort_config_static_selectorELNS0_4arch9wavefront6targetE0EEEvSM_: ; @_ZN7rocprim17ROCPRIM_400000_NS6detail17trampoline_kernelINS0_13kernel_configILj256ELj4ELj4294967295EEENS1_37radix_sort_block_sort_config_selectorIjN6thrust23THRUST_200600_302600_NS5tupleIffNS7_9null_typeES9_S9_S9_S9_S9_S9_S9_EEEEZNS1_21radix_sort_block_sortIS4_Lb0ENS7_6detail15normal_iteratorINS7_10device_ptrIjEEEESH_NSE_INSF_ISA_EEEESJ_NS0_19identity_decomposerEEE10hipError_tT1_T2_T3_T4_jRjT5_jjP12ihipStream_tbEUlT_E_NS1_11comp_targetILNS1_3genE9ELNS1_11target_archE1100ELNS1_3gpuE3ELNS1_3repE0EEENS1_44radix_sort_block_sort_config_static_selectorELNS0_4arch9wavefront6targetE0EEEvSM_
; %bb.0:
	.section	.rodata,"a",@progbits
	.p2align	6, 0x0
	.amdhsa_kernel _ZN7rocprim17ROCPRIM_400000_NS6detail17trampoline_kernelINS0_13kernel_configILj256ELj4ELj4294967295EEENS1_37radix_sort_block_sort_config_selectorIjN6thrust23THRUST_200600_302600_NS5tupleIffNS7_9null_typeES9_S9_S9_S9_S9_S9_S9_EEEEZNS1_21radix_sort_block_sortIS4_Lb0ENS7_6detail15normal_iteratorINS7_10device_ptrIjEEEESH_NSE_INSF_ISA_EEEESJ_NS0_19identity_decomposerEEE10hipError_tT1_T2_T3_T4_jRjT5_jjP12ihipStream_tbEUlT_E_NS1_11comp_targetILNS1_3genE9ELNS1_11target_archE1100ELNS1_3gpuE3ELNS1_3repE0EEENS1_44radix_sort_block_sort_config_static_selectorELNS0_4arch9wavefront6targetE0EEEvSM_
		.amdhsa_group_segment_fixed_size 0
		.amdhsa_private_segment_fixed_size 0
		.amdhsa_kernarg_size 48
		.amdhsa_user_sgpr_count 2
		.amdhsa_user_sgpr_dispatch_ptr 0
		.amdhsa_user_sgpr_queue_ptr 0
		.amdhsa_user_sgpr_kernarg_segment_ptr 1
		.amdhsa_user_sgpr_dispatch_id 0
		.amdhsa_user_sgpr_kernarg_preload_length 0
		.amdhsa_user_sgpr_kernarg_preload_offset 0
		.amdhsa_user_sgpr_private_segment_size 0
		.amdhsa_wavefront_size32 1
		.amdhsa_uses_dynamic_stack 0
		.amdhsa_enable_private_segment 0
		.amdhsa_system_sgpr_workgroup_id_x 1
		.amdhsa_system_sgpr_workgroup_id_y 0
		.amdhsa_system_sgpr_workgroup_id_z 0
		.amdhsa_system_sgpr_workgroup_info 0
		.amdhsa_system_vgpr_workitem_id 0
		.amdhsa_next_free_vgpr 1
		.amdhsa_next_free_sgpr 1
		.amdhsa_named_barrier_count 0
		.amdhsa_reserve_vcc 0
		.amdhsa_float_round_mode_32 0
		.amdhsa_float_round_mode_16_64 0
		.amdhsa_float_denorm_mode_32 3
		.amdhsa_float_denorm_mode_16_64 3
		.amdhsa_fp16_overflow 0
		.amdhsa_memory_ordered 1
		.amdhsa_forward_progress 1
		.amdhsa_inst_pref_size 0
		.amdhsa_round_robin_scheduling 0
		.amdhsa_exception_fp_ieee_invalid_op 0
		.amdhsa_exception_fp_denorm_src 0
		.amdhsa_exception_fp_ieee_div_zero 0
		.amdhsa_exception_fp_ieee_overflow 0
		.amdhsa_exception_fp_ieee_underflow 0
		.amdhsa_exception_fp_ieee_inexact 0
		.amdhsa_exception_int_div_zero 0
	.end_amdhsa_kernel
	.section	.text._ZN7rocprim17ROCPRIM_400000_NS6detail17trampoline_kernelINS0_13kernel_configILj256ELj4ELj4294967295EEENS1_37radix_sort_block_sort_config_selectorIjN6thrust23THRUST_200600_302600_NS5tupleIffNS7_9null_typeES9_S9_S9_S9_S9_S9_S9_EEEEZNS1_21radix_sort_block_sortIS4_Lb0ENS7_6detail15normal_iteratorINS7_10device_ptrIjEEEESH_NSE_INSF_ISA_EEEESJ_NS0_19identity_decomposerEEE10hipError_tT1_T2_T3_T4_jRjT5_jjP12ihipStream_tbEUlT_E_NS1_11comp_targetILNS1_3genE9ELNS1_11target_archE1100ELNS1_3gpuE3ELNS1_3repE0EEENS1_44radix_sort_block_sort_config_static_selectorELNS0_4arch9wavefront6targetE0EEEvSM_,"axG",@progbits,_ZN7rocprim17ROCPRIM_400000_NS6detail17trampoline_kernelINS0_13kernel_configILj256ELj4ELj4294967295EEENS1_37radix_sort_block_sort_config_selectorIjN6thrust23THRUST_200600_302600_NS5tupleIffNS7_9null_typeES9_S9_S9_S9_S9_S9_S9_EEEEZNS1_21radix_sort_block_sortIS4_Lb0ENS7_6detail15normal_iteratorINS7_10device_ptrIjEEEESH_NSE_INSF_ISA_EEEESJ_NS0_19identity_decomposerEEE10hipError_tT1_T2_T3_T4_jRjT5_jjP12ihipStream_tbEUlT_E_NS1_11comp_targetILNS1_3genE9ELNS1_11target_archE1100ELNS1_3gpuE3ELNS1_3repE0EEENS1_44radix_sort_block_sort_config_static_selectorELNS0_4arch9wavefront6targetE0EEEvSM_,comdat
.Lfunc_end14:
	.size	_ZN7rocprim17ROCPRIM_400000_NS6detail17trampoline_kernelINS0_13kernel_configILj256ELj4ELj4294967295EEENS1_37radix_sort_block_sort_config_selectorIjN6thrust23THRUST_200600_302600_NS5tupleIffNS7_9null_typeES9_S9_S9_S9_S9_S9_S9_EEEEZNS1_21radix_sort_block_sortIS4_Lb0ENS7_6detail15normal_iteratorINS7_10device_ptrIjEEEESH_NSE_INSF_ISA_EEEESJ_NS0_19identity_decomposerEEE10hipError_tT1_T2_T3_T4_jRjT5_jjP12ihipStream_tbEUlT_E_NS1_11comp_targetILNS1_3genE9ELNS1_11target_archE1100ELNS1_3gpuE3ELNS1_3repE0EEENS1_44radix_sort_block_sort_config_static_selectorELNS0_4arch9wavefront6targetE0EEEvSM_, .Lfunc_end14-_ZN7rocprim17ROCPRIM_400000_NS6detail17trampoline_kernelINS0_13kernel_configILj256ELj4ELj4294967295EEENS1_37radix_sort_block_sort_config_selectorIjN6thrust23THRUST_200600_302600_NS5tupleIffNS7_9null_typeES9_S9_S9_S9_S9_S9_S9_EEEEZNS1_21radix_sort_block_sortIS4_Lb0ENS7_6detail15normal_iteratorINS7_10device_ptrIjEEEESH_NSE_INSF_ISA_EEEESJ_NS0_19identity_decomposerEEE10hipError_tT1_T2_T3_T4_jRjT5_jjP12ihipStream_tbEUlT_E_NS1_11comp_targetILNS1_3genE9ELNS1_11target_archE1100ELNS1_3gpuE3ELNS1_3repE0EEENS1_44radix_sort_block_sort_config_static_selectorELNS0_4arch9wavefront6targetE0EEEvSM_
                                        ; -- End function
	.set _ZN7rocprim17ROCPRIM_400000_NS6detail17trampoline_kernelINS0_13kernel_configILj256ELj4ELj4294967295EEENS1_37radix_sort_block_sort_config_selectorIjN6thrust23THRUST_200600_302600_NS5tupleIffNS7_9null_typeES9_S9_S9_S9_S9_S9_S9_EEEEZNS1_21radix_sort_block_sortIS4_Lb0ENS7_6detail15normal_iteratorINS7_10device_ptrIjEEEESH_NSE_INSF_ISA_EEEESJ_NS0_19identity_decomposerEEE10hipError_tT1_T2_T3_T4_jRjT5_jjP12ihipStream_tbEUlT_E_NS1_11comp_targetILNS1_3genE9ELNS1_11target_archE1100ELNS1_3gpuE3ELNS1_3repE0EEENS1_44radix_sort_block_sort_config_static_selectorELNS0_4arch9wavefront6targetE0EEEvSM_.num_vgpr, 0
	.set _ZN7rocprim17ROCPRIM_400000_NS6detail17trampoline_kernelINS0_13kernel_configILj256ELj4ELj4294967295EEENS1_37radix_sort_block_sort_config_selectorIjN6thrust23THRUST_200600_302600_NS5tupleIffNS7_9null_typeES9_S9_S9_S9_S9_S9_S9_EEEEZNS1_21radix_sort_block_sortIS4_Lb0ENS7_6detail15normal_iteratorINS7_10device_ptrIjEEEESH_NSE_INSF_ISA_EEEESJ_NS0_19identity_decomposerEEE10hipError_tT1_T2_T3_T4_jRjT5_jjP12ihipStream_tbEUlT_E_NS1_11comp_targetILNS1_3genE9ELNS1_11target_archE1100ELNS1_3gpuE3ELNS1_3repE0EEENS1_44radix_sort_block_sort_config_static_selectorELNS0_4arch9wavefront6targetE0EEEvSM_.num_agpr, 0
	.set _ZN7rocprim17ROCPRIM_400000_NS6detail17trampoline_kernelINS0_13kernel_configILj256ELj4ELj4294967295EEENS1_37radix_sort_block_sort_config_selectorIjN6thrust23THRUST_200600_302600_NS5tupleIffNS7_9null_typeES9_S9_S9_S9_S9_S9_S9_EEEEZNS1_21radix_sort_block_sortIS4_Lb0ENS7_6detail15normal_iteratorINS7_10device_ptrIjEEEESH_NSE_INSF_ISA_EEEESJ_NS0_19identity_decomposerEEE10hipError_tT1_T2_T3_T4_jRjT5_jjP12ihipStream_tbEUlT_E_NS1_11comp_targetILNS1_3genE9ELNS1_11target_archE1100ELNS1_3gpuE3ELNS1_3repE0EEENS1_44radix_sort_block_sort_config_static_selectorELNS0_4arch9wavefront6targetE0EEEvSM_.numbered_sgpr, 0
	.set _ZN7rocprim17ROCPRIM_400000_NS6detail17trampoline_kernelINS0_13kernel_configILj256ELj4ELj4294967295EEENS1_37radix_sort_block_sort_config_selectorIjN6thrust23THRUST_200600_302600_NS5tupleIffNS7_9null_typeES9_S9_S9_S9_S9_S9_S9_EEEEZNS1_21radix_sort_block_sortIS4_Lb0ENS7_6detail15normal_iteratorINS7_10device_ptrIjEEEESH_NSE_INSF_ISA_EEEESJ_NS0_19identity_decomposerEEE10hipError_tT1_T2_T3_T4_jRjT5_jjP12ihipStream_tbEUlT_E_NS1_11comp_targetILNS1_3genE9ELNS1_11target_archE1100ELNS1_3gpuE3ELNS1_3repE0EEENS1_44radix_sort_block_sort_config_static_selectorELNS0_4arch9wavefront6targetE0EEEvSM_.num_named_barrier, 0
	.set _ZN7rocprim17ROCPRIM_400000_NS6detail17trampoline_kernelINS0_13kernel_configILj256ELj4ELj4294967295EEENS1_37radix_sort_block_sort_config_selectorIjN6thrust23THRUST_200600_302600_NS5tupleIffNS7_9null_typeES9_S9_S9_S9_S9_S9_S9_EEEEZNS1_21radix_sort_block_sortIS4_Lb0ENS7_6detail15normal_iteratorINS7_10device_ptrIjEEEESH_NSE_INSF_ISA_EEEESJ_NS0_19identity_decomposerEEE10hipError_tT1_T2_T3_T4_jRjT5_jjP12ihipStream_tbEUlT_E_NS1_11comp_targetILNS1_3genE9ELNS1_11target_archE1100ELNS1_3gpuE3ELNS1_3repE0EEENS1_44radix_sort_block_sort_config_static_selectorELNS0_4arch9wavefront6targetE0EEEvSM_.private_seg_size, 0
	.set _ZN7rocprim17ROCPRIM_400000_NS6detail17trampoline_kernelINS0_13kernel_configILj256ELj4ELj4294967295EEENS1_37radix_sort_block_sort_config_selectorIjN6thrust23THRUST_200600_302600_NS5tupleIffNS7_9null_typeES9_S9_S9_S9_S9_S9_S9_EEEEZNS1_21radix_sort_block_sortIS4_Lb0ENS7_6detail15normal_iteratorINS7_10device_ptrIjEEEESH_NSE_INSF_ISA_EEEESJ_NS0_19identity_decomposerEEE10hipError_tT1_T2_T3_T4_jRjT5_jjP12ihipStream_tbEUlT_E_NS1_11comp_targetILNS1_3genE9ELNS1_11target_archE1100ELNS1_3gpuE3ELNS1_3repE0EEENS1_44radix_sort_block_sort_config_static_selectorELNS0_4arch9wavefront6targetE0EEEvSM_.uses_vcc, 0
	.set _ZN7rocprim17ROCPRIM_400000_NS6detail17trampoline_kernelINS0_13kernel_configILj256ELj4ELj4294967295EEENS1_37radix_sort_block_sort_config_selectorIjN6thrust23THRUST_200600_302600_NS5tupleIffNS7_9null_typeES9_S9_S9_S9_S9_S9_S9_EEEEZNS1_21radix_sort_block_sortIS4_Lb0ENS7_6detail15normal_iteratorINS7_10device_ptrIjEEEESH_NSE_INSF_ISA_EEEESJ_NS0_19identity_decomposerEEE10hipError_tT1_T2_T3_T4_jRjT5_jjP12ihipStream_tbEUlT_E_NS1_11comp_targetILNS1_3genE9ELNS1_11target_archE1100ELNS1_3gpuE3ELNS1_3repE0EEENS1_44radix_sort_block_sort_config_static_selectorELNS0_4arch9wavefront6targetE0EEEvSM_.uses_flat_scratch, 0
	.set _ZN7rocprim17ROCPRIM_400000_NS6detail17trampoline_kernelINS0_13kernel_configILj256ELj4ELj4294967295EEENS1_37radix_sort_block_sort_config_selectorIjN6thrust23THRUST_200600_302600_NS5tupleIffNS7_9null_typeES9_S9_S9_S9_S9_S9_S9_EEEEZNS1_21radix_sort_block_sortIS4_Lb0ENS7_6detail15normal_iteratorINS7_10device_ptrIjEEEESH_NSE_INSF_ISA_EEEESJ_NS0_19identity_decomposerEEE10hipError_tT1_T2_T3_T4_jRjT5_jjP12ihipStream_tbEUlT_E_NS1_11comp_targetILNS1_3genE9ELNS1_11target_archE1100ELNS1_3gpuE3ELNS1_3repE0EEENS1_44radix_sort_block_sort_config_static_selectorELNS0_4arch9wavefront6targetE0EEEvSM_.has_dyn_sized_stack, 0
	.set _ZN7rocprim17ROCPRIM_400000_NS6detail17trampoline_kernelINS0_13kernel_configILj256ELj4ELj4294967295EEENS1_37radix_sort_block_sort_config_selectorIjN6thrust23THRUST_200600_302600_NS5tupleIffNS7_9null_typeES9_S9_S9_S9_S9_S9_S9_EEEEZNS1_21radix_sort_block_sortIS4_Lb0ENS7_6detail15normal_iteratorINS7_10device_ptrIjEEEESH_NSE_INSF_ISA_EEEESJ_NS0_19identity_decomposerEEE10hipError_tT1_T2_T3_T4_jRjT5_jjP12ihipStream_tbEUlT_E_NS1_11comp_targetILNS1_3genE9ELNS1_11target_archE1100ELNS1_3gpuE3ELNS1_3repE0EEENS1_44radix_sort_block_sort_config_static_selectorELNS0_4arch9wavefront6targetE0EEEvSM_.has_recursion, 0
	.set _ZN7rocprim17ROCPRIM_400000_NS6detail17trampoline_kernelINS0_13kernel_configILj256ELj4ELj4294967295EEENS1_37radix_sort_block_sort_config_selectorIjN6thrust23THRUST_200600_302600_NS5tupleIffNS7_9null_typeES9_S9_S9_S9_S9_S9_S9_EEEEZNS1_21radix_sort_block_sortIS4_Lb0ENS7_6detail15normal_iteratorINS7_10device_ptrIjEEEESH_NSE_INSF_ISA_EEEESJ_NS0_19identity_decomposerEEE10hipError_tT1_T2_T3_T4_jRjT5_jjP12ihipStream_tbEUlT_E_NS1_11comp_targetILNS1_3genE9ELNS1_11target_archE1100ELNS1_3gpuE3ELNS1_3repE0EEENS1_44radix_sort_block_sort_config_static_selectorELNS0_4arch9wavefront6targetE0EEEvSM_.has_indirect_call, 0
	.section	.AMDGPU.csdata,"",@progbits
; Kernel info:
; codeLenInByte = 0
; TotalNumSgprs: 0
; NumVgprs: 0
; ScratchSize: 0
; MemoryBound: 0
; FloatMode: 240
; IeeeMode: 1
; LDSByteSize: 0 bytes/workgroup (compile time only)
; SGPRBlocks: 0
; VGPRBlocks: 0
; NumSGPRsForWavesPerEU: 1
; NumVGPRsForWavesPerEU: 1
; NamedBarCnt: 0
; Occupancy: 16
; WaveLimiterHint : 0
; COMPUTE_PGM_RSRC2:SCRATCH_EN: 0
; COMPUTE_PGM_RSRC2:USER_SGPR: 2
; COMPUTE_PGM_RSRC2:TRAP_HANDLER: 0
; COMPUTE_PGM_RSRC2:TGID_X_EN: 1
; COMPUTE_PGM_RSRC2:TGID_Y_EN: 0
; COMPUTE_PGM_RSRC2:TGID_Z_EN: 0
; COMPUTE_PGM_RSRC2:TIDIG_COMP_CNT: 0
	.section	.text._ZN7rocprim17ROCPRIM_400000_NS6detail17trampoline_kernelINS0_13kernel_configILj256ELj4ELj4294967295EEENS1_37radix_sort_block_sort_config_selectorIjN6thrust23THRUST_200600_302600_NS5tupleIffNS7_9null_typeES9_S9_S9_S9_S9_S9_S9_EEEEZNS1_21radix_sort_block_sortIS4_Lb0ENS7_6detail15normal_iteratorINS7_10device_ptrIjEEEESH_NSE_INSF_ISA_EEEESJ_NS0_19identity_decomposerEEE10hipError_tT1_T2_T3_T4_jRjT5_jjP12ihipStream_tbEUlT_E_NS1_11comp_targetILNS1_3genE8ELNS1_11target_archE1030ELNS1_3gpuE2ELNS1_3repE0EEENS1_44radix_sort_block_sort_config_static_selectorELNS0_4arch9wavefront6targetE0EEEvSM_,"axG",@progbits,_ZN7rocprim17ROCPRIM_400000_NS6detail17trampoline_kernelINS0_13kernel_configILj256ELj4ELj4294967295EEENS1_37radix_sort_block_sort_config_selectorIjN6thrust23THRUST_200600_302600_NS5tupleIffNS7_9null_typeES9_S9_S9_S9_S9_S9_S9_EEEEZNS1_21radix_sort_block_sortIS4_Lb0ENS7_6detail15normal_iteratorINS7_10device_ptrIjEEEESH_NSE_INSF_ISA_EEEESJ_NS0_19identity_decomposerEEE10hipError_tT1_T2_T3_T4_jRjT5_jjP12ihipStream_tbEUlT_E_NS1_11comp_targetILNS1_3genE8ELNS1_11target_archE1030ELNS1_3gpuE2ELNS1_3repE0EEENS1_44radix_sort_block_sort_config_static_selectorELNS0_4arch9wavefront6targetE0EEEvSM_,comdat
	.protected	_ZN7rocprim17ROCPRIM_400000_NS6detail17trampoline_kernelINS0_13kernel_configILj256ELj4ELj4294967295EEENS1_37radix_sort_block_sort_config_selectorIjN6thrust23THRUST_200600_302600_NS5tupleIffNS7_9null_typeES9_S9_S9_S9_S9_S9_S9_EEEEZNS1_21radix_sort_block_sortIS4_Lb0ENS7_6detail15normal_iteratorINS7_10device_ptrIjEEEESH_NSE_INSF_ISA_EEEESJ_NS0_19identity_decomposerEEE10hipError_tT1_T2_T3_T4_jRjT5_jjP12ihipStream_tbEUlT_E_NS1_11comp_targetILNS1_3genE8ELNS1_11target_archE1030ELNS1_3gpuE2ELNS1_3repE0EEENS1_44radix_sort_block_sort_config_static_selectorELNS0_4arch9wavefront6targetE0EEEvSM_ ; -- Begin function _ZN7rocprim17ROCPRIM_400000_NS6detail17trampoline_kernelINS0_13kernel_configILj256ELj4ELj4294967295EEENS1_37radix_sort_block_sort_config_selectorIjN6thrust23THRUST_200600_302600_NS5tupleIffNS7_9null_typeES9_S9_S9_S9_S9_S9_S9_EEEEZNS1_21radix_sort_block_sortIS4_Lb0ENS7_6detail15normal_iteratorINS7_10device_ptrIjEEEESH_NSE_INSF_ISA_EEEESJ_NS0_19identity_decomposerEEE10hipError_tT1_T2_T3_T4_jRjT5_jjP12ihipStream_tbEUlT_E_NS1_11comp_targetILNS1_3genE8ELNS1_11target_archE1030ELNS1_3gpuE2ELNS1_3repE0EEENS1_44radix_sort_block_sort_config_static_selectorELNS0_4arch9wavefront6targetE0EEEvSM_
	.globl	_ZN7rocprim17ROCPRIM_400000_NS6detail17trampoline_kernelINS0_13kernel_configILj256ELj4ELj4294967295EEENS1_37radix_sort_block_sort_config_selectorIjN6thrust23THRUST_200600_302600_NS5tupleIffNS7_9null_typeES9_S9_S9_S9_S9_S9_S9_EEEEZNS1_21radix_sort_block_sortIS4_Lb0ENS7_6detail15normal_iteratorINS7_10device_ptrIjEEEESH_NSE_INSF_ISA_EEEESJ_NS0_19identity_decomposerEEE10hipError_tT1_T2_T3_T4_jRjT5_jjP12ihipStream_tbEUlT_E_NS1_11comp_targetILNS1_3genE8ELNS1_11target_archE1030ELNS1_3gpuE2ELNS1_3repE0EEENS1_44radix_sort_block_sort_config_static_selectorELNS0_4arch9wavefront6targetE0EEEvSM_
	.p2align	8
	.type	_ZN7rocprim17ROCPRIM_400000_NS6detail17trampoline_kernelINS0_13kernel_configILj256ELj4ELj4294967295EEENS1_37radix_sort_block_sort_config_selectorIjN6thrust23THRUST_200600_302600_NS5tupleIffNS7_9null_typeES9_S9_S9_S9_S9_S9_S9_EEEEZNS1_21radix_sort_block_sortIS4_Lb0ENS7_6detail15normal_iteratorINS7_10device_ptrIjEEEESH_NSE_INSF_ISA_EEEESJ_NS0_19identity_decomposerEEE10hipError_tT1_T2_T3_T4_jRjT5_jjP12ihipStream_tbEUlT_E_NS1_11comp_targetILNS1_3genE8ELNS1_11target_archE1030ELNS1_3gpuE2ELNS1_3repE0EEENS1_44radix_sort_block_sort_config_static_selectorELNS0_4arch9wavefront6targetE0EEEvSM_,@function
_ZN7rocprim17ROCPRIM_400000_NS6detail17trampoline_kernelINS0_13kernel_configILj256ELj4ELj4294967295EEENS1_37radix_sort_block_sort_config_selectorIjN6thrust23THRUST_200600_302600_NS5tupleIffNS7_9null_typeES9_S9_S9_S9_S9_S9_S9_EEEEZNS1_21radix_sort_block_sortIS4_Lb0ENS7_6detail15normal_iteratorINS7_10device_ptrIjEEEESH_NSE_INSF_ISA_EEEESJ_NS0_19identity_decomposerEEE10hipError_tT1_T2_T3_T4_jRjT5_jjP12ihipStream_tbEUlT_E_NS1_11comp_targetILNS1_3genE8ELNS1_11target_archE1030ELNS1_3gpuE2ELNS1_3repE0EEENS1_44radix_sort_block_sort_config_static_selectorELNS0_4arch9wavefront6targetE0EEEvSM_: ; @_ZN7rocprim17ROCPRIM_400000_NS6detail17trampoline_kernelINS0_13kernel_configILj256ELj4ELj4294967295EEENS1_37radix_sort_block_sort_config_selectorIjN6thrust23THRUST_200600_302600_NS5tupleIffNS7_9null_typeES9_S9_S9_S9_S9_S9_S9_EEEEZNS1_21radix_sort_block_sortIS4_Lb0ENS7_6detail15normal_iteratorINS7_10device_ptrIjEEEESH_NSE_INSF_ISA_EEEESJ_NS0_19identity_decomposerEEE10hipError_tT1_T2_T3_T4_jRjT5_jjP12ihipStream_tbEUlT_E_NS1_11comp_targetILNS1_3genE8ELNS1_11target_archE1030ELNS1_3gpuE2ELNS1_3repE0EEENS1_44radix_sort_block_sort_config_static_selectorELNS0_4arch9wavefront6targetE0EEEvSM_
; %bb.0:
	.section	.rodata,"a",@progbits
	.p2align	6, 0x0
	.amdhsa_kernel _ZN7rocprim17ROCPRIM_400000_NS6detail17trampoline_kernelINS0_13kernel_configILj256ELj4ELj4294967295EEENS1_37radix_sort_block_sort_config_selectorIjN6thrust23THRUST_200600_302600_NS5tupleIffNS7_9null_typeES9_S9_S9_S9_S9_S9_S9_EEEEZNS1_21radix_sort_block_sortIS4_Lb0ENS7_6detail15normal_iteratorINS7_10device_ptrIjEEEESH_NSE_INSF_ISA_EEEESJ_NS0_19identity_decomposerEEE10hipError_tT1_T2_T3_T4_jRjT5_jjP12ihipStream_tbEUlT_E_NS1_11comp_targetILNS1_3genE8ELNS1_11target_archE1030ELNS1_3gpuE2ELNS1_3repE0EEENS1_44radix_sort_block_sort_config_static_selectorELNS0_4arch9wavefront6targetE0EEEvSM_
		.amdhsa_group_segment_fixed_size 0
		.amdhsa_private_segment_fixed_size 0
		.amdhsa_kernarg_size 48
		.amdhsa_user_sgpr_count 2
		.amdhsa_user_sgpr_dispatch_ptr 0
		.amdhsa_user_sgpr_queue_ptr 0
		.amdhsa_user_sgpr_kernarg_segment_ptr 1
		.amdhsa_user_sgpr_dispatch_id 0
		.amdhsa_user_sgpr_kernarg_preload_length 0
		.amdhsa_user_sgpr_kernarg_preload_offset 0
		.amdhsa_user_sgpr_private_segment_size 0
		.amdhsa_wavefront_size32 1
		.amdhsa_uses_dynamic_stack 0
		.amdhsa_enable_private_segment 0
		.amdhsa_system_sgpr_workgroup_id_x 1
		.amdhsa_system_sgpr_workgroup_id_y 0
		.amdhsa_system_sgpr_workgroup_id_z 0
		.amdhsa_system_sgpr_workgroup_info 0
		.amdhsa_system_vgpr_workitem_id 0
		.amdhsa_next_free_vgpr 1
		.amdhsa_next_free_sgpr 1
		.amdhsa_named_barrier_count 0
		.amdhsa_reserve_vcc 0
		.amdhsa_float_round_mode_32 0
		.amdhsa_float_round_mode_16_64 0
		.amdhsa_float_denorm_mode_32 3
		.amdhsa_float_denorm_mode_16_64 3
		.amdhsa_fp16_overflow 0
		.amdhsa_memory_ordered 1
		.amdhsa_forward_progress 1
		.amdhsa_inst_pref_size 0
		.amdhsa_round_robin_scheduling 0
		.amdhsa_exception_fp_ieee_invalid_op 0
		.amdhsa_exception_fp_denorm_src 0
		.amdhsa_exception_fp_ieee_div_zero 0
		.amdhsa_exception_fp_ieee_overflow 0
		.amdhsa_exception_fp_ieee_underflow 0
		.amdhsa_exception_fp_ieee_inexact 0
		.amdhsa_exception_int_div_zero 0
	.end_amdhsa_kernel
	.section	.text._ZN7rocprim17ROCPRIM_400000_NS6detail17trampoline_kernelINS0_13kernel_configILj256ELj4ELj4294967295EEENS1_37radix_sort_block_sort_config_selectorIjN6thrust23THRUST_200600_302600_NS5tupleIffNS7_9null_typeES9_S9_S9_S9_S9_S9_S9_EEEEZNS1_21radix_sort_block_sortIS4_Lb0ENS7_6detail15normal_iteratorINS7_10device_ptrIjEEEESH_NSE_INSF_ISA_EEEESJ_NS0_19identity_decomposerEEE10hipError_tT1_T2_T3_T4_jRjT5_jjP12ihipStream_tbEUlT_E_NS1_11comp_targetILNS1_3genE8ELNS1_11target_archE1030ELNS1_3gpuE2ELNS1_3repE0EEENS1_44radix_sort_block_sort_config_static_selectorELNS0_4arch9wavefront6targetE0EEEvSM_,"axG",@progbits,_ZN7rocprim17ROCPRIM_400000_NS6detail17trampoline_kernelINS0_13kernel_configILj256ELj4ELj4294967295EEENS1_37radix_sort_block_sort_config_selectorIjN6thrust23THRUST_200600_302600_NS5tupleIffNS7_9null_typeES9_S9_S9_S9_S9_S9_S9_EEEEZNS1_21radix_sort_block_sortIS4_Lb0ENS7_6detail15normal_iteratorINS7_10device_ptrIjEEEESH_NSE_INSF_ISA_EEEESJ_NS0_19identity_decomposerEEE10hipError_tT1_T2_T3_T4_jRjT5_jjP12ihipStream_tbEUlT_E_NS1_11comp_targetILNS1_3genE8ELNS1_11target_archE1030ELNS1_3gpuE2ELNS1_3repE0EEENS1_44radix_sort_block_sort_config_static_selectorELNS0_4arch9wavefront6targetE0EEEvSM_,comdat
.Lfunc_end15:
	.size	_ZN7rocprim17ROCPRIM_400000_NS6detail17trampoline_kernelINS0_13kernel_configILj256ELj4ELj4294967295EEENS1_37radix_sort_block_sort_config_selectorIjN6thrust23THRUST_200600_302600_NS5tupleIffNS7_9null_typeES9_S9_S9_S9_S9_S9_S9_EEEEZNS1_21radix_sort_block_sortIS4_Lb0ENS7_6detail15normal_iteratorINS7_10device_ptrIjEEEESH_NSE_INSF_ISA_EEEESJ_NS0_19identity_decomposerEEE10hipError_tT1_T2_T3_T4_jRjT5_jjP12ihipStream_tbEUlT_E_NS1_11comp_targetILNS1_3genE8ELNS1_11target_archE1030ELNS1_3gpuE2ELNS1_3repE0EEENS1_44radix_sort_block_sort_config_static_selectorELNS0_4arch9wavefront6targetE0EEEvSM_, .Lfunc_end15-_ZN7rocprim17ROCPRIM_400000_NS6detail17trampoline_kernelINS0_13kernel_configILj256ELj4ELj4294967295EEENS1_37radix_sort_block_sort_config_selectorIjN6thrust23THRUST_200600_302600_NS5tupleIffNS7_9null_typeES9_S9_S9_S9_S9_S9_S9_EEEEZNS1_21radix_sort_block_sortIS4_Lb0ENS7_6detail15normal_iteratorINS7_10device_ptrIjEEEESH_NSE_INSF_ISA_EEEESJ_NS0_19identity_decomposerEEE10hipError_tT1_T2_T3_T4_jRjT5_jjP12ihipStream_tbEUlT_E_NS1_11comp_targetILNS1_3genE8ELNS1_11target_archE1030ELNS1_3gpuE2ELNS1_3repE0EEENS1_44radix_sort_block_sort_config_static_selectorELNS0_4arch9wavefront6targetE0EEEvSM_
                                        ; -- End function
	.set _ZN7rocprim17ROCPRIM_400000_NS6detail17trampoline_kernelINS0_13kernel_configILj256ELj4ELj4294967295EEENS1_37radix_sort_block_sort_config_selectorIjN6thrust23THRUST_200600_302600_NS5tupleIffNS7_9null_typeES9_S9_S9_S9_S9_S9_S9_EEEEZNS1_21radix_sort_block_sortIS4_Lb0ENS7_6detail15normal_iteratorINS7_10device_ptrIjEEEESH_NSE_INSF_ISA_EEEESJ_NS0_19identity_decomposerEEE10hipError_tT1_T2_T3_T4_jRjT5_jjP12ihipStream_tbEUlT_E_NS1_11comp_targetILNS1_3genE8ELNS1_11target_archE1030ELNS1_3gpuE2ELNS1_3repE0EEENS1_44radix_sort_block_sort_config_static_selectorELNS0_4arch9wavefront6targetE0EEEvSM_.num_vgpr, 0
	.set _ZN7rocprim17ROCPRIM_400000_NS6detail17trampoline_kernelINS0_13kernel_configILj256ELj4ELj4294967295EEENS1_37radix_sort_block_sort_config_selectorIjN6thrust23THRUST_200600_302600_NS5tupleIffNS7_9null_typeES9_S9_S9_S9_S9_S9_S9_EEEEZNS1_21radix_sort_block_sortIS4_Lb0ENS7_6detail15normal_iteratorINS7_10device_ptrIjEEEESH_NSE_INSF_ISA_EEEESJ_NS0_19identity_decomposerEEE10hipError_tT1_T2_T3_T4_jRjT5_jjP12ihipStream_tbEUlT_E_NS1_11comp_targetILNS1_3genE8ELNS1_11target_archE1030ELNS1_3gpuE2ELNS1_3repE0EEENS1_44radix_sort_block_sort_config_static_selectorELNS0_4arch9wavefront6targetE0EEEvSM_.num_agpr, 0
	.set _ZN7rocprim17ROCPRIM_400000_NS6detail17trampoline_kernelINS0_13kernel_configILj256ELj4ELj4294967295EEENS1_37radix_sort_block_sort_config_selectorIjN6thrust23THRUST_200600_302600_NS5tupleIffNS7_9null_typeES9_S9_S9_S9_S9_S9_S9_EEEEZNS1_21radix_sort_block_sortIS4_Lb0ENS7_6detail15normal_iteratorINS7_10device_ptrIjEEEESH_NSE_INSF_ISA_EEEESJ_NS0_19identity_decomposerEEE10hipError_tT1_T2_T3_T4_jRjT5_jjP12ihipStream_tbEUlT_E_NS1_11comp_targetILNS1_3genE8ELNS1_11target_archE1030ELNS1_3gpuE2ELNS1_3repE0EEENS1_44radix_sort_block_sort_config_static_selectorELNS0_4arch9wavefront6targetE0EEEvSM_.numbered_sgpr, 0
	.set _ZN7rocprim17ROCPRIM_400000_NS6detail17trampoline_kernelINS0_13kernel_configILj256ELj4ELj4294967295EEENS1_37radix_sort_block_sort_config_selectorIjN6thrust23THRUST_200600_302600_NS5tupleIffNS7_9null_typeES9_S9_S9_S9_S9_S9_S9_EEEEZNS1_21radix_sort_block_sortIS4_Lb0ENS7_6detail15normal_iteratorINS7_10device_ptrIjEEEESH_NSE_INSF_ISA_EEEESJ_NS0_19identity_decomposerEEE10hipError_tT1_T2_T3_T4_jRjT5_jjP12ihipStream_tbEUlT_E_NS1_11comp_targetILNS1_3genE8ELNS1_11target_archE1030ELNS1_3gpuE2ELNS1_3repE0EEENS1_44radix_sort_block_sort_config_static_selectorELNS0_4arch9wavefront6targetE0EEEvSM_.num_named_barrier, 0
	.set _ZN7rocprim17ROCPRIM_400000_NS6detail17trampoline_kernelINS0_13kernel_configILj256ELj4ELj4294967295EEENS1_37radix_sort_block_sort_config_selectorIjN6thrust23THRUST_200600_302600_NS5tupleIffNS7_9null_typeES9_S9_S9_S9_S9_S9_S9_EEEEZNS1_21radix_sort_block_sortIS4_Lb0ENS7_6detail15normal_iteratorINS7_10device_ptrIjEEEESH_NSE_INSF_ISA_EEEESJ_NS0_19identity_decomposerEEE10hipError_tT1_T2_T3_T4_jRjT5_jjP12ihipStream_tbEUlT_E_NS1_11comp_targetILNS1_3genE8ELNS1_11target_archE1030ELNS1_3gpuE2ELNS1_3repE0EEENS1_44radix_sort_block_sort_config_static_selectorELNS0_4arch9wavefront6targetE0EEEvSM_.private_seg_size, 0
	.set _ZN7rocprim17ROCPRIM_400000_NS6detail17trampoline_kernelINS0_13kernel_configILj256ELj4ELj4294967295EEENS1_37radix_sort_block_sort_config_selectorIjN6thrust23THRUST_200600_302600_NS5tupleIffNS7_9null_typeES9_S9_S9_S9_S9_S9_S9_EEEEZNS1_21radix_sort_block_sortIS4_Lb0ENS7_6detail15normal_iteratorINS7_10device_ptrIjEEEESH_NSE_INSF_ISA_EEEESJ_NS0_19identity_decomposerEEE10hipError_tT1_T2_T3_T4_jRjT5_jjP12ihipStream_tbEUlT_E_NS1_11comp_targetILNS1_3genE8ELNS1_11target_archE1030ELNS1_3gpuE2ELNS1_3repE0EEENS1_44radix_sort_block_sort_config_static_selectorELNS0_4arch9wavefront6targetE0EEEvSM_.uses_vcc, 0
	.set _ZN7rocprim17ROCPRIM_400000_NS6detail17trampoline_kernelINS0_13kernel_configILj256ELj4ELj4294967295EEENS1_37radix_sort_block_sort_config_selectorIjN6thrust23THRUST_200600_302600_NS5tupleIffNS7_9null_typeES9_S9_S9_S9_S9_S9_S9_EEEEZNS1_21radix_sort_block_sortIS4_Lb0ENS7_6detail15normal_iteratorINS7_10device_ptrIjEEEESH_NSE_INSF_ISA_EEEESJ_NS0_19identity_decomposerEEE10hipError_tT1_T2_T3_T4_jRjT5_jjP12ihipStream_tbEUlT_E_NS1_11comp_targetILNS1_3genE8ELNS1_11target_archE1030ELNS1_3gpuE2ELNS1_3repE0EEENS1_44radix_sort_block_sort_config_static_selectorELNS0_4arch9wavefront6targetE0EEEvSM_.uses_flat_scratch, 0
	.set _ZN7rocprim17ROCPRIM_400000_NS6detail17trampoline_kernelINS0_13kernel_configILj256ELj4ELj4294967295EEENS1_37radix_sort_block_sort_config_selectorIjN6thrust23THRUST_200600_302600_NS5tupleIffNS7_9null_typeES9_S9_S9_S9_S9_S9_S9_EEEEZNS1_21radix_sort_block_sortIS4_Lb0ENS7_6detail15normal_iteratorINS7_10device_ptrIjEEEESH_NSE_INSF_ISA_EEEESJ_NS0_19identity_decomposerEEE10hipError_tT1_T2_T3_T4_jRjT5_jjP12ihipStream_tbEUlT_E_NS1_11comp_targetILNS1_3genE8ELNS1_11target_archE1030ELNS1_3gpuE2ELNS1_3repE0EEENS1_44radix_sort_block_sort_config_static_selectorELNS0_4arch9wavefront6targetE0EEEvSM_.has_dyn_sized_stack, 0
	.set _ZN7rocprim17ROCPRIM_400000_NS6detail17trampoline_kernelINS0_13kernel_configILj256ELj4ELj4294967295EEENS1_37radix_sort_block_sort_config_selectorIjN6thrust23THRUST_200600_302600_NS5tupleIffNS7_9null_typeES9_S9_S9_S9_S9_S9_S9_EEEEZNS1_21radix_sort_block_sortIS4_Lb0ENS7_6detail15normal_iteratorINS7_10device_ptrIjEEEESH_NSE_INSF_ISA_EEEESJ_NS0_19identity_decomposerEEE10hipError_tT1_T2_T3_T4_jRjT5_jjP12ihipStream_tbEUlT_E_NS1_11comp_targetILNS1_3genE8ELNS1_11target_archE1030ELNS1_3gpuE2ELNS1_3repE0EEENS1_44radix_sort_block_sort_config_static_selectorELNS0_4arch9wavefront6targetE0EEEvSM_.has_recursion, 0
	.set _ZN7rocprim17ROCPRIM_400000_NS6detail17trampoline_kernelINS0_13kernel_configILj256ELj4ELj4294967295EEENS1_37radix_sort_block_sort_config_selectorIjN6thrust23THRUST_200600_302600_NS5tupleIffNS7_9null_typeES9_S9_S9_S9_S9_S9_S9_EEEEZNS1_21radix_sort_block_sortIS4_Lb0ENS7_6detail15normal_iteratorINS7_10device_ptrIjEEEESH_NSE_INSF_ISA_EEEESJ_NS0_19identity_decomposerEEE10hipError_tT1_T2_T3_T4_jRjT5_jjP12ihipStream_tbEUlT_E_NS1_11comp_targetILNS1_3genE8ELNS1_11target_archE1030ELNS1_3gpuE2ELNS1_3repE0EEENS1_44radix_sort_block_sort_config_static_selectorELNS0_4arch9wavefront6targetE0EEEvSM_.has_indirect_call, 0
	.section	.AMDGPU.csdata,"",@progbits
; Kernel info:
; codeLenInByte = 0
; TotalNumSgprs: 0
; NumVgprs: 0
; ScratchSize: 0
; MemoryBound: 0
; FloatMode: 240
; IeeeMode: 1
; LDSByteSize: 0 bytes/workgroup (compile time only)
; SGPRBlocks: 0
; VGPRBlocks: 0
; NumSGPRsForWavesPerEU: 1
; NumVGPRsForWavesPerEU: 1
; NamedBarCnt: 0
; Occupancy: 16
; WaveLimiterHint : 0
; COMPUTE_PGM_RSRC2:SCRATCH_EN: 0
; COMPUTE_PGM_RSRC2:USER_SGPR: 2
; COMPUTE_PGM_RSRC2:TRAP_HANDLER: 0
; COMPUTE_PGM_RSRC2:TGID_X_EN: 1
; COMPUTE_PGM_RSRC2:TGID_Y_EN: 0
; COMPUTE_PGM_RSRC2:TGID_Z_EN: 0
; COMPUTE_PGM_RSRC2:TIDIG_COMP_CNT: 0
	.section	.text._ZN7rocprim17ROCPRIM_400000_NS6detail44device_merge_sort_compile_time_verifier_archINS1_11comp_targetILNS1_3genE0ELNS1_11target_archE4294967295ELNS1_3gpuE0ELNS1_3repE0EEES8_NS1_28merge_sort_block_sort_configILj256ELj4ELNS0_20block_sort_algorithmE0EEENS0_14default_configENS1_37merge_sort_block_sort_config_selectorIjN6thrust23THRUST_200600_302600_NS5tupleIffNSF_9null_typeESH_SH_SH_SH_SH_SH_SH_EEEENS1_38merge_sort_block_merge_config_selectorIjSI_EEEEvv,"axG",@progbits,_ZN7rocprim17ROCPRIM_400000_NS6detail44device_merge_sort_compile_time_verifier_archINS1_11comp_targetILNS1_3genE0ELNS1_11target_archE4294967295ELNS1_3gpuE0ELNS1_3repE0EEES8_NS1_28merge_sort_block_sort_configILj256ELj4ELNS0_20block_sort_algorithmE0EEENS0_14default_configENS1_37merge_sort_block_sort_config_selectorIjN6thrust23THRUST_200600_302600_NS5tupleIffNSF_9null_typeESH_SH_SH_SH_SH_SH_SH_EEEENS1_38merge_sort_block_merge_config_selectorIjSI_EEEEvv,comdat
	.protected	_ZN7rocprim17ROCPRIM_400000_NS6detail44device_merge_sort_compile_time_verifier_archINS1_11comp_targetILNS1_3genE0ELNS1_11target_archE4294967295ELNS1_3gpuE0ELNS1_3repE0EEES8_NS1_28merge_sort_block_sort_configILj256ELj4ELNS0_20block_sort_algorithmE0EEENS0_14default_configENS1_37merge_sort_block_sort_config_selectorIjN6thrust23THRUST_200600_302600_NS5tupleIffNSF_9null_typeESH_SH_SH_SH_SH_SH_SH_EEEENS1_38merge_sort_block_merge_config_selectorIjSI_EEEEvv ; -- Begin function _ZN7rocprim17ROCPRIM_400000_NS6detail44device_merge_sort_compile_time_verifier_archINS1_11comp_targetILNS1_3genE0ELNS1_11target_archE4294967295ELNS1_3gpuE0ELNS1_3repE0EEES8_NS1_28merge_sort_block_sort_configILj256ELj4ELNS0_20block_sort_algorithmE0EEENS0_14default_configENS1_37merge_sort_block_sort_config_selectorIjN6thrust23THRUST_200600_302600_NS5tupleIffNSF_9null_typeESH_SH_SH_SH_SH_SH_SH_EEEENS1_38merge_sort_block_merge_config_selectorIjSI_EEEEvv
	.globl	_ZN7rocprim17ROCPRIM_400000_NS6detail44device_merge_sort_compile_time_verifier_archINS1_11comp_targetILNS1_3genE0ELNS1_11target_archE4294967295ELNS1_3gpuE0ELNS1_3repE0EEES8_NS1_28merge_sort_block_sort_configILj256ELj4ELNS0_20block_sort_algorithmE0EEENS0_14default_configENS1_37merge_sort_block_sort_config_selectorIjN6thrust23THRUST_200600_302600_NS5tupleIffNSF_9null_typeESH_SH_SH_SH_SH_SH_SH_EEEENS1_38merge_sort_block_merge_config_selectorIjSI_EEEEvv
	.p2align	8
	.type	_ZN7rocprim17ROCPRIM_400000_NS6detail44device_merge_sort_compile_time_verifier_archINS1_11comp_targetILNS1_3genE0ELNS1_11target_archE4294967295ELNS1_3gpuE0ELNS1_3repE0EEES8_NS1_28merge_sort_block_sort_configILj256ELj4ELNS0_20block_sort_algorithmE0EEENS0_14default_configENS1_37merge_sort_block_sort_config_selectorIjN6thrust23THRUST_200600_302600_NS5tupleIffNSF_9null_typeESH_SH_SH_SH_SH_SH_SH_EEEENS1_38merge_sort_block_merge_config_selectorIjSI_EEEEvv,@function
_ZN7rocprim17ROCPRIM_400000_NS6detail44device_merge_sort_compile_time_verifier_archINS1_11comp_targetILNS1_3genE0ELNS1_11target_archE4294967295ELNS1_3gpuE0ELNS1_3repE0EEES8_NS1_28merge_sort_block_sort_configILj256ELj4ELNS0_20block_sort_algorithmE0EEENS0_14default_configENS1_37merge_sort_block_sort_config_selectorIjN6thrust23THRUST_200600_302600_NS5tupleIffNSF_9null_typeESH_SH_SH_SH_SH_SH_SH_EEEENS1_38merge_sort_block_merge_config_selectorIjSI_EEEEvv: ; @_ZN7rocprim17ROCPRIM_400000_NS6detail44device_merge_sort_compile_time_verifier_archINS1_11comp_targetILNS1_3genE0ELNS1_11target_archE4294967295ELNS1_3gpuE0ELNS1_3repE0EEES8_NS1_28merge_sort_block_sort_configILj256ELj4ELNS0_20block_sort_algorithmE0EEENS0_14default_configENS1_37merge_sort_block_sort_config_selectorIjN6thrust23THRUST_200600_302600_NS5tupleIffNSF_9null_typeESH_SH_SH_SH_SH_SH_SH_EEEENS1_38merge_sort_block_merge_config_selectorIjSI_EEEEvv
; %bb.0:
	s_endpgm
	.section	.rodata,"a",@progbits
	.p2align	6, 0x0
	.amdhsa_kernel _ZN7rocprim17ROCPRIM_400000_NS6detail44device_merge_sort_compile_time_verifier_archINS1_11comp_targetILNS1_3genE0ELNS1_11target_archE4294967295ELNS1_3gpuE0ELNS1_3repE0EEES8_NS1_28merge_sort_block_sort_configILj256ELj4ELNS0_20block_sort_algorithmE0EEENS0_14default_configENS1_37merge_sort_block_sort_config_selectorIjN6thrust23THRUST_200600_302600_NS5tupleIffNSF_9null_typeESH_SH_SH_SH_SH_SH_SH_EEEENS1_38merge_sort_block_merge_config_selectorIjSI_EEEEvv
		.amdhsa_group_segment_fixed_size 0
		.amdhsa_private_segment_fixed_size 0
		.amdhsa_kernarg_size 0
		.amdhsa_user_sgpr_count 0
		.amdhsa_user_sgpr_dispatch_ptr 0
		.amdhsa_user_sgpr_queue_ptr 0
		.amdhsa_user_sgpr_kernarg_segment_ptr 0
		.amdhsa_user_sgpr_dispatch_id 0
		.amdhsa_user_sgpr_kernarg_preload_length 0
		.amdhsa_user_sgpr_kernarg_preload_offset 0
		.amdhsa_user_sgpr_private_segment_size 0
		.amdhsa_wavefront_size32 1
		.amdhsa_uses_dynamic_stack 0
		.amdhsa_enable_private_segment 0
		.amdhsa_system_sgpr_workgroup_id_x 1
		.amdhsa_system_sgpr_workgroup_id_y 0
		.amdhsa_system_sgpr_workgroup_id_z 0
		.amdhsa_system_sgpr_workgroup_info 0
		.amdhsa_system_vgpr_workitem_id 0
		.amdhsa_next_free_vgpr 1
		.amdhsa_next_free_sgpr 1
		.amdhsa_named_barrier_count 0
		.amdhsa_reserve_vcc 0
		.amdhsa_float_round_mode_32 0
		.amdhsa_float_round_mode_16_64 0
		.amdhsa_float_denorm_mode_32 3
		.amdhsa_float_denorm_mode_16_64 3
		.amdhsa_fp16_overflow 0
		.amdhsa_memory_ordered 1
		.amdhsa_forward_progress 1
		.amdhsa_inst_pref_size 1
		.amdhsa_round_robin_scheduling 0
		.amdhsa_exception_fp_ieee_invalid_op 0
		.amdhsa_exception_fp_denorm_src 0
		.amdhsa_exception_fp_ieee_div_zero 0
		.amdhsa_exception_fp_ieee_overflow 0
		.amdhsa_exception_fp_ieee_underflow 0
		.amdhsa_exception_fp_ieee_inexact 0
		.amdhsa_exception_int_div_zero 0
	.end_amdhsa_kernel
	.section	.text._ZN7rocprim17ROCPRIM_400000_NS6detail44device_merge_sort_compile_time_verifier_archINS1_11comp_targetILNS1_3genE0ELNS1_11target_archE4294967295ELNS1_3gpuE0ELNS1_3repE0EEES8_NS1_28merge_sort_block_sort_configILj256ELj4ELNS0_20block_sort_algorithmE0EEENS0_14default_configENS1_37merge_sort_block_sort_config_selectorIjN6thrust23THRUST_200600_302600_NS5tupleIffNSF_9null_typeESH_SH_SH_SH_SH_SH_SH_EEEENS1_38merge_sort_block_merge_config_selectorIjSI_EEEEvv,"axG",@progbits,_ZN7rocprim17ROCPRIM_400000_NS6detail44device_merge_sort_compile_time_verifier_archINS1_11comp_targetILNS1_3genE0ELNS1_11target_archE4294967295ELNS1_3gpuE0ELNS1_3repE0EEES8_NS1_28merge_sort_block_sort_configILj256ELj4ELNS0_20block_sort_algorithmE0EEENS0_14default_configENS1_37merge_sort_block_sort_config_selectorIjN6thrust23THRUST_200600_302600_NS5tupleIffNSF_9null_typeESH_SH_SH_SH_SH_SH_SH_EEEENS1_38merge_sort_block_merge_config_selectorIjSI_EEEEvv,comdat
.Lfunc_end16:
	.size	_ZN7rocprim17ROCPRIM_400000_NS6detail44device_merge_sort_compile_time_verifier_archINS1_11comp_targetILNS1_3genE0ELNS1_11target_archE4294967295ELNS1_3gpuE0ELNS1_3repE0EEES8_NS1_28merge_sort_block_sort_configILj256ELj4ELNS0_20block_sort_algorithmE0EEENS0_14default_configENS1_37merge_sort_block_sort_config_selectorIjN6thrust23THRUST_200600_302600_NS5tupleIffNSF_9null_typeESH_SH_SH_SH_SH_SH_SH_EEEENS1_38merge_sort_block_merge_config_selectorIjSI_EEEEvv, .Lfunc_end16-_ZN7rocprim17ROCPRIM_400000_NS6detail44device_merge_sort_compile_time_verifier_archINS1_11comp_targetILNS1_3genE0ELNS1_11target_archE4294967295ELNS1_3gpuE0ELNS1_3repE0EEES8_NS1_28merge_sort_block_sort_configILj256ELj4ELNS0_20block_sort_algorithmE0EEENS0_14default_configENS1_37merge_sort_block_sort_config_selectorIjN6thrust23THRUST_200600_302600_NS5tupleIffNSF_9null_typeESH_SH_SH_SH_SH_SH_SH_EEEENS1_38merge_sort_block_merge_config_selectorIjSI_EEEEvv
                                        ; -- End function
	.set _ZN7rocprim17ROCPRIM_400000_NS6detail44device_merge_sort_compile_time_verifier_archINS1_11comp_targetILNS1_3genE0ELNS1_11target_archE4294967295ELNS1_3gpuE0ELNS1_3repE0EEES8_NS1_28merge_sort_block_sort_configILj256ELj4ELNS0_20block_sort_algorithmE0EEENS0_14default_configENS1_37merge_sort_block_sort_config_selectorIjN6thrust23THRUST_200600_302600_NS5tupleIffNSF_9null_typeESH_SH_SH_SH_SH_SH_SH_EEEENS1_38merge_sort_block_merge_config_selectorIjSI_EEEEvv.num_vgpr, 0
	.set _ZN7rocprim17ROCPRIM_400000_NS6detail44device_merge_sort_compile_time_verifier_archINS1_11comp_targetILNS1_3genE0ELNS1_11target_archE4294967295ELNS1_3gpuE0ELNS1_3repE0EEES8_NS1_28merge_sort_block_sort_configILj256ELj4ELNS0_20block_sort_algorithmE0EEENS0_14default_configENS1_37merge_sort_block_sort_config_selectorIjN6thrust23THRUST_200600_302600_NS5tupleIffNSF_9null_typeESH_SH_SH_SH_SH_SH_SH_EEEENS1_38merge_sort_block_merge_config_selectorIjSI_EEEEvv.num_agpr, 0
	.set _ZN7rocprim17ROCPRIM_400000_NS6detail44device_merge_sort_compile_time_verifier_archINS1_11comp_targetILNS1_3genE0ELNS1_11target_archE4294967295ELNS1_3gpuE0ELNS1_3repE0EEES8_NS1_28merge_sort_block_sort_configILj256ELj4ELNS0_20block_sort_algorithmE0EEENS0_14default_configENS1_37merge_sort_block_sort_config_selectorIjN6thrust23THRUST_200600_302600_NS5tupleIffNSF_9null_typeESH_SH_SH_SH_SH_SH_SH_EEEENS1_38merge_sort_block_merge_config_selectorIjSI_EEEEvv.numbered_sgpr, 0
	.set _ZN7rocprim17ROCPRIM_400000_NS6detail44device_merge_sort_compile_time_verifier_archINS1_11comp_targetILNS1_3genE0ELNS1_11target_archE4294967295ELNS1_3gpuE0ELNS1_3repE0EEES8_NS1_28merge_sort_block_sort_configILj256ELj4ELNS0_20block_sort_algorithmE0EEENS0_14default_configENS1_37merge_sort_block_sort_config_selectorIjN6thrust23THRUST_200600_302600_NS5tupleIffNSF_9null_typeESH_SH_SH_SH_SH_SH_SH_EEEENS1_38merge_sort_block_merge_config_selectorIjSI_EEEEvv.num_named_barrier, 0
	.set _ZN7rocprim17ROCPRIM_400000_NS6detail44device_merge_sort_compile_time_verifier_archINS1_11comp_targetILNS1_3genE0ELNS1_11target_archE4294967295ELNS1_3gpuE0ELNS1_3repE0EEES8_NS1_28merge_sort_block_sort_configILj256ELj4ELNS0_20block_sort_algorithmE0EEENS0_14default_configENS1_37merge_sort_block_sort_config_selectorIjN6thrust23THRUST_200600_302600_NS5tupleIffNSF_9null_typeESH_SH_SH_SH_SH_SH_SH_EEEENS1_38merge_sort_block_merge_config_selectorIjSI_EEEEvv.private_seg_size, 0
	.set _ZN7rocprim17ROCPRIM_400000_NS6detail44device_merge_sort_compile_time_verifier_archINS1_11comp_targetILNS1_3genE0ELNS1_11target_archE4294967295ELNS1_3gpuE0ELNS1_3repE0EEES8_NS1_28merge_sort_block_sort_configILj256ELj4ELNS0_20block_sort_algorithmE0EEENS0_14default_configENS1_37merge_sort_block_sort_config_selectorIjN6thrust23THRUST_200600_302600_NS5tupleIffNSF_9null_typeESH_SH_SH_SH_SH_SH_SH_EEEENS1_38merge_sort_block_merge_config_selectorIjSI_EEEEvv.uses_vcc, 0
	.set _ZN7rocprim17ROCPRIM_400000_NS6detail44device_merge_sort_compile_time_verifier_archINS1_11comp_targetILNS1_3genE0ELNS1_11target_archE4294967295ELNS1_3gpuE0ELNS1_3repE0EEES8_NS1_28merge_sort_block_sort_configILj256ELj4ELNS0_20block_sort_algorithmE0EEENS0_14default_configENS1_37merge_sort_block_sort_config_selectorIjN6thrust23THRUST_200600_302600_NS5tupleIffNSF_9null_typeESH_SH_SH_SH_SH_SH_SH_EEEENS1_38merge_sort_block_merge_config_selectorIjSI_EEEEvv.uses_flat_scratch, 0
	.set _ZN7rocprim17ROCPRIM_400000_NS6detail44device_merge_sort_compile_time_verifier_archINS1_11comp_targetILNS1_3genE0ELNS1_11target_archE4294967295ELNS1_3gpuE0ELNS1_3repE0EEES8_NS1_28merge_sort_block_sort_configILj256ELj4ELNS0_20block_sort_algorithmE0EEENS0_14default_configENS1_37merge_sort_block_sort_config_selectorIjN6thrust23THRUST_200600_302600_NS5tupleIffNSF_9null_typeESH_SH_SH_SH_SH_SH_SH_EEEENS1_38merge_sort_block_merge_config_selectorIjSI_EEEEvv.has_dyn_sized_stack, 0
	.set _ZN7rocprim17ROCPRIM_400000_NS6detail44device_merge_sort_compile_time_verifier_archINS1_11comp_targetILNS1_3genE0ELNS1_11target_archE4294967295ELNS1_3gpuE0ELNS1_3repE0EEES8_NS1_28merge_sort_block_sort_configILj256ELj4ELNS0_20block_sort_algorithmE0EEENS0_14default_configENS1_37merge_sort_block_sort_config_selectorIjN6thrust23THRUST_200600_302600_NS5tupleIffNSF_9null_typeESH_SH_SH_SH_SH_SH_SH_EEEENS1_38merge_sort_block_merge_config_selectorIjSI_EEEEvv.has_recursion, 0
	.set _ZN7rocprim17ROCPRIM_400000_NS6detail44device_merge_sort_compile_time_verifier_archINS1_11comp_targetILNS1_3genE0ELNS1_11target_archE4294967295ELNS1_3gpuE0ELNS1_3repE0EEES8_NS1_28merge_sort_block_sort_configILj256ELj4ELNS0_20block_sort_algorithmE0EEENS0_14default_configENS1_37merge_sort_block_sort_config_selectorIjN6thrust23THRUST_200600_302600_NS5tupleIffNSF_9null_typeESH_SH_SH_SH_SH_SH_SH_EEEENS1_38merge_sort_block_merge_config_selectorIjSI_EEEEvv.has_indirect_call, 0
	.section	.AMDGPU.csdata,"",@progbits
; Kernel info:
; codeLenInByte = 4
; TotalNumSgprs: 0
; NumVgprs: 0
; ScratchSize: 0
; MemoryBound: 0
; FloatMode: 240
; IeeeMode: 1
; LDSByteSize: 0 bytes/workgroup (compile time only)
; SGPRBlocks: 0
; VGPRBlocks: 0
; NumSGPRsForWavesPerEU: 1
; NumVGPRsForWavesPerEU: 1
; NamedBarCnt: 0
; Occupancy: 16
; WaveLimiterHint : 0
; COMPUTE_PGM_RSRC2:SCRATCH_EN: 0
; COMPUTE_PGM_RSRC2:USER_SGPR: 0
; COMPUTE_PGM_RSRC2:TRAP_HANDLER: 0
; COMPUTE_PGM_RSRC2:TGID_X_EN: 1
; COMPUTE_PGM_RSRC2:TGID_Y_EN: 0
; COMPUTE_PGM_RSRC2:TGID_Z_EN: 0
; COMPUTE_PGM_RSRC2:TIDIG_COMP_CNT: 0
	.section	.text._ZN7rocprim17ROCPRIM_400000_NS6detail44device_merge_sort_compile_time_verifier_archINS1_11comp_targetILNS1_3genE5ELNS1_11target_archE942ELNS1_3gpuE9ELNS1_3repE0EEES8_NS1_28merge_sort_block_sort_configILj256ELj4ELNS0_20block_sort_algorithmE0EEENS0_14default_configENS1_37merge_sort_block_sort_config_selectorIjN6thrust23THRUST_200600_302600_NS5tupleIffNSF_9null_typeESH_SH_SH_SH_SH_SH_SH_EEEENS1_38merge_sort_block_merge_config_selectorIjSI_EEEEvv,"axG",@progbits,_ZN7rocprim17ROCPRIM_400000_NS6detail44device_merge_sort_compile_time_verifier_archINS1_11comp_targetILNS1_3genE5ELNS1_11target_archE942ELNS1_3gpuE9ELNS1_3repE0EEES8_NS1_28merge_sort_block_sort_configILj256ELj4ELNS0_20block_sort_algorithmE0EEENS0_14default_configENS1_37merge_sort_block_sort_config_selectorIjN6thrust23THRUST_200600_302600_NS5tupleIffNSF_9null_typeESH_SH_SH_SH_SH_SH_SH_EEEENS1_38merge_sort_block_merge_config_selectorIjSI_EEEEvv,comdat
	.protected	_ZN7rocprim17ROCPRIM_400000_NS6detail44device_merge_sort_compile_time_verifier_archINS1_11comp_targetILNS1_3genE5ELNS1_11target_archE942ELNS1_3gpuE9ELNS1_3repE0EEES8_NS1_28merge_sort_block_sort_configILj256ELj4ELNS0_20block_sort_algorithmE0EEENS0_14default_configENS1_37merge_sort_block_sort_config_selectorIjN6thrust23THRUST_200600_302600_NS5tupleIffNSF_9null_typeESH_SH_SH_SH_SH_SH_SH_EEEENS1_38merge_sort_block_merge_config_selectorIjSI_EEEEvv ; -- Begin function _ZN7rocprim17ROCPRIM_400000_NS6detail44device_merge_sort_compile_time_verifier_archINS1_11comp_targetILNS1_3genE5ELNS1_11target_archE942ELNS1_3gpuE9ELNS1_3repE0EEES8_NS1_28merge_sort_block_sort_configILj256ELj4ELNS0_20block_sort_algorithmE0EEENS0_14default_configENS1_37merge_sort_block_sort_config_selectorIjN6thrust23THRUST_200600_302600_NS5tupleIffNSF_9null_typeESH_SH_SH_SH_SH_SH_SH_EEEENS1_38merge_sort_block_merge_config_selectorIjSI_EEEEvv
	.globl	_ZN7rocprim17ROCPRIM_400000_NS6detail44device_merge_sort_compile_time_verifier_archINS1_11comp_targetILNS1_3genE5ELNS1_11target_archE942ELNS1_3gpuE9ELNS1_3repE0EEES8_NS1_28merge_sort_block_sort_configILj256ELj4ELNS0_20block_sort_algorithmE0EEENS0_14default_configENS1_37merge_sort_block_sort_config_selectorIjN6thrust23THRUST_200600_302600_NS5tupleIffNSF_9null_typeESH_SH_SH_SH_SH_SH_SH_EEEENS1_38merge_sort_block_merge_config_selectorIjSI_EEEEvv
	.p2align	8
	.type	_ZN7rocprim17ROCPRIM_400000_NS6detail44device_merge_sort_compile_time_verifier_archINS1_11comp_targetILNS1_3genE5ELNS1_11target_archE942ELNS1_3gpuE9ELNS1_3repE0EEES8_NS1_28merge_sort_block_sort_configILj256ELj4ELNS0_20block_sort_algorithmE0EEENS0_14default_configENS1_37merge_sort_block_sort_config_selectorIjN6thrust23THRUST_200600_302600_NS5tupleIffNSF_9null_typeESH_SH_SH_SH_SH_SH_SH_EEEENS1_38merge_sort_block_merge_config_selectorIjSI_EEEEvv,@function
_ZN7rocprim17ROCPRIM_400000_NS6detail44device_merge_sort_compile_time_verifier_archINS1_11comp_targetILNS1_3genE5ELNS1_11target_archE942ELNS1_3gpuE9ELNS1_3repE0EEES8_NS1_28merge_sort_block_sort_configILj256ELj4ELNS0_20block_sort_algorithmE0EEENS0_14default_configENS1_37merge_sort_block_sort_config_selectorIjN6thrust23THRUST_200600_302600_NS5tupleIffNSF_9null_typeESH_SH_SH_SH_SH_SH_SH_EEEENS1_38merge_sort_block_merge_config_selectorIjSI_EEEEvv: ; @_ZN7rocprim17ROCPRIM_400000_NS6detail44device_merge_sort_compile_time_verifier_archINS1_11comp_targetILNS1_3genE5ELNS1_11target_archE942ELNS1_3gpuE9ELNS1_3repE0EEES8_NS1_28merge_sort_block_sort_configILj256ELj4ELNS0_20block_sort_algorithmE0EEENS0_14default_configENS1_37merge_sort_block_sort_config_selectorIjN6thrust23THRUST_200600_302600_NS5tupleIffNSF_9null_typeESH_SH_SH_SH_SH_SH_SH_EEEENS1_38merge_sort_block_merge_config_selectorIjSI_EEEEvv
; %bb.0:
	s_endpgm
	.section	.rodata,"a",@progbits
	.p2align	6, 0x0
	.amdhsa_kernel _ZN7rocprim17ROCPRIM_400000_NS6detail44device_merge_sort_compile_time_verifier_archINS1_11comp_targetILNS1_3genE5ELNS1_11target_archE942ELNS1_3gpuE9ELNS1_3repE0EEES8_NS1_28merge_sort_block_sort_configILj256ELj4ELNS0_20block_sort_algorithmE0EEENS0_14default_configENS1_37merge_sort_block_sort_config_selectorIjN6thrust23THRUST_200600_302600_NS5tupleIffNSF_9null_typeESH_SH_SH_SH_SH_SH_SH_EEEENS1_38merge_sort_block_merge_config_selectorIjSI_EEEEvv
		.amdhsa_group_segment_fixed_size 0
		.amdhsa_private_segment_fixed_size 0
		.amdhsa_kernarg_size 0
		.amdhsa_user_sgpr_count 0
		.amdhsa_user_sgpr_dispatch_ptr 0
		.amdhsa_user_sgpr_queue_ptr 0
		.amdhsa_user_sgpr_kernarg_segment_ptr 0
		.amdhsa_user_sgpr_dispatch_id 0
		.amdhsa_user_sgpr_kernarg_preload_length 0
		.amdhsa_user_sgpr_kernarg_preload_offset 0
		.amdhsa_user_sgpr_private_segment_size 0
		.amdhsa_wavefront_size32 1
		.amdhsa_uses_dynamic_stack 0
		.amdhsa_enable_private_segment 0
		.amdhsa_system_sgpr_workgroup_id_x 1
		.amdhsa_system_sgpr_workgroup_id_y 0
		.amdhsa_system_sgpr_workgroup_id_z 0
		.amdhsa_system_sgpr_workgroup_info 0
		.amdhsa_system_vgpr_workitem_id 0
		.amdhsa_next_free_vgpr 1
		.amdhsa_next_free_sgpr 1
		.amdhsa_named_barrier_count 0
		.amdhsa_reserve_vcc 0
		.amdhsa_float_round_mode_32 0
		.amdhsa_float_round_mode_16_64 0
		.amdhsa_float_denorm_mode_32 3
		.amdhsa_float_denorm_mode_16_64 3
		.amdhsa_fp16_overflow 0
		.amdhsa_memory_ordered 1
		.amdhsa_forward_progress 1
		.amdhsa_inst_pref_size 1
		.amdhsa_round_robin_scheduling 0
		.amdhsa_exception_fp_ieee_invalid_op 0
		.amdhsa_exception_fp_denorm_src 0
		.amdhsa_exception_fp_ieee_div_zero 0
		.amdhsa_exception_fp_ieee_overflow 0
		.amdhsa_exception_fp_ieee_underflow 0
		.amdhsa_exception_fp_ieee_inexact 0
		.amdhsa_exception_int_div_zero 0
	.end_amdhsa_kernel
	.section	.text._ZN7rocprim17ROCPRIM_400000_NS6detail44device_merge_sort_compile_time_verifier_archINS1_11comp_targetILNS1_3genE5ELNS1_11target_archE942ELNS1_3gpuE9ELNS1_3repE0EEES8_NS1_28merge_sort_block_sort_configILj256ELj4ELNS0_20block_sort_algorithmE0EEENS0_14default_configENS1_37merge_sort_block_sort_config_selectorIjN6thrust23THRUST_200600_302600_NS5tupleIffNSF_9null_typeESH_SH_SH_SH_SH_SH_SH_EEEENS1_38merge_sort_block_merge_config_selectorIjSI_EEEEvv,"axG",@progbits,_ZN7rocprim17ROCPRIM_400000_NS6detail44device_merge_sort_compile_time_verifier_archINS1_11comp_targetILNS1_3genE5ELNS1_11target_archE942ELNS1_3gpuE9ELNS1_3repE0EEES8_NS1_28merge_sort_block_sort_configILj256ELj4ELNS0_20block_sort_algorithmE0EEENS0_14default_configENS1_37merge_sort_block_sort_config_selectorIjN6thrust23THRUST_200600_302600_NS5tupleIffNSF_9null_typeESH_SH_SH_SH_SH_SH_SH_EEEENS1_38merge_sort_block_merge_config_selectorIjSI_EEEEvv,comdat
.Lfunc_end17:
	.size	_ZN7rocprim17ROCPRIM_400000_NS6detail44device_merge_sort_compile_time_verifier_archINS1_11comp_targetILNS1_3genE5ELNS1_11target_archE942ELNS1_3gpuE9ELNS1_3repE0EEES8_NS1_28merge_sort_block_sort_configILj256ELj4ELNS0_20block_sort_algorithmE0EEENS0_14default_configENS1_37merge_sort_block_sort_config_selectorIjN6thrust23THRUST_200600_302600_NS5tupleIffNSF_9null_typeESH_SH_SH_SH_SH_SH_SH_EEEENS1_38merge_sort_block_merge_config_selectorIjSI_EEEEvv, .Lfunc_end17-_ZN7rocprim17ROCPRIM_400000_NS6detail44device_merge_sort_compile_time_verifier_archINS1_11comp_targetILNS1_3genE5ELNS1_11target_archE942ELNS1_3gpuE9ELNS1_3repE0EEES8_NS1_28merge_sort_block_sort_configILj256ELj4ELNS0_20block_sort_algorithmE0EEENS0_14default_configENS1_37merge_sort_block_sort_config_selectorIjN6thrust23THRUST_200600_302600_NS5tupleIffNSF_9null_typeESH_SH_SH_SH_SH_SH_SH_EEEENS1_38merge_sort_block_merge_config_selectorIjSI_EEEEvv
                                        ; -- End function
	.set _ZN7rocprim17ROCPRIM_400000_NS6detail44device_merge_sort_compile_time_verifier_archINS1_11comp_targetILNS1_3genE5ELNS1_11target_archE942ELNS1_3gpuE9ELNS1_3repE0EEES8_NS1_28merge_sort_block_sort_configILj256ELj4ELNS0_20block_sort_algorithmE0EEENS0_14default_configENS1_37merge_sort_block_sort_config_selectorIjN6thrust23THRUST_200600_302600_NS5tupleIffNSF_9null_typeESH_SH_SH_SH_SH_SH_SH_EEEENS1_38merge_sort_block_merge_config_selectorIjSI_EEEEvv.num_vgpr, 0
	.set _ZN7rocprim17ROCPRIM_400000_NS6detail44device_merge_sort_compile_time_verifier_archINS1_11comp_targetILNS1_3genE5ELNS1_11target_archE942ELNS1_3gpuE9ELNS1_3repE0EEES8_NS1_28merge_sort_block_sort_configILj256ELj4ELNS0_20block_sort_algorithmE0EEENS0_14default_configENS1_37merge_sort_block_sort_config_selectorIjN6thrust23THRUST_200600_302600_NS5tupleIffNSF_9null_typeESH_SH_SH_SH_SH_SH_SH_EEEENS1_38merge_sort_block_merge_config_selectorIjSI_EEEEvv.num_agpr, 0
	.set _ZN7rocprim17ROCPRIM_400000_NS6detail44device_merge_sort_compile_time_verifier_archINS1_11comp_targetILNS1_3genE5ELNS1_11target_archE942ELNS1_3gpuE9ELNS1_3repE0EEES8_NS1_28merge_sort_block_sort_configILj256ELj4ELNS0_20block_sort_algorithmE0EEENS0_14default_configENS1_37merge_sort_block_sort_config_selectorIjN6thrust23THRUST_200600_302600_NS5tupleIffNSF_9null_typeESH_SH_SH_SH_SH_SH_SH_EEEENS1_38merge_sort_block_merge_config_selectorIjSI_EEEEvv.numbered_sgpr, 0
	.set _ZN7rocprim17ROCPRIM_400000_NS6detail44device_merge_sort_compile_time_verifier_archINS1_11comp_targetILNS1_3genE5ELNS1_11target_archE942ELNS1_3gpuE9ELNS1_3repE0EEES8_NS1_28merge_sort_block_sort_configILj256ELj4ELNS0_20block_sort_algorithmE0EEENS0_14default_configENS1_37merge_sort_block_sort_config_selectorIjN6thrust23THRUST_200600_302600_NS5tupleIffNSF_9null_typeESH_SH_SH_SH_SH_SH_SH_EEEENS1_38merge_sort_block_merge_config_selectorIjSI_EEEEvv.num_named_barrier, 0
	.set _ZN7rocprim17ROCPRIM_400000_NS6detail44device_merge_sort_compile_time_verifier_archINS1_11comp_targetILNS1_3genE5ELNS1_11target_archE942ELNS1_3gpuE9ELNS1_3repE0EEES8_NS1_28merge_sort_block_sort_configILj256ELj4ELNS0_20block_sort_algorithmE0EEENS0_14default_configENS1_37merge_sort_block_sort_config_selectorIjN6thrust23THRUST_200600_302600_NS5tupleIffNSF_9null_typeESH_SH_SH_SH_SH_SH_SH_EEEENS1_38merge_sort_block_merge_config_selectorIjSI_EEEEvv.private_seg_size, 0
	.set _ZN7rocprim17ROCPRIM_400000_NS6detail44device_merge_sort_compile_time_verifier_archINS1_11comp_targetILNS1_3genE5ELNS1_11target_archE942ELNS1_3gpuE9ELNS1_3repE0EEES8_NS1_28merge_sort_block_sort_configILj256ELj4ELNS0_20block_sort_algorithmE0EEENS0_14default_configENS1_37merge_sort_block_sort_config_selectorIjN6thrust23THRUST_200600_302600_NS5tupleIffNSF_9null_typeESH_SH_SH_SH_SH_SH_SH_EEEENS1_38merge_sort_block_merge_config_selectorIjSI_EEEEvv.uses_vcc, 0
	.set _ZN7rocprim17ROCPRIM_400000_NS6detail44device_merge_sort_compile_time_verifier_archINS1_11comp_targetILNS1_3genE5ELNS1_11target_archE942ELNS1_3gpuE9ELNS1_3repE0EEES8_NS1_28merge_sort_block_sort_configILj256ELj4ELNS0_20block_sort_algorithmE0EEENS0_14default_configENS1_37merge_sort_block_sort_config_selectorIjN6thrust23THRUST_200600_302600_NS5tupleIffNSF_9null_typeESH_SH_SH_SH_SH_SH_SH_EEEENS1_38merge_sort_block_merge_config_selectorIjSI_EEEEvv.uses_flat_scratch, 0
	.set _ZN7rocprim17ROCPRIM_400000_NS6detail44device_merge_sort_compile_time_verifier_archINS1_11comp_targetILNS1_3genE5ELNS1_11target_archE942ELNS1_3gpuE9ELNS1_3repE0EEES8_NS1_28merge_sort_block_sort_configILj256ELj4ELNS0_20block_sort_algorithmE0EEENS0_14default_configENS1_37merge_sort_block_sort_config_selectorIjN6thrust23THRUST_200600_302600_NS5tupleIffNSF_9null_typeESH_SH_SH_SH_SH_SH_SH_EEEENS1_38merge_sort_block_merge_config_selectorIjSI_EEEEvv.has_dyn_sized_stack, 0
	.set _ZN7rocprim17ROCPRIM_400000_NS6detail44device_merge_sort_compile_time_verifier_archINS1_11comp_targetILNS1_3genE5ELNS1_11target_archE942ELNS1_3gpuE9ELNS1_3repE0EEES8_NS1_28merge_sort_block_sort_configILj256ELj4ELNS0_20block_sort_algorithmE0EEENS0_14default_configENS1_37merge_sort_block_sort_config_selectorIjN6thrust23THRUST_200600_302600_NS5tupleIffNSF_9null_typeESH_SH_SH_SH_SH_SH_SH_EEEENS1_38merge_sort_block_merge_config_selectorIjSI_EEEEvv.has_recursion, 0
	.set _ZN7rocprim17ROCPRIM_400000_NS6detail44device_merge_sort_compile_time_verifier_archINS1_11comp_targetILNS1_3genE5ELNS1_11target_archE942ELNS1_3gpuE9ELNS1_3repE0EEES8_NS1_28merge_sort_block_sort_configILj256ELj4ELNS0_20block_sort_algorithmE0EEENS0_14default_configENS1_37merge_sort_block_sort_config_selectorIjN6thrust23THRUST_200600_302600_NS5tupleIffNSF_9null_typeESH_SH_SH_SH_SH_SH_SH_EEEENS1_38merge_sort_block_merge_config_selectorIjSI_EEEEvv.has_indirect_call, 0
	.section	.AMDGPU.csdata,"",@progbits
; Kernel info:
; codeLenInByte = 4
; TotalNumSgprs: 0
; NumVgprs: 0
; ScratchSize: 0
; MemoryBound: 0
; FloatMode: 240
; IeeeMode: 1
; LDSByteSize: 0 bytes/workgroup (compile time only)
; SGPRBlocks: 0
; VGPRBlocks: 0
; NumSGPRsForWavesPerEU: 1
; NumVGPRsForWavesPerEU: 1
; NamedBarCnt: 0
; Occupancy: 16
; WaveLimiterHint : 0
; COMPUTE_PGM_RSRC2:SCRATCH_EN: 0
; COMPUTE_PGM_RSRC2:USER_SGPR: 0
; COMPUTE_PGM_RSRC2:TRAP_HANDLER: 0
; COMPUTE_PGM_RSRC2:TGID_X_EN: 1
; COMPUTE_PGM_RSRC2:TGID_Y_EN: 0
; COMPUTE_PGM_RSRC2:TGID_Z_EN: 0
; COMPUTE_PGM_RSRC2:TIDIG_COMP_CNT: 0
	.section	.text._ZN7rocprim17ROCPRIM_400000_NS6detail44device_merge_sort_compile_time_verifier_archINS1_11comp_targetILNS1_3genE4ELNS1_11target_archE910ELNS1_3gpuE8ELNS1_3repE0EEES8_NS1_28merge_sort_block_sort_configILj256ELj4ELNS0_20block_sort_algorithmE0EEENS0_14default_configENS1_37merge_sort_block_sort_config_selectorIjN6thrust23THRUST_200600_302600_NS5tupleIffNSF_9null_typeESH_SH_SH_SH_SH_SH_SH_EEEENS1_38merge_sort_block_merge_config_selectorIjSI_EEEEvv,"axG",@progbits,_ZN7rocprim17ROCPRIM_400000_NS6detail44device_merge_sort_compile_time_verifier_archINS1_11comp_targetILNS1_3genE4ELNS1_11target_archE910ELNS1_3gpuE8ELNS1_3repE0EEES8_NS1_28merge_sort_block_sort_configILj256ELj4ELNS0_20block_sort_algorithmE0EEENS0_14default_configENS1_37merge_sort_block_sort_config_selectorIjN6thrust23THRUST_200600_302600_NS5tupleIffNSF_9null_typeESH_SH_SH_SH_SH_SH_SH_EEEENS1_38merge_sort_block_merge_config_selectorIjSI_EEEEvv,comdat
	.protected	_ZN7rocprim17ROCPRIM_400000_NS6detail44device_merge_sort_compile_time_verifier_archINS1_11comp_targetILNS1_3genE4ELNS1_11target_archE910ELNS1_3gpuE8ELNS1_3repE0EEES8_NS1_28merge_sort_block_sort_configILj256ELj4ELNS0_20block_sort_algorithmE0EEENS0_14default_configENS1_37merge_sort_block_sort_config_selectorIjN6thrust23THRUST_200600_302600_NS5tupleIffNSF_9null_typeESH_SH_SH_SH_SH_SH_SH_EEEENS1_38merge_sort_block_merge_config_selectorIjSI_EEEEvv ; -- Begin function _ZN7rocprim17ROCPRIM_400000_NS6detail44device_merge_sort_compile_time_verifier_archINS1_11comp_targetILNS1_3genE4ELNS1_11target_archE910ELNS1_3gpuE8ELNS1_3repE0EEES8_NS1_28merge_sort_block_sort_configILj256ELj4ELNS0_20block_sort_algorithmE0EEENS0_14default_configENS1_37merge_sort_block_sort_config_selectorIjN6thrust23THRUST_200600_302600_NS5tupleIffNSF_9null_typeESH_SH_SH_SH_SH_SH_SH_EEEENS1_38merge_sort_block_merge_config_selectorIjSI_EEEEvv
	.globl	_ZN7rocprim17ROCPRIM_400000_NS6detail44device_merge_sort_compile_time_verifier_archINS1_11comp_targetILNS1_3genE4ELNS1_11target_archE910ELNS1_3gpuE8ELNS1_3repE0EEES8_NS1_28merge_sort_block_sort_configILj256ELj4ELNS0_20block_sort_algorithmE0EEENS0_14default_configENS1_37merge_sort_block_sort_config_selectorIjN6thrust23THRUST_200600_302600_NS5tupleIffNSF_9null_typeESH_SH_SH_SH_SH_SH_SH_EEEENS1_38merge_sort_block_merge_config_selectorIjSI_EEEEvv
	.p2align	8
	.type	_ZN7rocprim17ROCPRIM_400000_NS6detail44device_merge_sort_compile_time_verifier_archINS1_11comp_targetILNS1_3genE4ELNS1_11target_archE910ELNS1_3gpuE8ELNS1_3repE0EEES8_NS1_28merge_sort_block_sort_configILj256ELj4ELNS0_20block_sort_algorithmE0EEENS0_14default_configENS1_37merge_sort_block_sort_config_selectorIjN6thrust23THRUST_200600_302600_NS5tupleIffNSF_9null_typeESH_SH_SH_SH_SH_SH_SH_EEEENS1_38merge_sort_block_merge_config_selectorIjSI_EEEEvv,@function
_ZN7rocprim17ROCPRIM_400000_NS6detail44device_merge_sort_compile_time_verifier_archINS1_11comp_targetILNS1_3genE4ELNS1_11target_archE910ELNS1_3gpuE8ELNS1_3repE0EEES8_NS1_28merge_sort_block_sort_configILj256ELj4ELNS0_20block_sort_algorithmE0EEENS0_14default_configENS1_37merge_sort_block_sort_config_selectorIjN6thrust23THRUST_200600_302600_NS5tupleIffNSF_9null_typeESH_SH_SH_SH_SH_SH_SH_EEEENS1_38merge_sort_block_merge_config_selectorIjSI_EEEEvv: ; @_ZN7rocprim17ROCPRIM_400000_NS6detail44device_merge_sort_compile_time_verifier_archINS1_11comp_targetILNS1_3genE4ELNS1_11target_archE910ELNS1_3gpuE8ELNS1_3repE0EEES8_NS1_28merge_sort_block_sort_configILj256ELj4ELNS0_20block_sort_algorithmE0EEENS0_14default_configENS1_37merge_sort_block_sort_config_selectorIjN6thrust23THRUST_200600_302600_NS5tupleIffNSF_9null_typeESH_SH_SH_SH_SH_SH_SH_EEEENS1_38merge_sort_block_merge_config_selectorIjSI_EEEEvv
; %bb.0:
	s_endpgm
	.section	.rodata,"a",@progbits
	.p2align	6, 0x0
	.amdhsa_kernel _ZN7rocprim17ROCPRIM_400000_NS6detail44device_merge_sort_compile_time_verifier_archINS1_11comp_targetILNS1_3genE4ELNS1_11target_archE910ELNS1_3gpuE8ELNS1_3repE0EEES8_NS1_28merge_sort_block_sort_configILj256ELj4ELNS0_20block_sort_algorithmE0EEENS0_14default_configENS1_37merge_sort_block_sort_config_selectorIjN6thrust23THRUST_200600_302600_NS5tupleIffNSF_9null_typeESH_SH_SH_SH_SH_SH_SH_EEEENS1_38merge_sort_block_merge_config_selectorIjSI_EEEEvv
		.amdhsa_group_segment_fixed_size 0
		.amdhsa_private_segment_fixed_size 0
		.amdhsa_kernarg_size 0
		.amdhsa_user_sgpr_count 0
		.amdhsa_user_sgpr_dispatch_ptr 0
		.amdhsa_user_sgpr_queue_ptr 0
		.amdhsa_user_sgpr_kernarg_segment_ptr 0
		.amdhsa_user_sgpr_dispatch_id 0
		.amdhsa_user_sgpr_kernarg_preload_length 0
		.amdhsa_user_sgpr_kernarg_preload_offset 0
		.amdhsa_user_sgpr_private_segment_size 0
		.amdhsa_wavefront_size32 1
		.amdhsa_uses_dynamic_stack 0
		.amdhsa_enable_private_segment 0
		.amdhsa_system_sgpr_workgroup_id_x 1
		.amdhsa_system_sgpr_workgroup_id_y 0
		.amdhsa_system_sgpr_workgroup_id_z 0
		.amdhsa_system_sgpr_workgroup_info 0
		.amdhsa_system_vgpr_workitem_id 0
		.amdhsa_next_free_vgpr 1
		.amdhsa_next_free_sgpr 1
		.amdhsa_named_barrier_count 0
		.amdhsa_reserve_vcc 0
		.amdhsa_float_round_mode_32 0
		.amdhsa_float_round_mode_16_64 0
		.amdhsa_float_denorm_mode_32 3
		.amdhsa_float_denorm_mode_16_64 3
		.amdhsa_fp16_overflow 0
		.amdhsa_memory_ordered 1
		.amdhsa_forward_progress 1
		.amdhsa_inst_pref_size 1
		.amdhsa_round_robin_scheduling 0
		.amdhsa_exception_fp_ieee_invalid_op 0
		.amdhsa_exception_fp_denorm_src 0
		.amdhsa_exception_fp_ieee_div_zero 0
		.amdhsa_exception_fp_ieee_overflow 0
		.amdhsa_exception_fp_ieee_underflow 0
		.amdhsa_exception_fp_ieee_inexact 0
		.amdhsa_exception_int_div_zero 0
	.end_amdhsa_kernel
	.section	.text._ZN7rocprim17ROCPRIM_400000_NS6detail44device_merge_sort_compile_time_verifier_archINS1_11comp_targetILNS1_3genE4ELNS1_11target_archE910ELNS1_3gpuE8ELNS1_3repE0EEES8_NS1_28merge_sort_block_sort_configILj256ELj4ELNS0_20block_sort_algorithmE0EEENS0_14default_configENS1_37merge_sort_block_sort_config_selectorIjN6thrust23THRUST_200600_302600_NS5tupleIffNSF_9null_typeESH_SH_SH_SH_SH_SH_SH_EEEENS1_38merge_sort_block_merge_config_selectorIjSI_EEEEvv,"axG",@progbits,_ZN7rocprim17ROCPRIM_400000_NS6detail44device_merge_sort_compile_time_verifier_archINS1_11comp_targetILNS1_3genE4ELNS1_11target_archE910ELNS1_3gpuE8ELNS1_3repE0EEES8_NS1_28merge_sort_block_sort_configILj256ELj4ELNS0_20block_sort_algorithmE0EEENS0_14default_configENS1_37merge_sort_block_sort_config_selectorIjN6thrust23THRUST_200600_302600_NS5tupleIffNSF_9null_typeESH_SH_SH_SH_SH_SH_SH_EEEENS1_38merge_sort_block_merge_config_selectorIjSI_EEEEvv,comdat
.Lfunc_end18:
	.size	_ZN7rocprim17ROCPRIM_400000_NS6detail44device_merge_sort_compile_time_verifier_archINS1_11comp_targetILNS1_3genE4ELNS1_11target_archE910ELNS1_3gpuE8ELNS1_3repE0EEES8_NS1_28merge_sort_block_sort_configILj256ELj4ELNS0_20block_sort_algorithmE0EEENS0_14default_configENS1_37merge_sort_block_sort_config_selectorIjN6thrust23THRUST_200600_302600_NS5tupleIffNSF_9null_typeESH_SH_SH_SH_SH_SH_SH_EEEENS1_38merge_sort_block_merge_config_selectorIjSI_EEEEvv, .Lfunc_end18-_ZN7rocprim17ROCPRIM_400000_NS6detail44device_merge_sort_compile_time_verifier_archINS1_11comp_targetILNS1_3genE4ELNS1_11target_archE910ELNS1_3gpuE8ELNS1_3repE0EEES8_NS1_28merge_sort_block_sort_configILj256ELj4ELNS0_20block_sort_algorithmE0EEENS0_14default_configENS1_37merge_sort_block_sort_config_selectorIjN6thrust23THRUST_200600_302600_NS5tupleIffNSF_9null_typeESH_SH_SH_SH_SH_SH_SH_EEEENS1_38merge_sort_block_merge_config_selectorIjSI_EEEEvv
                                        ; -- End function
	.set _ZN7rocprim17ROCPRIM_400000_NS6detail44device_merge_sort_compile_time_verifier_archINS1_11comp_targetILNS1_3genE4ELNS1_11target_archE910ELNS1_3gpuE8ELNS1_3repE0EEES8_NS1_28merge_sort_block_sort_configILj256ELj4ELNS0_20block_sort_algorithmE0EEENS0_14default_configENS1_37merge_sort_block_sort_config_selectorIjN6thrust23THRUST_200600_302600_NS5tupleIffNSF_9null_typeESH_SH_SH_SH_SH_SH_SH_EEEENS1_38merge_sort_block_merge_config_selectorIjSI_EEEEvv.num_vgpr, 0
	.set _ZN7rocprim17ROCPRIM_400000_NS6detail44device_merge_sort_compile_time_verifier_archINS1_11comp_targetILNS1_3genE4ELNS1_11target_archE910ELNS1_3gpuE8ELNS1_3repE0EEES8_NS1_28merge_sort_block_sort_configILj256ELj4ELNS0_20block_sort_algorithmE0EEENS0_14default_configENS1_37merge_sort_block_sort_config_selectorIjN6thrust23THRUST_200600_302600_NS5tupleIffNSF_9null_typeESH_SH_SH_SH_SH_SH_SH_EEEENS1_38merge_sort_block_merge_config_selectorIjSI_EEEEvv.num_agpr, 0
	.set _ZN7rocprim17ROCPRIM_400000_NS6detail44device_merge_sort_compile_time_verifier_archINS1_11comp_targetILNS1_3genE4ELNS1_11target_archE910ELNS1_3gpuE8ELNS1_3repE0EEES8_NS1_28merge_sort_block_sort_configILj256ELj4ELNS0_20block_sort_algorithmE0EEENS0_14default_configENS1_37merge_sort_block_sort_config_selectorIjN6thrust23THRUST_200600_302600_NS5tupleIffNSF_9null_typeESH_SH_SH_SH_SH_SH_SH_EEEENS1_38merge_sort_block_merge_config_selectorIjSI_EEEEvv.numbered_sgpr, 0
	.set _ZN7rocprim17ROCPRIM_400000_NS6detail44device_merge_sort_compile_time_verifier_archINS1_11comp_targetILNS1_3genE4ELNS1_11target_archE910ELNS1_3gpuE8ELNS1_3repE0EEES8_NS1_28merge_sort_block_sort_configILj256ELj4ELNS0_20block_sort_algorithmE0EEENS0_14default_configENS1_37merge_sort_block_sort_config_selectorIjN6thrust23THRUST_200600_302600_NS5tupleIffNSF_9null_typeESH_SH_SH_SH_SH_SH_SH_EEEENS1_38merge_sort_block_merge_config_selectorIjSI_EEEEvv.num_named_barrier, 0
	.set _ZN7rocprim17ROCPRIM_400000_NS6detail44device_merge_sort_compile_time_verifier_archINS1_11comp_targetILNS1_3genE4ELNS1_11target_archE910ELNS1_3gpuE8ELNS1_3repE0EEES8_NS1_28merge_sort_block_sort_configILj256ELj4ELNS0_20block_sort_algorithmE0EEENS0_14default_configENS1_37merge_sort_block_sort_config_selectorIjN6thrust23THRUST_200600_302600_NS5tupleIffNSF_9null_typeESH_SH_SH_SH_SH_SH_SH_EEEENS1_38merge_sort_block_merge_config_selectorIjSI_EEEEvv.private_seg_size, 0
	.set _ZN7rocprim17ROCPRIM_400000_NS6detail44device_merge_sort_compile_time_verifier_archINS1_11comp_targetILNS1_3genE4ELNS1_11target_archE910ELNS1_3gpuE8ELNS1_3repE0EEES8_NS1_28merge_sort_block_sort_configILj256ELj4ELNS0_20block_sort_algorithmE0EEENS0_14default_configENS1_37merge_sort_block_sort_config_selectorIjN6thrust23THRUST_200600_302600_NS5tupleIffNSF_9null_typeESH_SH_SH_SH_SH_SH_SH_EEEENS1_38merge_sort_block_merge_config_selectorIjSI_EEEEvv.uses_vcc, 0
	.set _ZN7rocprim17ROCPRIM_400000_NS6detail44device_merge_sort_compile_time_verifier_archINS1_11comp_targetILNS1_3genE4ELNS1_11target_archE910ELNS1_3gpuE8ELNS1_3repE0EEES8_NS1_28merge_sort_block_sort_configILj256ELj4ELNS0_20block_sort_algorithmE0EEENS0_14default_configENS1_37merge_sort_block_sort_config_selectorIjN6thrust23THRUST_200600_302600_NS5tupleIffNSF_9null_typeESH_SH_SH_SH_SH_SH_SH_EEEENS1_38merge_sort_block_merge_config_selectorIjSI_EEEEvv.uses_flat_scratch, 0
	.set _ZN7rocprim17ROCPRIM_400000_NS6detail44device_merge_sort_compile_time_verifier_archINS1_11comp_targetILNS1_3genE4ELNS1_11target_archE910ELNS1_3gpuE8ELNS1_3repE0EEES8_NS1_28merge_sort_block_sort_configILj256ELj4ELNS0_20block_sort_algorithmE0EEENS0_14default_configENS1_37merge_sort_block_sort_config_selectorIjN6thrust23THRUST_200600_302600_NS5tupleIffNSF_9null_typeESH_SH_SH_SH_SH_SH_SH_EEEENS1_38merge_sort_block_merge_config_selectorIjSI_EEEEvv.has_dyn_sized_stack, 0
	.set _ZN7rocprim17ROCPRIM_400000_NS6detail44device_merge_sort_compile_time_verifier_archINS1_11comp_targetILNS1_3genE4ELNS1_11target_archE910ELNS1_3gpuE8ELNS1_3repE0EEES8_NS1_28merge_sort_block_sort_configILj256ELj4ELNS0_20block_sort_algorithmE0EEENS0_14default_configENS1_37merge_sort_block_sort_config_selectorIjN6thrust23THRUST_200600_302600_NS5tupleIffNSF_9null_typeESH_SH_SH_SH_SH_SH_SH_EEEENS1_38merge_sort_block_merge_config_selectorIjSI_EEEEvv.has_recursion, 0
	.set _ZN7rocprim17ROCPRIM_400000_NS6detail44device_merge_sort_compile_time_verifier_archINS1_11comp_targetILNS1_3genE4ELNS1_11target_archE910ELNS1_3gpuE8ELNS1_3repE0EEES8_NS1_28merge_sort_block_sort_configILj256ELj4ELNS0_20block_sort_algorithmE0EEENS0_14default_configENS1_37merge_sort_block_sort_config_selectorIjN6thrust23THRUST_200600_302600_NS5tupleIffNSF_9null_typeESH_SH_SH_SH_SH_SH_SH_EEEENS1_38merge_sort_block_merge_config_selectorIjSI_EEEEvv.has_indirect_call, 0
	.section	.AMDGPU.csdata,"",@progbits
; Kernel info:
; codeLenInByte = 4
; TotalNumSgprs: 0
; NumVgprs: 0
; ScratchSize: 0
; MemoryBound: 0
; FloatMode: 240
; IeeeMode: 1
; LDSByteSize: 0 bytes/workgroup (compile time only)
; SGPRBlocks: 0
; VGPRBlocks: 0
; NumSGPRsForWavesPerEU: 1
; NumVGPRsForWavesPerEU: 1
; NamedBarCnt: 0
; Occupancy: 16
; WaveLimiterHint : 0
; COMPUTE_PGM_RSRC2:SCRATCH_EN: 0
; COMPUTE_PGM_RSRC2:USER_SGPR: 0
; COMPUTE_PGM_RSRC2:TRAP_HANDLER: 0
; COMPUTE_PGM_RSRC2:TGID_X_EN: 1
; COMPUTE_PGM_RSRC2:TGID_Y_EN: 0
; COMPUTE_PGM_RSRC2:TGID_Z_EN: 0
; COMPUTE_PGM_RSRC2:TIDIG_COMP_CNT: 0
	.section	.text._ZN7rocprim17ROCPRIM_400000_NS6detail44device_merge_sort_compile_time_verifier_archINS1_11comp_targetILNS1_3genE3ELNS1_11target_archE908ELNS1_3gpuE7ELNS1_3repE0EEES8_NS1_28merge_sort_block_sort_configILj256ELj4ELNS0_20block_sort_algorithmE0EEENS0_14default_configENS1_37merge_sort_block_sort_config_selectorIjN6thrust23THRUST_200600_302600_NS5tupleIffNSF_9null_typeESH_SH_SH_SH_SH_SH_SH_EEEENS1_38merge_sort_block_merge_config_selectorIjSI_EEEEvv,"axG",@progbits,_ZN7rocprim17ROCPRIM_400000_NS6detail44device_merge_sort_compile_time_verifier_archINS1_11comp_targetILNS1_3genE3ELNS1_11target_archE908ELNS1_3gpuE7ELNS1_3repE0EEES8_NS1_28merge_sort_block_sort_configILj256ELj4ELNS0_20block_sort_algorithmE0EEENS0_14default_configENS1_37merge_sort_block_sort_config_selectorIjN6thrust23THRUST_200600_302600_NS5tupleIffNSF_9null_typeESH_SH_SH_SH_SH_SH_SH_EEEENS1_38merge_sort_block_merge_config_selectorIjSI_EEEEvv,comdat
	.protected	_ZN7rocprim17ROCPRIM_400000_NS6detail44device_merge_sort_compile_time_verifier_archINS1_11comp_targetILNS1_3genE3ELNS1_11target_archE908ELNS1_3gpuE7ELNS1_3repE0EEES8_NS1_28merge_sort_block_sort_configILj256ELj4ELNS0_20block_sort_algorithmE0EEENS0_14default_configENS1_37merge_sort_block_sort_config_selectorIjN6thrust23THRUST_200600_302600_NS5tupleIffNSF_9null_typeESH_SH_SH_SH_SH_SH_SH_EEEENS1_38merge_sort_block_merge_config_selectorIjSI_EEEEvv ; -- Begin function _ZN7rocprim17ROCPRIM_400000_NS6detail44device_merge_sort_compile_time_verifier_archINS1_11comp_targetILNS1_3genE3ELNS1_11target_archE908ELNS1_3gpuE7ELNS1_3repE0EEES8_NS1_28merge_sort_block_sort_configILj256ELj4ELNS0_20block_sort_algorithmE0EEENS0_14default_configENS1_37merge_sort_block_sort_config_selectorIjN6thrust23THRUST_200600_302600_NS5tupleIffNSF_9null_typeESH_SH_SH_SH_SH_SH_SH_EEEENS1_38merge_sort_block_merge_config_selectorIjSI_EEEEvv
	.globl	_ZN7rocprim17ROCPRIM_400000_NS6detail44device_merge_sort_compile_time_verifier_archINS1_11comp_targetILNS1_3genE3ELNS1_11target_archE908ELNS1_3gpuE7ELNS1_3repE0EEES8_NS1_28merge_sort_block_sort_configILj256ELj4ELNS0_20block_sort_algorithmE0EEENS0_14default_configENS1_37merge_sort_block_sort_config_selectorIjN6thrust23THRUST_200600_302600_NS5tupleIffNSF_9null_typeESH_SH_SH_SH_SH_SH_SH_EEEENS1_38merge_sort_block_merge_config_selectorIjSI_EEEEvv
	.p2align	8
	.type	_ZN7rocprim17ROCPRIM_400000_NS6detail44device_merge_sort_compile_time_verifier_archINS1_11comp_targetILNS1_3genE3ELNS1_11target_archE908ELNS1_3gpuE7ELNS1_3repE0EEES8_NS1_28merge_sort_block_sort_configILj256ELj4ELNS0_20block_sort_algorithmE0EEENS0_14default_configENS1_37merge_sort_block_sort_config_selectorIjN6thrust23THRUST_200600_302600_NS5tupleIffNSF_9null_typeESH_SH_SH_SH_SH_SH_SH_EEEENS1_38merge_sort_block_merge_config_selectorIjSI_EEEEvv,@function
_ZN7rocprim17ROCPRIM_400000_NS6detail44device_merge_sort_compile_time_verifier_archINS1_11comp_targetILNS1_3genE3ELNS1_11target_archE908ELNS1_3gpuE7ELNS1_3repE0EEES8_NS1_28merge_sort_block_sort_configILj256ELj4ELNS0_20block_sort_algorithmE0EEENS0_14default_configENS1_37merge_sort_block_sort_config_selectorIjN6thrust23THRUST_200600_302600_NS5tupleIffNSF_9null_typeESH_SH_SH_SH_SH_SH_SH_EEEENS1_38merge_sort_block_merge_config_selectorIjSI_EEEEvv: ; @_ZN7rocprim17ROCPRIM_400000_NS6detail44device_merge_sort_compile_time_verifier_archINS1_11comp_targetILNS1_3genE3ELNS1_11target_archE908ELNS1_3gpuE7ELNS1_3repE0EEES8_NS1_28merge_sort_block_sort_configILj256ELj4ELNS0_20block_sort_algorithmE0EEENS0_14default_configENS1_37merge_sort_block_sort_config_selectorIjN6thrust23THRUST_200600_302600_NS5tupleIffNSF_9null_typeESH_SH_SH_SH_SH_SH_SH_EEEENS1_38merge_sort_block_merge_config_selectorIjSI_EEEEvv
; %bb.0:
	s_endpgm
	.section	.rodata,"a",@progbits
	.p2align	6, 0x0
	.amdhsa_kernel _ZN7rocprim17ROCPRIM_400000_NS6detail44device_merge_sort_compile_time_verifier_archINS1_11comp_targetILNS1_3genE3ELNS1_11target_archE908ELNS1_3gpuE7ELNS1_3repE0EEES8_NS1_28merge_sort_block_sort_configILj256ELj4ELNS0_20block_sort_algorithmE0EEENS0_14default_configENS1_37merge_sort_block_sort_config_selectorIjN6thrust23THRUST_200600_302600_NS5tupleIffNSF_9null_typeESH_SH_SH_SH_SH_SH_SH_EEEENS1_38merge_sort_block_merge_config_selectorIjSI_EEEEvv
		.amdhsa_group_segment_fixed_size 0
		.amdhsa_private_segment_fixed_size 0
		.amdhsa_kernarg_size 0
		.amdhsa_user_sgpr_count 0
		.amdhsa_user_sgpr_dispatch_ptr 0
		.amdhsa_user_sgpr_queue_ptr 0
		.amdhsa_user_sgpr_kernarg_segment_ptr 0
		.amdhsa_user_sgpr_dispatch_id 0
		.amdhsa_user_sgpr_kernarg_preload_length 0
		.amdhsa_user_sgpr_kernarg_preload_offset 0
		.amdhsa_user_sgpr_private_segment_size 0
		.amdhsa_wavefront_size32 1
		.amdhsa_uses_dynamic_stack 0
		.amdhsa_enable_private_segment 0
		.amdhsa_system_sgpr_workgroup_id_x 1
		.amdhsa_system_sgpr_workgroup_id_y 0
		.amdhsa_system_sgpr_workgroup_id_z 0
		.amdhsa_system_sgpr_workgroup_info 0
		.amdhsa_system_vgpr_workitem_id 0
		.amdhsa_next_free_vgpr 1
		.amdhsa_next_free_sgpr 1
		.amdhsa_named_barrier_count 0
		.amdhsa_reserve_vcc 0
		.amdhsa_float_round_mode_32 0
		.amdhsa_float_round_mode_16_64 0
		.amdhsa_float_denorm_mode_32 3
		.amdhsa_float_denorm_mode_16_64 3
		.amdhsa_fp16_overflow 0
		.amdhsa_memory_ordered 1
		.amdhsa_forward_progress 1
		.amdhsa_inst_pref_size 1
		.amdhsa_round_robin_scheduling 0
		.amdhsa_exception_fp_ieee_invalid_op 0
		.amdhsa_exception_fp_denorm_src 0
		.amdhsa_exception_fp_ieee_div_zero 0
		.amdhsa_exception_fp_ieee_overflow 0
		.amdhsa_exception_fp_ieee_underflow 0
		.amdhsa_exception_fp_ieee_inexact 0
		.amdhsa_exception_int_div_zero 0
	.end_amdhsa_kernel
	.section	.text._ZN7rocprim17ROCPRIM_400000_NS6detail44device_merge_sort_compile_time_verifier_archINS1_11comp_targetILNS1_3genE3ELNS1_11target_archE908ELNS1_3gpuE7ELNS1_3repE0EEES8_NS1_28merge_sort_block_sort_configILj256ELj4ELNS0_20block_sort_algorithmE0EEENS0_14default_configENS1_37merge_sort_block_sort_config_selectorIjN6thrust23THRUST_200600_302600_NS5tupleIffNSF_9null_typeESH_SH_SH_SH_SH_SH_SH_EEEENS1_38merge_sort_block_merge_config_selectorIjSI_EEEEvv,"axG",@progbits,_ZN7rocprim17ROCPRIM_400000_NS6detail44device_merge_sort_compile_time_verifier_archINS1_11comp_targetILNS1_3genE3ELNS1_11target_archE908ELNS1_3gpuE7ELNS1_3repE0EEES8_NS1_28merge_sort_block_sort_configILj256ELj4ELNS0_20block_sort_algorithmE0EEENS0_14default_configENS1_37merge_sort_block_sort_config_selectorIjN6thrust23THRUST_200600_302600_NS5tupleIffNSF_9null_typeESH_SH_SH_SH_SH_SH_SH_EEEENS1_38merge_sort_block_merge_config_selectorIjSI_EEEEvv,comdat
.Lfunc_end19:
	.size	_ZN7rocprim17ROCPRIM_400000_NS6detail44device_merge_sort_compile_time_verifier_archINS1_11comp_targetILNS1_3genE3ELNS1_11target_archE908ELNS1_3gpuE7ELNS1_3repE0EEES8_NS1_28merge_sort_block_sort_configILj256ELj4ELNS0_20block_sort_algorithmE0EEENS0_14default_configENS1_37merge_sort_block_sort_config_selectorIjN6thrust23THRUST_200600_302600_NS5tupleIffNSF_9null_typeESH_SH_SH_SH_SH_SH_SH_EEEENS1_38merge_sort_block_merge_config_selectorIjSI_EEEEvv, .Lfunc_end19-_ZN7rocprim17ROCPRIM_400000_NS6detail44device_merge_sort_compile_time_verifier_archINS1_11comp_targetILNS1_3genE3ELNS1_11target_archE908ELNS1_3gpuE7ELNS1_3repE0EEES8_NS1_28merge_sort_block_sort_configILj256ELj4ELNS0_20block_sort_algorithmE0EEENS0_14default_configENS1_37merge_sort_block_sort_config_selectorIjN6thrust23THRUST_200600_302600_NS5tupleIffNSF_9null_typeESH_SH_SH_SH_SH_SH_SH_EEEENS1_38merge_sort_block_merge_config_selectorIjSI_EEEEvv
                                        ; -- End function
	.set _ZN7rocprim17ROCPRIM_400000_NS6detail44device_merge_sort_compile_time_verifier_archINS1_11comp_targetILNS1_3genE3ELNS1_11target_archE908ELNS1_3gpuE7ELNS1_3repE0EEES8_NS1_28merge_sort_block_sort_configILj256ELj4ELNS0_20block_sort_algorithmE0EEENS0_14default_configENS1_37merge_sort_block_sort_config_selectorIjN6thrust23THRUST_200600_302600_NS5tupleIffNSF_9null_typeESH_SH_SH_SH_SH_SH_SH_EEEENS1_38merge_sort_block_merge_config_selectorIjSI_EEEEvv.num_vgpr, 0
	.set _ZN7rocprim17ROCPRIM_400000_NS6detail44device_merge_sort_compile_time_verifier_archINS1_11comp_targetILNS1_3genE3ELNS1_11target_archE908ELNS1_3gpuE7ELNS1_3repE0EEES8_NS1_28merge_sort_block_sort_configILj256ELj4ELNS0_20block_sort_algorithmE0EEENS0_14default_configENS1_37merge_sort_block_sort_config_selectorIjN6thrust23THRUST_200600_302600_NS5tupleIffNSF_9null_typeESH_SH_SH_SH_SH_SH_SH_EEEENS1_38merge_sort_block_merge_config_selectorIjSI_EEEEvv.num_agpr, 0
	.set _ZN7rocprim17ROCPRIM_400000_NS6detail44device_merge_sort_compile_time_verifier_archINS1_11comp_targetILNS1_3genE3ELNS1_11target_archE908ELNS1_3gpuE7ELNS1_3repE0EEES8_NS1_28merge_sort_block_sort_configILj256ELj4ELNS0_20block_sort_algorithmE0EEENS0_14default_configENS1_37merge_sort_block_sort_config_selectorIjN6thrust23THRUST_200600_302600_NS5tupleIffNSF_9null_typeESH_SH_SH_SH_SH_SH_SH_EEEENS1_38merge_sort_block_merge_config_selectorIjSI_EEEEvv.numbered_sgpr, 0
	.set _ZN7rocprim17ROCPRIM_400000_NS6detail44device_merge_sort_compile_time_verifier_archINS1_11comp_targetILNS1_3genE3ELNS1_11target_archE908ELNS1_3gpuE7ELNS1_3repE0EEES8_NS1_28merge_sort_block_sort_configILj256ELj4ELNS0_20block_sort_algorithmE0EEENS0_14default_configENS1_37merge_sort_block_sort_config_selectorIjN6thrust23THRUST_200600_302600_NS5tupleIffNSF_9null_typeESH_SH_SH_SH_SH_SH_SH_EEEENS1_38merge_sort_block_merge_config_selectorIjSI_EEEEvv.num_named_barrier, 0
	.set _ZN7rocprim17ROCPRIM_400000_NS6detail44device_merge_sort_compile_time_verifier_archINS1_11comp_targetILNS1_3genE3ELNS1_11target_archE908ELNS1_3gpuE7ELNS1_3repE0EEES8_NS1_28merge_sort_block_sort_configILj256ELj4ELNS0_20block_sort_algorithmE0EEENS0_14default_configENS1_37merge_sort_block_sort_config_selectorIjN6thrust23THRUST_200600_302600_NS5tupleIffNSF_9null_typeESH_SH_SH_SH_SH_SH_SH_EEEENS1_38merge_sort_block_merge_config_selectorIjSI_EEEEvv.private_seg_size, 0
	.set _ZN7rocprim17ROCPRIM_400000_NS6detail44device_merge_sort_compile_time_verifier_archINS1_11comp_targetILNS1_3genE3ELNS1_11target_archE908ELNS1_3gpuE7ELNS1_3repE0EEES8_NS1_28merge_sort_block_sort_configILj256ELj4ELNS0_20block_sort_algorithmE0EEENS0_14default_configENS1_37merge_sort_block_sort_config_selectorIjN6thrust23THRUST_200600_302600_NS5tupleIffNSF_9null_typeESH_SH_SH_SH_SH_SH_SH_EEEENS1_38merge_sort_block_merge_config_selectorIjSI_EEEEvv.uses_vcc, 0
	.set _ZN7rocprim17ROCPRIM_400000_NS6detail44device_merge_sort_compile_time_verifier_archINS1_11comp_targetILNS1_3genE3ELNS1_11target_archE908ELNS1_3gpuE7ELNS1_3repE0EEES8_NS1_28merge_sort_block_sort_configILj256ELj4ELNS0_20block_sort_algorithmE0EEENS0_14default_configENS1_37merge_sort_block_sort_config_selectorIjN6thrust23THRUST_200600_302600_NS5tupleIffNSF_9null_typeESH_SH_SH_SH_SH_SH_SH_EEEENS1_38merge_sort_block_merge_config_selectorIjSI_EEEEvv.uses_flat_scratch, 0
	.set _ZN7rocprim17ROCPRIM_400000_NS6detail44device_merge_sort_compile_time_verifier_archINS1_11comp_targetILNS1_3genE3ELNS1_11target_archE908ELNS1_3gpuE7ELNS1_3repE0EEES8_NS1_28merge_sort_block_sort_configILj256ELj4ELNS0_20block_sort_algorithmE0EEENS0_14default_configENS1_37merge_sort_block_sort_config_selectorIjN6thrust23THRUST_200600_302600_NS5tupleIffNSF_9null_typeESH_SH_SH_SH_SH_SH_SH_EEEENS1_38merge_sort_block_merge_config_selectorIjSI_EEEEvv.has_dyn_sized_stack, 0
	.set _ZN7rocprim17ROCPRIM_400000_NS6detail44device_merge_sort_compile_time_verifier_archINS1_11comp_targetILNS1_3genE3ELNS1_11target_archE908ELNS1_3gpuE7ELNS1_3repE0EEES8_NS1_28merge_sort_block_sort_configILj256ELj4ELNS0_20block_sort_algorithmE0EEENS0_14default_configENS1_37merge_sort_block_sort_config_selectorIjN6thrust23THRUST_200600_302600_NS5tupleIffNSF_9null_typeESH_SH_SH_SH_SH_SH_SH_EEEENS1_38merge_sort_block_merge_config_selectorIjSI_EEEEvv.has_recursion, 0
	.set _ZN7rocprim17ROCPRIM_400000_NS6detail44device_merge_sort_compile_time_verifier_archINS1_11comp_targetILNS1_3genE3ELNS1_11target_archE908ELNS1_3gpuE7ELNS1_3repE0EEES8_NS1_28merge_sort_block_sort_configILj256ELj4ELNS0_20block_sort_algorithmE0EEENS0_14default_configENS1_37merge_sort_block_sort_config_selectorIjN6thrust23THRUST_200600_302600_NS5tupleIffNSF_9null_typeESH_SH_SH_SH_SH_SH_SH_EEEENS1_38merge_sort_block_merge_config_selectorIjSI_EEEEvv.has_indirect_call, 0
	.section	.AMDGPU.csdata,"",@progbits
; Kernel info:
; codeLenInByte = 4
; TotalNumSgprs: 0
; NumVgprs: 0
; ScratchSize: 0
; MemoryBound: 0
; FloatMode: 240
; IeeeMode: 1
; LDSByteSize: 0 bytes/workgroup (compile time only)
; SGPRBlocks: 0
; VGPRBlocks: 0
; NumSGPRsForWavesPerEU: 1
; NumVGPRsForWavesPerEU: 1
; NamedBarCnt: 0
; Occupancy: 16
; WaveLimiterHint : 0
; COMPUTE_PGM_RSRC2:SCRATCH_EN: 0
; COMPUTE_PGM_RSRC2:USER_SGPR: 0
; COMPUTE_PGM_RSRC2:TRAP_HANDLER: 0
; COMPUTE_PGM_RSRC2:TGID_X_EN: 1
; COMPUTE_PGM_RSRC2:TGID_Y_EN: 0
; COMPUTE_PGM_RSRC2:TGID_Z_EN: 0
; COMPUTE_PGM_RSRC2:TIDIG_COMP_CNT: 0
	.section	.text._ZN7rocprim17ROCPRIM_400000_NS6detail44device_merge_sort_compile_time_verifier_archINS1_11comp_targetILNS1_3genE2ELNS1_11target_archE906ELNS1_3gpuE6ELNS1_3repE0EEES8_NS1_28merge_sort_block_sort_configILj256ELj4ELNS0_20block_sort_algorithmE0EEENS0_14default_configENS1_37merge_sort_block_sort_config_selectorIjN6thrust23THRUST_200600_302600_NS5tupleIffNSF_9null_typeESH_SH_SH_SH_SH_SH_SH_EEEENS1_38merge_sort_block_merge_config_selectorIjSI_EEEEvv,"axG",@progbits,_ZN7rocprim17ROCPRIM_400000_NS6detail44device_merge_sort_compile_time_verifier_archINS1_11comp_targetILNS1_3genE2ELNS1_11target_archE906ELNS1_3gpuE6ELNS1_3repE0EEES8_NS1_28merge_sort_block_sort_configILj256ELj4ELNS0_20block_sort_algorithmE0EEENS0_14default_configENS1_37merge_sort_block_sort_config_selectorIjN6thrust23THRUST_200600_302600_NS5tupleIffNSF_9null_typeESH_SH_SH_SH_SH_SH_SH_EEEENS1_38merge_sort_block_merge_config_selectorIjSI_EEEEvv,comdat
	.protected	_ZN7rocprim17ROCPRIM_400000_NS6detail44device_merge_sort_compile_time_verifier_archINS1_11comp_targetILNS1_3genE2ELNS1_11target_archE906ELNS1_3gpuE6ELNS1_3repE0EEES8_NS1_28merge_sort_block_sort_configILj256ELj4ELNS0_20block_sort_algorithmE0EEENS0_14default_configENS1_37merge_sort_block_sort_config_selectorIjN6thrust23THRUST_200600_302600_NS5tupleIffNSF_9null_typeESH_SH_SH_SH_SH_SH_SH_EEEENS1_38merge_sort_block_merge_config_selectorIjSI_EEEEvv ; -- Begin function _ZN7rocprim17ROCPRIM_400000_NS6detail44device_merge_sort_compile_time_verifier_archINS1_11comp_targetILNS1_3genE2ELNS1_11target_archE906ELNS1_3gpuE6ELNS1_3repE0EEES8_NS1_28merge_sort_block_sort_configILj256ELj4ELNS0_20block_sort_algorithmE0EEENS0_14default_configENS1_37merge_sort_block_sort_config_selectorIjN6thrust23THRUST_200600_302600_NS5tupleIffNSF_9null_typeESH_SH_SH_SH_SH_SH_SH_EEEENS1_38merge_sort_block_merge_config_selectorIjSI_EEEEvv
	.globl	_ZN7rocprim17ROCPRIM_400000_NS6detail44device_merge_sort_compile_time_verifier_archINS1_11comp_targetILNS1_3genE2ELNS1_11target_archE906ELNS1_3gpuE6ELNS1_3repE0EEES8_NS1_28merge_sort_block_sort_configILj256ELj4ELNS0_20block_sort_algorithmE0EEENS0_14default_configENS1_37merge_sort_block_sort_config_selectorIjN6thrust23THRUST_200600_302600_NS5tupleIffNSF_9null_typeESH_SH_SH_SH_SH_SH_SH_EEEENS1_38merge_sort_block_merge_config_selectorIjSI_EEEEvv
	.p2align	8
	.type	_ZN7rocprim17ROCPRIM_400000_NS6detail44device_merge_sort_compile_time_verifier_archINS1_11comp_targetILNS1_3genE2ELNS1_11target_archE906ELNS1_3gpuE6ELNS1_3repE0EEES8_NS1_28merge_sort_block_sort_configILj256ELj4ELNS0_20block_sort_algorithmE0EEENS0_14default_configENS1_37merge_sort_block_sort_config_selectorIjN6thrust23THRUST_200600_302600_NS5tupleIffNSF_9null_typeESH_SH_SH_SH_SH_SH_SH_EEEENS1_38merge_sort_block_merge_config_selectorIjSI_EEEEvv,@function
_ZN7rocprim17ROCPRIM_400000_NS6detail44device_merge_sort_compile_time_verifier_archINS1_11comp_targetILNS1_3genE2ELNS1_11target_archE906ELNS1_3gpuE6ELNS1_3repE0EEES8_NS1_28merge_sort_block_sort_configILj256ELj4ELNS0_20block_sort_algorithmE0EEENS0_14default_configENS1_37merge_sort_block_sort_config_selectorIjN6thrust23THRUST_200600_302600_NS5tupleIffNSF_9null_typeESH_SH_SH_SH_SH_SH_SH_EEEENS1_38merge_sort_block_merge_config_selectorIjSI_EEEEvv: ; @_ZN7rocprim17ROCPRIM_400000_NS6detail44device_merge_sort_compile_time_verifier_archINS1_11comp_targetILNS1_3genE2ELNS1_11target_archE906ELNS1_3gpuE6ELNS1_3repE0EEES8_NS1_28merge_sort_block_sort_configILj256ELj4ELNS0_20block_sort_algorithmE0EEENS0_14default_configENS1_37merge_sort_block_sort_config_selectorIjN6thrust23THRUST_200600_302600_NS5tupleIffNSF_9null_typeESH_SH_SH_SH_SH_SH_SH_EEEENS1_38merge_sort_block_merge_config_selectorIjSI_EEEEvv
; %bb.0:
	s_endpgm
	.section	.rodata,"a",@progbits
	.p2align	6, 0x0
	.amdhsa_kernel _ZN7rocprim17ROCPRIM_400000_NS6detail44device_merge_sort_compile_time_verifier_archINS1_11comp_targetILNS1_3genE2ELNS1_11target_archE906ELNS1_3gpuE6ELNS1_3repE0EEES8_NS1_28merge_sort_block_sort_configILj256ELj4ELNS0_20block_sort_algorithmE0EEENS0_14default_configENS1_37merge_sort_block_sort_config_selectorIjN6thrust23THRUST_200600_302600_NS5tupleIffNSF_9null_typeESH_SH_SH_SH_SH_SH_SH_EEEENS1_38merge_sort_block_merge_config_selectorIjSI_EEEEvv
		.amdhsa_group_segment_fixed_size 0
		.amdhsa_private_segment_fixed_size 0
		.amdhsa_kernarg_size 0
		.amdhsa_user_sgpr_count 0
		.amdhsa_user_sgpr_dispatch_ptr 0
		.amdhsa_user_sgpr_queue_ptr 0
		.amdhsa_user_sgpr_kernarg_segment_ptr 0
		.amdhsa_user_sgpr_dispatch_id 0
		.amdhsa_user_sgpr_kernarg_preload_length 0
		.amdhsa_user_sgpr_kernarg_preload_offset 0
		.amdhsa_user_sgpr_private_segment_size 0
		.amdhsa_wavefront_size32 1
		.amdhsa_uses_dynamic_stack 0
		.amdhsa_enable_private_segment 0
		.amdhsa_system_sgpr_workgroup_id_x 1
		.amdhsa_system_sgpr_workgroup_id_y 0
		.amdhsa_system_sgpr_workgroup_id_z 0
		.amdhsa_system_sgpr_workgroup_info 0
		.amdhsa_system_vgpr_workitem_id 0
		.amdhsa_next_free_vgpr 1
		.amdhsa_next_free_sgpr 1
		.amdhsa_named_barrier_count 0
		.amdhsa_reserve_vcc 0
		.amdhsa_float_round_mode_32 0
		.amdhsa_float_round_mode_16_64 0
		.amdhsa_float_denorm_mode_32 3
		.amdhsa_float_denorm_mode_16_64 3
		.amdhsa_fp16_overflow 0
		.amdhsa_memory_ordered 1
		.amdhsa_forward_progress 1
		.amdhsa_inst_pref_size 1
		.amdhsa_round_robin_scheduling 0
		.amdhsa_exception_fp_ieee_invalid_op 0
		.amdhsa_exception_fp_denorm_src 0
		.amdhsa_exception_fp_ieee_div_zero 0
		.amdhsa_exception_fp_ieee_overflow 0
		.amdhsa_exception_fp_ieee_underflow 0
		.amdhsa_exception_fp_ieee_inexact 0
		.amdhsa_exception_int_div_zero 0
	.end_amdhsa_kernel
	.section	.text._ZN7rocprim17ROCPRIM_400000_NS6detail44device_merge_sort_compile_time_verifier_archINS1_11comp_targetILNS1_3genE2ELNS1_11target_archE906ELNS1_3gpuE6ELNS1_3repE0EEES8_NS1_28merge_sort_block_sort_configILj256ELj4ELNS0_20block_sort_algorithmE0EEENS0_14default_configENS1_37merge_sort_block_sort_config_selectorIjN6thrust23THRUST_200600_302600_NS5tupleIffNSF_9null_typeESH_SH_SH_SH_SH_SH_SH_EEEENS1_38merge_sort_block_merge_config_selectorIjSI_EEEEvv,"axG",@progbits,_ZN7rocprim17ROCPRIM_400000_NS6detail44device_merge_sort_compile_time_verifier_archINS1_11comp_targetILNS1_3genE2ELNS1_11target_archE906ELNS1_3gpuE6ELNS1_3repE0EEES8_NS1_28merge_sort_block_sort_configILj256ELj4ELNS0_20block_sort_algorithmE0EEENS0_14default_configENS1_37merge_sort_block_sort_config_selectorIjN6thrust23THRUST_200600_302600_NS5tupleIffNSF_9null_typeESH_SH_SH_SH_SH_SH_SH_EEEENS1_38merge_sort_block_merge_config_selectorIjSI_EEEEvv,comdat
.Lfunc_end20:
	.size	_ZN7rocprim17ROCPRIM_400000_NS6detail44device_merge_sort_compile_time_verifier_archINS1_11comp_targetILNS1_3genE2ELNS1_11target_archE906ELNS1_3gpuE6ELNS1_3repE0EEES8_NS1_28merge_sort_block_sort_configILj256ELj4ELNS0_20block_sort_algorithmE0EEENS0_14default_configENS1_37merge_sort_block_sort_config_selectorIjN6thrust23THRUST_200600_302600_NS5tupleIffNSF_9null_typeESH_SH_SH_SH_SH_SH_SH_EEEENS1_38merge_sort_block_merge_config_selectorIjSI_EEEEvv, .Lfunc_end20-_ZN7rocprim17ROCPRIM_400000_NS6detail44device_merge_sort_compile_time_verifier_archINS1_11comp_targetILNS1_3genE2ELNS1_11target_archE906ELNS1_3gpuE6ELNS1_3repE0EEES8_NS1_28merge_sort_block_sort_configILj256ELj4ELNS0_20block_sort_algorithmE0EEENS0_14default_configENS1_37merge_sort_block_sort_config_selectorIjN6thrust23THRUST_200600_302600_NS5tupleIffNSF_9null_typeESH_SH_SH_SH_SH_SH_SH_EEEENS1_38merge_sort_block_merge_config_selectorIjSI_EEEEvv
                                        ; -- End function
	.set _ZN7rocprim17ROCPRIM_400000_NS6detail44device_merge_sort_compile_time_verifier_archINS1_11comp_targetILNS1_3genE2ELNS1_11target_archE906ELNS1_3gpuE6ELNS1_3repE0EEES8_NS1_28merge_sort_block_sort_configILj256ELj4ELNS0_20block_sort_algorithmE0EEENS0_14default_configENS1_37merge_sort_block_sort_config_selectorIjN6thrust23THRUST_200600_302600_NS5tupleIffNSF_9null_typeESH_SH_SH_SH_SH_SH_SH_EEEENS1_38merge_sort_block_merge_config_selectorIjSI_EEEEvv.num_vgpr, 0
	.set _ZN7rocprim17ROCPRIM_400000_NS6detail44device_merge_sort_compile_time_verifier_archINS1_11comp_targetILNS1_3genE2ELNS1_11target_archE906ELNS1_3gpuE6ELNS1_3repE0EEES8_NS1_28merge_sort_block_sort_configILj256ELj4ELNS0_20block_sort_algorithmE0EEENS0_14default_configENS1_37merge_sort_block_sort_config_selectorIjN6thrust23THRUST_200600_302600_NS5tupleIffNSF_9null_typeESH_SH_SH_SH_SH_SH_SH_EEEENS1_38merge_sort_block_merge_config_selectorIjSI_EEEEvv.num_agpr, 0
	.set _ZN7rocprim17ROCPRIM_400000_NS6detail44device_merge_sort_compile_time_verifier_archINS1_11comp_targetILNS1_3genE2ELNS1_11target_archE906ELNS1_3gpuE6ELNS1_3repE0EEES8_NS1_28merge_sort_block_sort_configILj256ELj4ELNS0_20block_sort_algorithmE0EEENS0_14default_configENS1_37merge_sort_block_sort_config_selectorIjN6thrust23THRUST_200600_302600_NS5tupleIffNSF_9null_typeESH_SH_SH_SH_SH_SH_SH_EEEENS1_38merge_sort_block_merge_config_selectorIjSI_EEEEvv.numbered_sgpr, 0
	.set _ZN7rocprim17ROCPRIM_400000_NS6detail44device_merge_sort_compile_time_verifier_archINS1_11comp_targetILNS1_3genE2ELNS1_11target_archE906ELNS1_3gpuE6ELNS1_3repE0EEES8_NS1_28merge_sort_block_sort_configILj256ELj4ELNS0_20block_sort_algorithmE0EEENS0_14default_configENS1_37merge_sort_block_sort_config_selectorIjN6thrust23THRUST_200600_302600_NS5tupleIffNSF_9null_typeESH_SH_SH_SH_SH_SH_SH_EEEENS1_38merge_sort_block_merge_config_selectorIjSI_EEEEvv.num_named_barrier, 0
	.set _ZN7rocprim17ROCPRIM_400000_NS6detail44device_merge_sort_compile_time_verifier_archINS1_11comp_targetILNS1_3genE2ELNS1_11target_archE906ELNS1_3gpuE6ELNS1_3repE0EEES8_NS1_28merge_sort_block_sort_configILj256ELj4ELNS0_20block_sort_algorithmE0EEENS0_14default_configENS1_37merge_sort_block_sort_config_selectorIjN6thrust23THRUST_200600_302600_NS5tupleIffNSF_9null_typeESH_SH_SH_SH_SH_SH_SH_EEEENS1_38merge_sort_block_merge_config_selectorIjSI_EEEEvv.private_seg_size, 0
	.set _ZN7rocprim17ROCPRIM_400000_NS6detail44device_merge_sort_compile_time_verifier_archINS1_11comp_targetILNS1_3genE2ELNS1_11target_archE906ELNS1_3gpuE6ELNS1_3repE0EEES8_NS1_28merge_sort_block_sort_configILj256ELj4ELNS0_20block_sort_algorithmE0EEENS0_14default_configENS1_37merge_sort_block_sort_config_selectorIjN6thrust23THRUST_200600_302600_NS5tupleIffNSF_9null_typeESH_SH_SH_SH_SH_SH_SH_EEEENS1_38merge_sort_block_merge_config_selectorIjSI_EEEEvv.uses_vcc, 0
	.set _ZN7rocprim17ROCPRIM_400000_NS6detail44device_merge_sort_compile_time_verifier_archINS1_11comp_targetILNS1_3genE2ELNS1_11target_archE906ELNS1_3gpuE6ELNS1_3repE0EEES8_NS1_28merge_sort_block_sort_configILj256ELj4ELNS0_20block_sort_algorithmE0EEENS0_14default_configENS1_37merge_sort_block_sort_config_selectorIjN6thrust23THRUST_200600_302600_NS5tupleIffNSF_9null_typeESH_SH_SH_SH_SH_SH_SH_EEEENS1_38merge_sort_block_merge_config_selectorIjSI_EEEEvv.uses_flat_scratch, 0
	.set _ZN7rocprim17ROCPRIM_400000_NS6detail44device_merge_sort_compile_time_verifier_archINS1_11comp_targetILNS1_3genE2ELNS1_11target_archE906ELNS1_3gpuE6ELNS1_3repE0EEES8_NS1_28merge_sort_block_sort_configILj256ELj4ELNS0_20block_sort_algorithmE0EEENS0_14default_configENS1_37merge_sort_block_sort_config_selectorIjN6thrust23THRUST_200600_302600_NS5tupleIffNSF_9null_typeESH_SH_SH_SH_SH_SH_SH_EEEENS1_38merge_sort_block_merge_config_selectorIjSI_EEEEvv.has_dyn_sized_stack, 0
	.set _ZN7rocprim17ROCPRIM_400000_NS6detail44device_merge_sort_compile_time_verifier_archINS1_11comp_targetILNS1_3genE2ELNS1_11target_archE906ELNS1_3gpuE6ELNS1_3repE0EEES8_NS1_28merge_sort_block_sort_configILj256ELj4ELNS0_20block_sort_algorithmE0EEENS0_14default_configENS1_37merge_sort_block_sort_config_selectorIjN6thrust23THRUST_200600_302600_NS5tupleIffNSF_9null_typeESH_SH_SH_SH_SH_SH_SH_EEEENS1_38merge_sort_block_merge_config_selectorIjSI_EEEEvv.has_recursion, 0
	.set _ZN7rocprim17ROCPRIM_400000_NS6detail44device_merge_sort_compile_time_verifier_archINS1_11comp_targetILNS1_3genE2ELNS1_11target_archE906ELNS1_3gpuE6ELNS1_3repE0EEES8_NS1_28merge_sort_block_sort_configILj256ELj4ELNS0_20block_sort_algorithmE0EEENS0_14default_configENS1_37merge_sort_block_sort_config_selectorIjN6thrust23THRUST_200600_302600_NS5tupleIffNSF_9null_typeESH_SH_SH_SH_SH_SH_SH_EEEENS1_38merge_sort_block_merge_config_selectorIjSI_EEEEvv.has_indirect_call, 0
	.section	.AMDGPU.csdata,"",@progbits
; Kernel info:
; codeLenInByte = 4
; TotalNumSgprs: 0
; NumVgprs: 0
; ScratchSize: 0
; MemoryBound: 0
; FloatMode: 240
; IeeeMode: 1
; LDSByteSize: 0 bytes/workgroup (compile time only)
; SGPRBlocks: 0
; VGPRBlocks: 0
; NumSGPRsForWavesPerEU: 1
; NumVGPRsForWavesPerEU: 1
; NamedBarCnt: 0
; Occupancy: 16
; WaveLimiterHint : 0
; COMPUTE_PGM_RSRC2:SCRATCH_EN: 0
; COMPUTE_PGM_RSRC2:USER_SGPR: 0
; COMPUTE_PGM_RSRC2:TRAP_HANDLER: 0
; COMPUTE_PGM_RSRC2:TGID_X_EN: 1
; COMPUTE_PGM_RSRC2:TGID_Y_EN: 0
; COMPUTE_PGM_RSRC2:TGID_Z_EN: 0
; COMPUTE_PGM_RSRC2:TIDIG_COMP_CNT: 0
	.section	.text._ZN7rocprim17ROCPRIM_400000_NS6detail44device_merge_sort_compile_time_verifier_archINS1_11comp_targetILNS1_3genE10ELNS1_11target_archE1201ELNS1_3gpuE5ELNS1_3repE0EEES8_NS1_28merge_sort_block_sort_configILj256ELj4ELNS0_20block_sort_algorithmE0EEENS0_14default_configENS1_37merge_sort_block_sort_config_selectorIjN6thrust23THRUST_200600_302600_NS5tupleIffNSF_9null_typeESH_SH_SH_SH_SH_SH_SH_EEEENS1_38merge_sort_block_merge_config_selectorIjSI_EEEEvv,"axG",@progbits,_ZN7rocprim17ROCPRIM_400000_NS6detail44device_merge_sort_compile_time_verifier_archINS1_11comp_targetILNS1_3genE10ELNS1_11target_archE1201ELNS1_3gpuE5ELNS1_3repE0EEES8_NS1_28merge_sort_block_sort_configILj256ELj4ELNS0_20block_sort_algorithmE0EEENS0_14default_configENS1_37merge_sort_block_sort_config_selectorIjN6thrust23THRUST_200600_302600_NS5tupleIffNSF_9null_typeESH_SH_SH_SH_SH_SH_SH_EEEENS1_38merge_sort_block_merge_config_selectorIjSI_EEEEvv,comdat
	.protected	_ZN7rocprim17ROCPRIM_400000_NS6detail44device_merge_sort_compile_time_verifier_archINS1_11comp_targetILNS1_3genE10ELNS1_11target_archE1201ELNS1_3gpuE5ELNS1_3repE0EEES8_NS1_28merge_sort_block_sort_configILj256ELj4ELNS0_20block_sort_algorithmE0EEENS0_14default_configENS1_37merge_sort_block_sort_config_selectorIjN6thrust23THRUST_200600_302600_NS5tupleIffNSF_9null_typeESH_SH_SH_SH_SH_SH_SH_EEEENS1_38merge_sort_block_merge_config_selectorIjSI_EEEEvv ; -- Begin function _ZN7rocprim17ROCPRIM_400000_NS6detail44device_merge_sort_compile_time_verifier_archINS1_11comp_targetILNS1_3genE10ELNS1_11target_archE1201ELNS1_3gpuE5ELNS1_3repE0EEES8_NS1_28merge_sort_block_sort_configILj256ELj4ELNS0_20block_sort_algorithmE0EEENS0_14default_configENS1_37merge_sort_block_sort_config_selectorIjN6thrust23THRUST_200600_302600_NS5tupleIffNSF_9null_typeESH_SH_SH_SH_SH_SH_SH_EEEENS1_38merge_sort_block_merge_config_selectorIjSI_EEEEvv
	.globl	_ZN7rocprim17ROCPRIM_400000_NS6detail44device_merge_sort_compile_time_verifier_archINS1_11comp_targetILNS1_3genE10ELNS1_11target_archE1201ELNS1_3gpuE5ELNS1_3repE0EEES8_NS1_28merge_sort_block_sort_configILj256ELj4ELNS0_20block_sort_algorithmE0EEENS0_14default_configENS1_37merge_sort_block_sort_config_selectorIjN6thrust23THRUST_200600_302600_NS5tupleIffNSF_9null_typeESH_SH_SH_SH_SH_SH_SH_EEEENS1_38merge_sort_block_merge_config_selectorIjSI_EEEEvv
	.p2align	8
	.type	_ZN7rocprim17ROCPRIM_400000_NS6detail44device_merge_sort_compile_time_verifier_archINS1_11comp_targetILNS1_3genE10ELNS1_11target_archE1201ELNS1_3gpuE5ELNS1_3repE0EEES8_NS1_28merge_sort_block_sort_configILj256ELj4ELNS0_20block_sort_algorithmE0EEENS0_14default_configENS1_37merge_sort_block_sort_config_selectorIjN6thrust23THRUST_200600_302600_NS5tupleIffNSF_9null_typeESH_SH_SH_SH_SH_SH_SH_EEEENS1_38merge_sort_block_merge_config_selectorIjSI_EEEEvv,@function
_ZN7rocprim17ROCPRIM_400000_NS6detail44device_merge_sort_compile_time_verifier_archINS1_11comp_targetILNS1_3genE10ELNS1_11target_archE1201ELNS1_3gpuE5ELNS1_3repE0EEES8_NS1_28merge_sort_block_sort_configILj256ELj4ELNS0_20block_sort_algorithmE0EEENS0_14default_configENS1_37merge_sort_block_sort_config_selectorIjN6thrust23THRUST_200600_302600_NS5tupleIffNSF_9null_typeESH_SH_SH_SH_SH_SH_SH_EEEENS1_38merge_sort_block_merge_config_selectorIjSI_EEEEvv: ; @_ZN7rocprim17ROCPRIM_400000_NS6detail44device_merge_sort_compile_time_verifier_archINS1_11comp_targetILNS1_3genE10ELNS1_11target_archE1201ELNS1_3gpuE5ELNS1_3repE0EEES8_NS1_28merge_sort_block_sort_configILj256ELj4ELNS0_20block_sort_algorithmE0EEENS0_14default_configENS1_37merge_sort_block_sort_config_selectorIjN6thrust23THRUST_200600_302600_NS5tupleIffNSF_9null_typeESH_SH_SH_SH_SH_SH_SH_EEEENS1_38merge_sort_block_merge_config_selectorIjSI_EEEEvv
; %bb.0:
	s_endpgm
	.section	.rodata,"a",@progbits
	.p2align	6, 0x0
	.amdhsa_kernel _ZN7rocprim17ROCPRIM_400000_NS6detail44device_merge_sort_compile_time_verifier_archINS1_11comp_targetILNS1_3genE10ELNS1_11target_archE1201ELNS1_3gpuE5ELNS1_3repE0EEES8_NS1_28merge_sort_block_sort_configILj256ELj4ELNS0_20block_sort_algorithmE0EEENS0_14default_configENS1_37merge_sort_block_sort_config_selectorIjN6thrust23THRUST_200600_302600_NS5tupleIffNSF_9null_typeESH_SH_SH_SH_SH_SH_SH_EEEENS1_38merge_sort_block_merge_config_selectorIjSI_EEEEvv
		.amdhsa_group_segment_fixed_size 0
		.amdhsa_private_segment_fixed_size 0
		.amdhsa_kernarg_size 0
		.amdhsa_user_sgpr_count 0
		.amdhsa_user_sgpr_dispatch_ptr 0
		.amdhsa_user_sgpr_queue_ptr 0
		.amdhsa_user_sgpr_kernarg_segment_ptr 0
		.amdhsa_user_sgpr_dispatch_id 0
		.amdhsa_user_sgpr_kernarg_preload_length 0
		.amdhsa_user_sgpr_kernarg_preload_offset 0
		.amdhsa_user_sgpr_private_segment_size 0
		.amdhsa_wavefront_size32 1
		.amdhsa_uses_dynamic_stack 0
		.amdhsa_enable_private_segment 0
		.amdhsa_system_sgpr_workgroup_id_x 1
		.amdhsa_system_sgpr_workgroup_id_y 0
		.amdhsa_system_sgpr_workgroup_id_z 0
		.amdhsa_system_sgpr_workgroup_info 0
		.amdhsa_system_vgpr_workitem_id 0
		.amdhsa_next_free_vgpr 1
		.amdhsa_next_free_sgpr 1
		.amdhsa_named_barrier_count 0
		.amdhsa_reserve_vcc 0
		.amdhsa_float_round_mode_32 0
		.amdhsa_float_round_mode_16_64 0
		.amdhsa_float_denorm_mode_32 3
		.amdhsa_float_denorm_mode_16_64 3
		.amdhsa_fp16_overflow 0
		.amdhsa_memory_ordered 1
		.amdhsa_forward_progress 1
		.amdhsa_inst_pref_size 1
		.amdhsa_round_robin_scheduling 0
		.amdhsa_exception_fp_ieee_invalid_op 0
		.amdhsa_exception_fp_denorm_src 0
		.amdhsa_exception_fp_ieee_div_zero 0
		.amdhsa_exception_fp_ieee_overflow 0
		.amdhsa_exception_fp_ieee_underflow 0
		.amdhsa_exception_fp_ieee_inexact 0
		.amdhsa_exception_int_div_zero 0
	.end_amdhsa_kernel
	.section	.text._ZN7rocprim17ROCPRIM_400000_NS6detail44device_merge_sort_compile_time_verifier_archINS1_11comp_targetILNS1_3genE10ELNS1_11target_archE1201ELNS1_3gpuE5ELNS1_3repE0EEES8_NS1_28merge_sort_block_sort_configILj256ELj4ELNS0_20block_sort_algorithmE0EEENS0_14default_configENS1_37merge_sort_block_sort_config_selectorIjN6thrust23THRUST_200600_302600_NS5tupleIffNSF_9null_typeESH_SH_SH_SH_SH_SH_SH_EEEENS1_38merge_sort_block_merge_config_selectorIjSI_EEEEvv,"axG",@progbits,_ZN7rocprim17ROCPRIM_400000_NS6detail44device_merge_sort_compile_time_verifier_archINS1_11comp_targetILNS1_3genE10ELNS1_11target_archE1201ELNS1_3gpuE5ELNS1_3repE0EEES8_NS1_28merge_sort_block_sort_configILj256ELj4ELNS0_20block_sort_algorithmE0EEENS0_14default_configENS1_37merge_sort_block_sort_config_selectorIjN6thrust23THRUST_200600_302600_NS5tupleIffNSF_9null_typeESH_SH_SH_SH_SH_SH_SH_EEEENS1_38merge_sort_block_merge_config_selectorIjSI_EEEEvv,comdat
.Lfunc_end21:
	.size	_ZN7rocprim17ROCPRIM_400000_NS6detail44device_merge_sort_compile_time_verifier_archINS1_11comp_targetILNS1_3genE10ELNS1_11target_archE1201ELNS1_3gpuE5ELNS1_3repE0EEES8_NS1_28merge_sort_block_sort_configILj256ELj4ELNS0_20block_sort_algorithmE0EEENS0_14default_configENS1_37merge_sort_block_sort_config_selectorIjN6thrust23THRUST_200600_302600_NS5tupleIffNSF_9null_typeESH_SH_SH_SH_SH_SH_SH_EEEENS1_38merge_sort_block_merge_config_selectorIjSI_EEEEvv, .Lfunc_end21-_ZN7rocprim17ROCPRIM_400000_NS6detail44device_merge_sort_compile_time_verifier_archINS1_11comp_targetILNS1_3genE10ELNS1_11target_archE1201ELNS1_3gpuE5ELNS1_3repE0EEES8_NS1_28merge_sort_block_sort_configILj256ELj4ELNS0_20block_sort_algorithmE0EEENS0_14default_configENS1_37merge_sort_block_sort_config_selectorIjN6thrust23THRUST_200600_302600_NS5tupleIffNSF_9null_typeESH_SH_SH_SH_SH_SH_SH_EEEENS1_38merge_sort_block_merge_config_selectorIjSI_EEEEvv
                                        ; -- End function
	.set _ZN7rocprim17ROCPRIM_400000_NS6detail44device_merge_sort_compile_time_verifier_archINS1_11comp_targetILNS1_3genE10ELNS1_11target_archE1201ELNS1_3gpuE5ELNS1_3repE0EEES8_NS1_28merge_sort_block_sort_configILj256ELj4ELNS0_20block_sort_algorithmE0EEENS0_14default_configENS1_37merge_sort_block_sort_config_selectorIjN6thrust23THRUST_200600_302600_NS5tupleIffNSF_9null_typeESH_SH_SH_SH_SH_SH_SH_EEEENS1_38merge_sort_block_merge_config_selectorIjSI_EEEEvv.num_vgpr, 0
	.set _ZN7rocprim17ROCPRIM_400000_NS6detail44device_merge_sort_compile_time_verifier_archINS1_11comp_targetILNS1_3genE10ELNS1_11target_archE1201ELNS1_3gpuE5ELNS1_3repE0EEES8_NS1_28merge_sort_block_sort_configILj256ELj4ELNS0_20block_sort_algorithmE0EEENS0_14default_configENS1_37merge_sort_block_sort_config_selectorIjN6thrust23THRUST_200600_302600_NS5tupleIffNSF_9null_typeESH_SH_SH_SH_SH_SH_SH_EEEENS1_38merge_sort_block_merge_config_selectorIjSI_EEEEvv.num_agpr, 0
	.set _ZN7rocprim17ROCPRIM_400000_NS6detail44device_merge_sort_compile_time_verifier_archINS1_11comp_targetILNS1_3genE10ELNS1_11target_archE1201ELNS1_3gpuE5ELNS1_3repE0EEES8_NS1_28merge_sort_block_sort_configILj256ELj4ELNS0_20block_sort_algorithmE0EEENS0_14default_configENS1_37merge_sort_block_sort_config_selectorIjN6thrust23THRUST_200600_302600_NS5tupleIffNSF_9null_typeESH_SH_SH_SH_SH_SH_SH_EEEENS1_38merge_sort_block_merge_config_selectorIjSI_EEEEvv.numbered_sgpr, 0
	.set _ZN7rocprim17ROCPRIM_400000_NS6detail44device_merge_sort_compile_time_verifier_archINS1_11comp_targetILNS1_3genE10ELNS1_11target_archE1201ELNS1_3gpuE5ELNS1_3repE0EEES8_NS1_28merge_sort_block_sort_configILj256ELj4ELNS0_20block_sort_algorithmE0EEENS0_14default_configENS1_37merge_sort_block_sort_config_selectorIjN6thrust23THRUST_200600_302600_NS5tupleIffNSF_9null_typeESH_SH_SH_SH_SH_SH_SH_EEEENS1_38merge_sort_block_merge_config_selectorIjSI_EEEEvv.num_named_barrier, 0
	.set _ZN7rocprim17ROCPRIM_400000_NS6detail44device_merge_sort_compile_time_verifier_archINS1_11comp_targetILNS1_3genE10ELNS1_11target_archE1201ELNS1_3gpuE5ELNS1_3repE0EEES8_NS1_28merge_sort_block_sort_configILj256ELj4ELNS0_20block_sort_algorithmE0EEENS0_14default_configENS1_37merge_sort_block_sort_config_selectorIjN6thrust23THRUST_200600_302600_NS5tupleIffNSF_9null_typeESH_SH_SH_SH_SH_SH_SH_EEEENS1_38merge_sort_block_merge_config_selectorIjSI_EEEEvv.private_seg_size, 0
	.set _ZN7rocprim17ROCPRIM_400000_NS6detail44device_merge_sort_compile_time_verifier_archINS1_11comp_targetILNS1_3genE10ELNS1_11target_archE1201ELNS1_3gpuE5ELNS1_3repE0EEES8_NS1_28merge_sort_block_sort_configILj256ELj4ELNS0_20block_sort_algorithmE0EEENS0_14default_configENS1_37merge_sort_block_sort_config_selectorIjN6thrust23THRUST_200600_302600_NS5tupleIffNSF_9null_typeESH_SH_SH_SH_SH_SH_SH_EEEENS1_38merge_sort_block_merge_config_selectorIjSI_EEEEvv.uses_vcc, 0
	.set _ZN7rocprim17ROCPRIM_400000_NS6detail44device_merge_sort_compile_time_verifier_archINS1_11comp_targetILNS1_3genE10ELNS1_11target_archE1201ELNS1_3gpuE5ELNS1_3repE0EEES8_NS1_28merge_sort_block_sort_configILj256ELj4ELNS0_20block_sort_algorithmE0EEENS0_14default_configENS1_37merge_sort_block_sort_config_selectorIjN6thrust23THRUST_200600_302600_NS5tupleIffNSF_9null_typeESH_SH_SH_SH_SH_SH_SH_EEEENS1_38merge_sort_block_merge_config_selectorIjSI_EEEEvv.uses_flat_scratch, 0
	.set _ZN7rocprim17ROCPRIM_400000_NS6detail44device_merge_sort_compile_time_verifier_archINS1_11comp_targetILNS1_3genE10ELNS1_11target_archE1201ELNS1_3gpuE5ELNS1_3repE0EEES8_NS1_28merge_sort_block_sort_configILj256ELj4ELNS0_20block_sort_algorithmE0EEENS0_14default_configENS1_37merge_sort_block_sort_config_selectorIjN6thrust23THRUST_200600_302600_NS5tupleIffNSF_9null_typeESH_SH_SH_SH_SH_SH_SH_EEEENS1_38merge_sort_block_merge_config_selectorIjSI_EEEEvv.has_dyn_sized_stack, 0
	.set _ZN7rocprim17ROCPRIM_400000_NS6detail44device_merge_sort_compile_time_verifier_archINS1_11comp_targetILNS1_3genE10ELNS1_11target_archE1201ELNS1_3gpuE5ELNS1_3repE0EEES8_NS1_28merge_sort_block_sort_configILj256ELj4ELNS0_20block_sort_algorithmE0EEENS0_14default_configENS1_37merge_sort_block_sort_config_selectorIjN6thrust23THRUST_200600_302600_NS5tupleIffNSF_9null_typeESH_SH_SH_SH_SH_SH_SH_EEEENS1_38merge_sort_block_merge_config_selectorIjSI_EEEEvv.has_recursion, 0
	.set _ZN7rocprim17ROCPRIM_400000_NS6detail44device_merge_sort_compile_time_verifier_archINS1_11comp_targetILNS1_3genE10ELNS1_11target_archE1201ELNS1_3gpuE5ELNS1_3repE0EEES8_NS1_28merge_sort_block_sort_configILj256ELj4ELNS0_20block_sort_algorithmE0EEENS0_14default_configENS1_37merge_sort_block_sort_config_selectorIjN6thrust23THRUST_200600_302600_NS5tupleIffNSF_9null_typeESH_SH_SH_SH_SH_SH_SH_EEEENS1_38merge_sort_block_merge_config_selectorIjSI_EEEEvv.has_indirect_call, 0
	.section	.AMDGPU.csdata,"",@progbits
; Kernel info:
; codeLenInByte = 4
; TotalNumSgprs: 0
; NumVgprs: 0
; ScratchSize: 0
; MemoryBound: 0
; FloatMode: 240
; IeeeMode: 1
; LDSByteSize: 0 bytes/workgroup (compile time only)
; SGPRBlocks: 0
; VGPRBlocks: 0
; NumSGPRsForWavesPerEU: 1
; NumVGPRsForWavesPerEU: 1
; NamedBarCnt: 0
; Occupancy: 16
; WaveLimiterHint : 0
; COMPUTE_PGM_RSRC2:SCRATCH_EN: 0
; COMPUTE_PGM_RSRC2:USER_SGPR: 0
; COMPUTE_PGM_RSRC2:TRAP_HANDLER: 0
; COMPUTE_PGM_RSRC2:TGID_X_EN: 1
; COMPUTE_PGM_RSRC2:TGID_Y_EN: 0
; COMPUTE_PGM_RSRC2:TGID_Z_EN: 0
; COMPUTE_PGM_RSRC2:TIDIG_COMP_CNT: 0
	.section	.text._ZN7rocprim17ROCPRIM_400000_NS6detail44device_merge_sort_compile_time_verifier_archINS1_11comp_targetILNS1_3genE10ELNS1_11target_archE1200ELNS1_3gpuE4ELNS1_3repE0EEENS3_ILS4_10ELS5_1201ELS6_5ELS7_0EEENS1_28merge_sort_block_sort_configILj256ELj4ELNS0_20block_sort_algorithmE0EEENS0_14default_configENS1_37merge_sort_block_sort_config_selectorIjN6thrust23THRUST_200600_302600_NS5tupleIffNSG_9null_typeESI_SI_SI_SI_SI_SI_SI_EEEENS1_38merge_sort_block_merge_config_selectorIjSJ_EEEEvv,"axG",@progbits,_ZN7rocprim17ROCPRIM_400000_NS6detail44device_merge_sort_compile_time_verifier_archINS1_11comp_targetILNS1_3genE10ELNS1_11target_archE1200ELNS1_3gpuE4ELNS1_3repE0EEENS3_ILS4_10ELS5_1201ELS6_5ELS7_0EEENS1_28merge_sort_block_sort_configILj256ELj4ELNS0_20block_sort_algorithmE0EEENS0_14default_configENS1_37merge_sort_block_sort_config_selectorIjN6thrust23THRUST_200600_302600_NS5tupleIffNSG_9null_typeESI_SI_SI_SI_SI_SI_SI_EEEENS1_38merge_sort_block_merge_config_selectorIjSJ_EEEEvv,comdat
	.protected	_ZN7rocprim17ROCPRIM_400000_NS6detail44device_merge_sort_compile_time_verifier_archINS1_11comp_targetILNS1_3genE10ELNS1_11target_archE1200ELNS1_3gpuE4ELNS1_3repE0EEENS3_ILS4_10ELS5_1201ELS6_5ELS7_0EEENS1_28merge_sort_block_sort_configILj256ELj4ELNS0_20block_sort_algorithmE0EEENS0_14default_configENS1_37merge_sort_block_sort_config_selectorIjN6thrust23THRUST_200600_302600_NS5tupleIffNSG_9null_typeESI_SI_SI_SI_SI_SI_SI_EEEENS1_38merge_sort_block_merge_config_selectorIjSJ_EEEEvv ; -- Begin function _ZN7rocprim17ROCPRIM_400000_NS6detail44device_merge_sort_compile_time_verifier_archINS1_11comp_targetILNS1_3genE10ELNS1_11target_archE1200ELNS1_3gpuE4ELNS1_3repE0EEENS3_ILS4_10ELS5_1201ELS6_5ELS7_0EEENS1_28merge_sort_block_sort_configILj256ELj4ELNS0_20block_sort_algorithmE0EEENS0_14default_configENS1_37merge_sort_block_sort_config_selectorIjN6thrust23THRUST_200600_302600_NS5tupleIffNSG_9null_typeESI_SI_SI_SI_SI_SI_SI_EEEENS1_38merge_sort_block_merge_config_selectorIjSJ_EEEEvv
	.globl	_ZN7rocprim17ROCPRIM_400000_NS6detail44device_merge_sort_compile_time_verifier_archINS1_11comp_targetILNS1_3genE10ELNS1_11target_archE1200ELNS1_3gpuE4ELNS1_3repE0EEENS3_ILS4_10ELS5_1201ELS6_5ELS7_0EEENS1_28merge_sort_block_sort_configILj256ELj4ELNS0_20block_sort_algorithmE0EEENS0_14default_configENS1_37merge_sort_block_sort_config_selectorIjN6thrust23THRUST_200600_302600_NS5tupleIffNSG_9null_typeESI_SI_SI_SI_SI_SI_SI_EEEENS1_38merge_sort_block_merge_config_selectorIjSJ_EEEEvv
	.p2align	8
	.type	_ZN7rocprim17ROCPRIM_400000_NS6detail44device_merge_sort_compile_time_verifier_archINS1_11comp_targetILNS1_3genE10ELNS1_11target_archE1200ELNS1_3gpuE4ELNS1_3repE0EEENS3_ILS4_10ELS5_1201ELS6_5ELS7_0EEENS1_28merge_sort_block_sort_configILj256ELj4ELNS0_20block_sort_algorithmE0EEENS0_14default_configENS1_37merge_sort_block_sort_config_selectorIjN6thrust23THRUST_200600_302600_NS5tupleIffNSG_9null_typeESI_SI_SI_SI_SI_SI_SI_EEEENS1_38merge_sort_block_merge_config_selectorIjSJ_EEEEvv,@function
_ZN7rocprim17ROCPRIM_400000_NS6detail44device_merge_sort_compile_time_verifier_archINS1_11comp_targetILNS1_3genE10ELNS1_11target_archE1200ELNS1_3gpuE4ELNS1_3repE0EEENS3_ILS4_10ELS5_1201ELS6_5ELS7_0EEENS1_28merge_sort_block_sort_configILj256ELj4ELNS0_20block_sort_algorithmE0EEENS0_14default_configENS1_37merge_sort_block_sort_config_selectorIjN6thrust23THRUST_200600_302600_NS5tupleIffNSG_9null_typeESI_SI_SI_SI_SI_SI_SI_EEEENS1_38merge_sort_block_merge_config_selectorIjSJ_EEEEvv: ; @_ZN7rocprim17ROCPRIM_400000_NS6detail44device_merge_sort_compile_time_verifier_archINS1_11comp_targetILNS1_3genE10ELNS1_11target_archE1200ELNS1_3gpuE4ELNS1_3repE0EEENS3_ILS4_10ELS5_1201ELS6_5ELS7_0EEENS1_28merge_sort_block_sort_configILj256ELj4ELNS0_20block_sort_algorithmE0EEENS0_14default_configENS1_37merge_sort_block_sort_config_selectorIjN6thrust23THRUST_200600_302600_NS5tupleIffNSG_9null_typeESI_SI_SI_SI_SI_SI_SI_EEEENS1_38merge_sort_block_merge_config_selectorIjSJ_EEEEvv
; %bb.0:
	s_endpgm
	.section	.rodata,"a",@progbits
	.p2align	6, 0x0
	.amdhsa_kernel _ZN7rocprim17ROCPRIM_400000_NS6detail44device_merge_sort_compile_time_verifier_archINS1_11comp_targetILNS1_3genE10ELNS1_11target_archE1200ELNS1_3gpuE4ELNS1_3repE0EEENS3_ILS4_10ELS5_1201ELS6_5ELS7_0EEENS1_28merge_sort_block_sort_configILj256ELj4ELNS0_20block_sort_algorithmE0EEENS0_14default_configENS1_37merge_sort_block_sort_config_selectorIjN6thrust23THRUST_200600_302600_NS5tupleIffNSG_9null_typeESI_SI_SI_SI_SI_SI_SI_EEEENS1_38merge_sort_block_merge_config_selectorIjSJ_EEEEvv
		.amdhsa_group_segment_fixed_size 0
		.amdhsa_private_segment_fixed_size 0
		.amdhsa_kernarg_size 0
		.amdhsa_user_sgpr_count 0
		.amdhsa_user_sgpr_dispatch_ptr 0
		.amdhsa_user_sgpr_queue_ptr 0
		.amdhsa_user_sgpr_kernarg_segment_ptr 0
		.amdhsa_user_sgpr_dispatch_id 0
		.amdhsa_user_sgpr_kernarg_preload_length 0
		.amdhsa_user_sgpr_kernarg_preload_offset 0
		.amdhsa_user_sgpr_private_segment_size 0
		.amdhsa_wavefront_size32 1
		.amdhsa_uses_dynamic_stack 0
		.amdhsa_enable_private_segment 0
		.amdhsa_system_sgpr_workgroup_id_x 1
		.amdhsa_system_sgpr_workgroup_id_y 0
		.amdhsa_system_sgpr_workgroup_id_z 0
		.amdhsa_system_sgpr_workgroup_info 0
		.amdhsa_system_vgpr_workitem_id 0
		.amdhsa_next_free_vgpr 1
		.amdhsa_next_free_sgpr 1
		.amdhsa_named_barrier_count 0
		.amdhsa_reserve_vcc 0
		.amdhsa_float_round_mode_32 0
		.amdhsa_float_round_mode_16_64 0
		.amdhsa_float_denorm_mode_32 3
		.amdhsa_float_denorm_mode_16_64 3
		.amdhsa_fp16_overflow 0
		.amdhsa_memory_ordered 1
		.amdhsa_forward_progress 1
		.amdhsa_inst_pref_size 1
		.amdhsa_round_robin_scheduling 0
		.amdhsa_exception_fp_ieee_invalid_op 0
		.amdhsa_exception_fp_denorm_src 0
		.amdhsa_exception_fp_ieee_div_zero 0
		.amdhsa_exception_fp_ieee_overflow 0
		.amdhsa_exception_fp_ieee_underflow 0
		.amdhsa_exception_fp_ieee_inexact 0
		.amdhsa_exception_int_div_zero 0
	.end_amdhsa_kernel
	.section	.text._ZN7rocprim17ROCPRIM_400000_NS6detail44device_merge_sort_compile_time_verifier_archINS1_11comp_targetILNS1_3genE10ELNS1_11target_archE1200ELNS1_3gpuE4ELNS1_3repE0EEENS3_ILS4_10ELS5_1201ELS6_5ELS7_0EEENS1_28merge_sort_block_sort_configILj256ELj4ELNS0_20block_sort_algorithmE0EEENS0_14default_configENS1_37merge_sort_block_sort_config_selectorIjN6thrust23THRUST_200600_302600_NS5tupleIffNSG_9null_typeESI_SI_SI_SI_SI_SI_SI_EEEENS1_38merge_sort_block_merge_config_selectorIjSJ_EEEEvv,"axG",@progbits,_ZN7rocprim17ROCPRIM_400000_NS6detail44device_merge_sort_compile_time_verifier_archINS1_11comp_targetILNS1_3genE10ELNS1_11target_archE1200ELNS1_3gpuE4ELNS1_3repE0EEENS3_ILS4_10ELS5_1201ELS6_5ELS7_0EEENS1_28merge_sort_block_sort_configILj256ELj4ELNS0_20block_sort_algorithmE0EEENS0_14default_configENS1_37merge_sort_block_sort_config_selectorIjN6thrust23THRUST_200600_302600_NS5tupleIffNSG_9null_typeESI_SI_SI_SI_SI_SI_SI_EEEENS1_38merge_sort_block_merge_config_selectorIjSJ_EEEEvv,comdat
.Lfunc_end22:
	.size	_ZN7rocprim17ROCPRIM_400000_NS6detail44device_merge_sort_compile_time_verifier_archINS1_11comp_targetILNS1_3genE10ELNS1_11target_archE1200ELNS1_3gpuE4ELNS1_3repE0EEENS3_ILS4_10ELS5_1201ELS6_5ELS7_0EEENS1_28merge_sort_block_sort_configILj256ELj4ELNS0_20block_sort_algorithmE0EEENS0_14default_configENS1_37merge_sort_block_sort_config_selectorIjN6thrust23THRUST_200600_302600_NS5tupleIffNSG_9null_typeESI_SI_SI_SI_SI_SI_SI_EEEENS1_38merge_sort_block_merge_config_selectorIjSJ_EEEEvv, .Lfunc_end22-_ZN7rocprim17ROCPRIM_400000_NS6detail44device_merge_sort_compile_time_verifier_archINS1_11comp_targetILNS1_3genE10ELNS1_11target_archE1200ELNS1_3gpuE4ELNS1_3repE0EEENS3_ILS4_10ELS5_1201ELS6_5ELS7_0EEENS1_28merge_sort_block_sort_configILj256ELj4ELNS0_20block_sort_algorithmE0EEENS0_14default_configENS1_37merge_sort_block_sort_config_selectorIjN6thrust23THRUST_200600_302600_NS5tupleIffNSG_9null_typeESI_SI_SI_SI_SI_SI_SI_EEEENS1_38merge_sort_block_merge_config_selectorIjSJ_EEEEvv
                                        ; -- End function
	.set _ZN7rocprim17ROCPRIM_400000_NS6detail44device_merge_sort_compile_time_verifier_archINS1_11comp_targetILNS1_3genE10ELNS1_11target_archE1200ELNS1_3gpuE4ELNS1_3repE0EEENS3_ILS4_10ELS5_1201ELS6_5ELS7_0EEENS1_28merge_sort_block_sort_configILj256ELj4ELNS0_20block_sort_algorithmE0EEENS0_14default_configENS1_37merge_sort_block_sort_config_selectorIjN6thrust23THRUST_200600_302600_NS5tupleIffNSG_9null_typeESI_SI_SI_SI_SI_SI_SI_EEEENS1_38merge_sort_block_merge_config_selectorIjSJ_EEEEvv.num_vgpr, 0
	.set _ZN7rocprim17ROCPRIM_400000_NS6detail44device_merge_sort_compile_time_verifier_archINS1_11comp_targetILNS1_3genE10ELNS1_11target_archE1200ELNS1_3gpuE4ELNS1_3repE0EEENS3_ILS4_10ELS5_1201ELS6_5ELS7_0EEENS1_28merge_sort_block_sort_configILj256ELj4ELNS0_20block_sort_algorithmE0EEENS0_14default_configENS1_37merge_sort_block_sort_config_selectorIjN6thrust23THRUST_200600_302600_NS5tupleIffNSG_9null_typeESI_SI_SI_SI_SI_SI_SI_EEEENS1_38merge_sort_block_merge_config_selectorIjSJ_EEEEvv.num_agpr, 0
	.set _ZN7rocprim17ROCPRIM_400000_NS6detail44device_merge_sort_compile_time_verifier_archINS1_11comp_targetILNS1_3genE10ELNS1_11target_archE1200ELNS1_3gpuE4ELNS1_3repE0EEENS3_ILS4_10ELS5_1201ELS6_5ELS7_0EEENS1_28merge_sort_block_sort_configILj256ELj4ELNS0_20block_sort_algorithmE0EEENS0_14default_configENS1_37merge_sort_block_sort_config_selectorIjN6thrust23THRUST_200600_302600_NS5tupleIffNSG_9null_typeESI_SI_SI_SI_SI_SI_SI_EEEENS1_38merge_sort_block_merge_config_selectorIjSJ_EEEEvv.numbered_sgpr, 0
	.set _ZN7rocprim17ROCPRIM_400000_NS6detail44device_merge_sort_compile_time_verifier_archINS1_11comp_targetILNS1_3genE10ELNS1_11target_archE1200ELNS1_3gpuE4ELNS1_3repE0EEENS3_ILS4_10ELS5_1201ELS6_5ELS7_0EEENS1_28merge_sort_block_sort_configILj256ELj4ELNS0_20block_sort_algorithmE0EEENS0_14default_configENS1_37merge_sort_block_sort_config_selectorIjN6thrust23THRUST_200600_302600_NS5tupleIffNSG_9null_typeESI_SI_SI_SI_SI_SI_SI_EEEENS1_38merge_sort_block_merge_config_selectorIjSJ_EEEEvv.num_named_barrier, 0
	.set _ZN7rocprim17ROCPRIM_400000_NS6detail44device_merge_sort_compile_time_verifier_archINS1_11comp_targetILNS1_3genE10ELNS1_11target_archE1200ELNS1_3gpuE4ELNS1_3repE0EEENS3_ILS4_10ELS5_1201ELS6_5ELS7_0EEENS1_28merge_sort_block_sort_configILj256ELj4ELNS0_20block_sort_algorithmE0EEENS0_14default_configENS1_37merge_sort_block_sort_config_selectorIjN6thrust23THRUST_200600_302600_NS5tupleIffNSG_9null_typeESI_SI_SI_SI_SI_SI_SI_EEEENS1_38merge_sort_block_merge_config_selectorIjSJ_EEEEvv.private_seg_size, 0
	.set _ZN7rocprim17ROCPRIM_400000_NS6detail44device_merge_sort_compile_time_verifier_archINS1_11comp_targetILNS1_3genE10ELNS1_11target_archE1200ELNS1_3gpuE4ELNS1_3repE0EEENS3_ILS4_10ELS5_1201ELS6_5ELS7_0EEENS1_28merge_sort_block_sort_configILj256ELj4ELNS0_20block_sort_algorithmE0EEENS0_14default_configENS1_37merge_sort_block_sort_config_selectorIjN6thrust23THRUST_200600_302600_NS5tupleIffNSG_9null_typeESI_SI_SI_SI_SI_SI_SI_EEEENS1_38merge_sort_block_merge_config_selectorIjSJ_EEEEvv.uses_vcc, 0
	.set _ZN7rocprim17ROCPRIM_400000_NS6detail44device_merge_sort_compile_time_verifier_archINS1_11comp_targetILNS1_3genE10ELNS1_11target_archE1200ELNS1_3gpuE4ELNS1_3repE0EEENS3_ILS4_10ELS5_1201ELS6_5ELS7_0EEENS1_28merge_sort_block_sort_configILj256ELj4ELNS0_20block_sort_algorithmE0EEENS0_14default_configENS1_37merge_sort_block_sort_config_selectorIjN6thrust23THRUST_200600_302600_NS5tupleIffNSG_9null_typeESI_SI_SI_SI_SI_SI_SI_EEEENS1_38merge_sort_block_merge_config_selectorIjSJ_EEEEvv.uses_flat_scratch, 0
	.set _ZN7rocprim17ROCPRIM_400000_NS6detail44device_merge_sort_compile_time_verifier_archINS1_11comp_targetILNS1_3genE10ELNS1_11target_archE1200ELNS1_3gpuE4ELNS1_3repE0EEENS3_ILS4_10ELS5_1201ELS6_5ELS7_0EEENS1_28merge_sort_block_sort_configILj256ELj4ELNS0_20block_sort_algorithmE0EEENS0_14default_configENS1_37merge_sort_block_sort_config_selectorIjN6thrust23THRUST_200600_302600_NS5tupleIffNSG_9null_typeESI_SI_SI_SI_SI_SI_SI_EEEENS1_38merge_sort_block_merge_config_selectorIjSJ_EEEEvv.has_dyn_sized_stack, 0
	.set _ZN7rocprim17ROCPRIM_400000_NS6detail44device_merge_sort_compile_time_verifier_archINS1_11comp_targetILNS1_3genE10ELNS1_11target_archE1200ELNS1_3gpuE4ELNS1_3repE0EEENS3_ILS4_10ELS5_1201ELS6_5ELS7_0EEENS1_28merge_sort_block_sort_configILj256ELj4ELNS0_20block_sort_algorithmE0EEENS0_14default_configENS1_37merge_sort_block_sort_config_selectorIjN6thrust23THRUST_200600_302600_NS5tupleIffNSG_9null_typeESI_SI_SI_SI_SI_SI_SI_EEEENS1_38merge_sort_block_merge_config_selectorIjSJ_EEEEvv.has_recursion, 0
	.set _ZN7rocprim17ROCPRIM_400000_NS6detail44device_merge_sort_compile_time_verifier_archINS1_11comp_targetILNS1_3genE10ELNS1_11target_archE1200ELNS1_3gpuE4ELNS1_3repE0EEENS3_ILS4_10ELS5_1201ELS6_5ELS7_0EEENS1_28merge_sort_block_sort_configILj256ELj4ELNS0_20block_sort_algorithmE0EEENS0_14default_configENS1_37merge_sort_block_sort_config_selectorIjN6thrust23THRUST_200600_302600_NS5tupleIffNSG_9null_typeESI_SI_SI_SI_SI_SI_SI_EEEENS1_38merge_sort_block_merge_config_selectorIjSJ_EEEEvv.has_indirect_call, 0
	.section	.AMDGPU.csdata,"",@progbits
; Kernel info:
; codeLenInByte = 4
; TotalNumSgprs: 0
; NumVgprs: 0
; ScratchSize: 0
; MemoryBound: 0
; FloatMode: 240
; IeeeMode: 1
; LDSByteSize: 0 bytes/workgroup (compile time only)
; SGPRBlocks: 0
; VGPRBlocks: 0
; NumSGPRsForWavesPerEU: 1
; NumVGPRsForWavesPerEU: 1
; NamedBarCnt: 0
; Occupancy: 16
; WaveLimiterHint : 0
; COMPUTE_PGM_RSRC2:SCRATCH_EN: 0
; COMPUTE_PGM_RSRC2:USER_SGPR: 0
; COMPUTE_PGM_RSRC2:TRAP_HANDLER: 0
; COMPUTE_PGM_RSRC2:TGID_X_EN: 1
; COMPUTE_PGM_RSRC2:TGID_Y_EN: 0
; COMPUTE_PGM_RSRC2:TGID_Z_EN: 0
; COMPUTE_PGM_RSRC2:TIDIG_COMP_CNT: 0
	.section	.text._ZN7rocprim17ROCPRIM_400000_NS6detail44device_merge_sort_compile_time_verifier_archINS1_11comp_targetILNS1_3genE9ELNS1_11target_archE1100ELNS1_3gpuE3ELNS1_3repE0EEES8_NS1_28merge_sort_block_sort_configILj256ELj4ELNS0_20block_sort_algorithmE0EEENS0_14default_configENS1_37merge_sort_block_sort_config_selectorIjN6thrust23THRUST_200600_302600_NS5tupleIffNSF_9null_typeESH_SH_SH_SH_SH_SH_SH_EEEENS1_38merge_sort_block_merge_config_selectorIjSI_EEEEvv,"axG",@progbits,_ZN7rocprim17ROCPRIM_400000_NS6detail44device_merge_sort_compile_time_verifier_archINS1_11comp_targetILNS1_3genE9ELNS1_11target_archE1100ELNS1_3gpuE3ELNS1_3repE0EEES8_NS1_28merge_sort_block_sort_configILj256ELj4ELNS0_20block_sort_algorithmE0EEENS0_14default_configENS1_37merge_sort_block_sort_config_selectorIjN6thrust23THRUST_200600_302600_NS5tupleIffNSF_9null_typeESH_SH_SH_SH_SH_SH_SH_EEEENS1_38merge_sort_block_merge_config_selectorIjSI_EEEEvv,comdat
	.protected	_ZN7rocprim17ROCPRIM_400000_NS6detail44device_merge_sort_compile_time_verifier_archINS1_11comp_targetILNS1_3genE9ELNS1_11target_archE1100ELNS1_3gpuE3ELNS1_3repE0EEES8_NS1_28merge_sort_block_sort_configILj256ELj4ELNS0_20block_sort_algorithmE0EEENS0_14default_configENS1_37merge_sort_block_sort_config_selectorIjN6thrust23THRUST_200600_302600_NS5tupleIffNSF_9null_typeESH_SH_SH_SH_SH_SH_SH_EEEENS1_38merge_sort_block_merge_config_selectorIjSI_EEEEvv ; -- Begin function _ZN7rocprim17ROCPRIM_400000_NS6detail44device_merge_sort_compile_time_verifier_archINS1_11comp_targetILNS1_3genE9ELNS1_11target_archE1100ELNS1_3gpuE3ELNS1_3repE0EEES8_NS1_28merge_sort_block_sort_configILj256ELj4ELNS0_20block_sort_algorithmE0EEENS0_14default_configENS1_37merge_sort_block_sort_config_selectorIjN6thrust23THRUST_200600_302600_NS5tupleIffNSF_9null_typeESH_SH_SH_SH_SH_SH_SH_EEEENS1_38merge_sort_block_merge_config_selectorIjSI_EEEEvv
	.globl	_ZN7rocprim17ROCPRIM_400000_NS6detail44device_merge_sort_compile_time_verifier_archINS1_11comp_targetILNS1_3genE9ELNS1_11target_archE1100ELNS1_3gpuE3ELNS1_3repE0EEES8_NS1_28merge_sort_block_sort_configILj256ELj4ELNS0_20block_sort_algorithmE0EEENS0_14default_configENS1_37merge_sort_block_sort_config_selectorIjN6thrust23THRUST_200600_302600_NS5tupleIffNSF_9null_typeESH_SH_SH_SH_SH_SH_SH_EEEENS1_38merge_sort_block_merge_config_selectorIjSI_EEEEvv
	.p2align	8
	.type	_ZN7rocprim17ROCPRIM_400000_NS6detail44device_merge_sort_compile_time_verifier_archINS1_11comp_targetILNS1_3genE9ELNS1_11target_archE1100ELNS1_3gpuE3ELNS1_3repE0EEES8_NS1_28merge_sort_block_sort_configILj256ELj4ELNS0_20block_sort_algorithmE0EEENS0_14default_configENS1_37merge_sort_block_sort_config_selectorIjN6thrust23THRUST_200600_302600_NS5tupleIffNSF_9null_typeESH_SH_SH_SH_SH_SH_SH_EEEENS1_38merge_sort_block_merge_config_selectorIjSI_EEEEvv,@function
_ZN7rocprim17ROCPRIM_400000_NS6detail44device_merge_sort_compile_time_verifier_archINS1_11comp_targetILNS1_3genE9ELNS1_11target_archE1100ELNS1_3gpuE3ELNS1_3repE0EEES8_NS1_28merge_sort_block_sort_configILj256ELj4ELNS0_20block_sort_algorithmE0EEENS0_14default_configENS1_37merge_sort_block_sort_config_selectorIjN6thrust23THRUST_200600_302600_NS5tupleIffNSF_9null_typeESH_SH_SH_SH_SH_SH_SH_EEEENS1_38merge_sort_block_merge_config_selectorIjSI_EEEEvv: ; @_ZN7rocprim17ROCPRIM_400000_NS6detail44device_merge_sort_compile_time_verifier_archINS1_11comp_targetILNS1_3genE9ELNS1_11target_archE1100ELNS1_3gpuE3ELNS1_3repE0EEES8_NS1_28merge_sort_block_sort_configILj256ELj4ELNS0_20block_sort_algorithmE0EEENS0_14default_configENS1_37merge_sort_block_sort_config_selectorIjN6thrust23THRUST_200600_302600_NS5tupleIffNSF_9null_typeESH_SH_SH_SH_SH_SH_SH_EEEENS1_38merge_sort_block_merge_config_selectorIjSI_EEEEvv
; %bb.0:
	s_endpgm
	.section	.rodata,"a",@progbits
	.p2align	6, 0x0
	.amdhsa_kernel _ZN7rocprim17ROCPRIM_400000_NS6detail44device_merge_sort_compile_time_verifier_archINS1_11comp_targetILNS1_3genE9ELNS1_11target_archE1100ELNS1_3gpuE3ELNS1_3repE0EEES8_NS1_28merge_sort_block_sort_configILj256ELj4ELNS0_20block_sort_algorithmE0EEENS0_14default_configENS1_37merge_sort_block_sort_config_selectorIjN6thrust23THRUST_200600_302600_NS5tupleIffNSF_9null_typeESH_SH_SH_SH_SH_SH_SH_EEEENS1_38merge_sort_block_merge_config_selectorIjSI_EEEEvv
		.amdhsa_group_segment_fixed_size 0
		.amdhsa_private_segment_fixed_size 0
		.amdhsa_kernarg_size 0
		.amdhsa_user_sgpr_count 0
		.amdhsa_user_sgpr_dispatch_ptr 0
		.amdhsa_user_sgpr_queue_ptr 0
		.amdhsa_user_sgpr_kernarg_segment_ptr 0
		.amdhsa_user_sgpr_dispatch_id 0
		.amdhsa_user_sgpr_kernarg_preload_length 0
		.amdhsa_user_sgpr_kernarg_preload_offset 0
		.amdhsa_user_sgpr_private_segment_size 0
		.amdhsa_wavefront_size32 1
		.amdhsa_uses_dynamic_stack 0
		.amdhsa_enable_private_segment 0
		.amdhsa_system_sgpr_workgroup_id_x 1
		.amdhsa_system_sgpr_workgroup_id_y 0
		.amdhsa_system_sgpr_workgroup_id_z 0
		.amdhsa_system_sgpr_workgroup_info 0
		.amdhsa_system_vgpr_workitem_id 0
		.amdhsa_next_free_vgpr 1
		.amdhsa_next_free_sgpr 1
		.amdhsa_named_barrier_count 0
		.amdhsa_reserve_vcc 0
		.amdhsa_float_round_mode_32 0
		.amdhsa_float_round_mode_16_64 0
		.amdhsa_float_denorm_mode_32 3
		.amdhsa_float_denorm_mode_16_64 3
		.amdhsa_fp16_overflow 0
		.amdhsa_memory_ordered 1
		.amdhsa_forward_progress 1
		.amdhsa_inst_pref_size 1
		.amdhsa_round_robin_scheduling 0
		.amdhsa_exception_fp_ieee_invalid_op 0
		.amdhsa_exception_fp_denorm_src 0
		.amdhsa_exception_fp_ieee_div_zero 0
		.amdhsa_exception_fp_ieee_overflow 0
		.amdhsa_exception_fp_ieee_underflow 0
		.amdhsa_exception_fp_ieee_inexact 0
		.amdhsa_exception_int_div_zero 0
	.end_amdhsa_kernel
	.section	.text._ZN7rocprim17ROCPRIM_400000_NS6detail44device_merge_sort_compile_time_verifier_archINS1_11comp_targetILNS1_3genE9ELNS1_11target_archE1100ELNS1_3gpuE3ELNS1_3repE0EEES8_NS1_28merge_sort_block_sort_configILj256ELj4ELNS0_20block_sort_algorithmE0EEENS0_14default_configENS1_37merge_sort_block_sort_config_selectorIjN6thrust23THRUST_200600_302600_NS5tupleIffNSF_9null_typeESH_SH_SH_SH_SH_SH_SH_EEEENS1_38merge_sort_block_merge_config_selectorIjSI_EEEEvv,"axG",@progbits,_ZN7rocprim17ROCPRIM_400000_NS6detail44device_merge_sort_compile_time_verifier_archINS1_11comp_targetILNS1_3genE9ELNS1_11target_archE1100ELNS1_3gpuE3ELNS1_3repE0EEES8_NS1_28merge_sort_block_sort_configILj256ELj4ELNS0_20block_sort_algorithmE0EEENS0_14default_configENS1_37merge_sort_block_sort_config_selectorIjN6thrust23THRUST_200600_302600_NS5tupleIffNSF_9null_typeESH_SH_SH_SH_SH_SH_SH_EEEENS1_38merge_sort_block_merge_config_selectorIjSI_EEEEvv,comdat
.Lfunc_end23:
	.size	_ZN7rocprim17ROCPRIM_400000_NS6detail44device_merge_sort_compile_time_verifier_archINS1_11comp_targetILNS1_3genE9ELNS1_11target_archE1100ELNS1_3gpuE3ELNS1_3repE0EEES8_NS1_28merge_sort_block_sort_configILj256ELj4ELNS0_20block_sort_algorithmE0EEENS0_14default_configENS1_37merge_sort_block_sort_config_selectorIjN6thrust23THRUST_200600_302600_NS5tupleIffNSF_9null_typeESH_SH_SH_SH_SH_SH_SH_EEEENS1_38merge_sort_block_merge_config_selectorIjSI_EEEEvv, .Lfunc_end23-_ZN7rocprim17ROCPRIM_400000_NS6detail44device_merge_sort_compile_time_verifier_archINS1_11comp_targetILNS1_3genE9ELNS1_11target_archE1100ELNS1_3gpuE3ELNS1_3repE0EEES8_NS1_28merge_sort_block_sort_configILj256ELj4ELNS0_20block_sort_algorithmE0EEENS0_14default_configENS1_37merge_sort_block_sort_config_selectorIjN6thrust23THRUST_200600_302600_NS5tupleIffNSF_9null_typeESH_SH_SH_SH_SH_SH_SH_EEEENS1_38merge_sort_block_merge_config_selectorIjSI_EEEEvv
                                        ; -- End function
	.set _ZN7rocprim17ROCPRIM_400000_NS6detail44device_merge_sort_compile_time_verifier_archINS1_11comp_targetILNS1_3genE9ELNS1_11target_archE1100ELNS1_3gpuE3ELNS1_3repE0EEES8_NS1_28merge_sort_block_sort_configILj256ELj4ELNS0_20block_sort_algorithmE0EEENS0_14default_configENS1_37merge_sort_block_sort_config_selectorIjN6thrust23THRUST_200600_302600_NS5tupleIffNSF_9null_typeESH_SH_SH_SH_SH_SH_SH_EEEENS1_38merge_sort_block_merge_config_selectorIjSI_EEEEvv.num_vgpr, 0
	.set _ZN7rocprim17ROCPRIM_400000_NS6detail44device_merge_sort_compile_time_verifier_archINS1_11comp_targetILNS1_3genE9ELNS1_11target_archE1100ELNS1_3gpuE3ELNS1_3repE0EEES8_NS1_28merge_sort_block_sort_configILj256ELj4ELNS0_20block_sort_algorithmE0EEENS0_14default_configENS1_37merge_sort_block_sort_config_selectorIjN6thrust23THRUST_200600_302600_NS5tupleIffNSF_9null_typeESH_SH_SH_SH_SH_SH_SH_EEEENS1_38merge_sort_block_merge_config_selectorIjSI_EEEEvv.num_agpr, 0
	.set _ZN7rocprim17ROCPRIM_400000_NS6detail44device_merge_sort_compile_time_verifier_archINS1_11comp_targetILNS1_3genE9ELNS1_11target_archE1100ELNS1_3gpuE3ELNS1_3repE0EEES8_NS1_28merge_sort_block_sort_configILj256ELj4ELNS0_20block_sort_algorithmE0EEENS0_14default_configENS1_37merge_sort_block_sort_config_selectorIjN6thrust23THRUST_200600_302600_NS5tupleIffNSF_9null_typeESH_SH_SH_SH_SH_SH_SH_EEEENS1_38merge_sort_block_merge_config_selectorIjSI_EEEEvv.numbered_sgpr, 0
	.set _ZN7rocprim17ROCPRIM_400000_NS6detail44device_merge_sort_compile_time_verifier_archINS1_11comp_targetILNS1_3genE9ELNS1_11target_archE1100ELNS1_3gpuE3ELNS1_3repE0EEES8_NS1_28merge_sort_block_sort_configILj256ELj4ELNS0_20block_sort_algorithmE0EEENS0_14default_configENS1_37merge_sort_block_sort_config_selectorIjN6thrust23THRUST_200600_302600_NS5tupleIffNSF_9null_typeESH_SH_SH_SH_SH_SH_SH_EEEENS1_38merge_sort_block_merge_config_selectorIjSI_EEEEvv.num_named_barrier, 0
	.set _ZN7rocprim17ROCPRIM_400000_NS6detail44device_merge_sort_compile_time_verifier_archINS1_11comp_targetILNS1_3genE9ELNS1_11target_archE1100ELNS1_3gpuE3ELNS1_3repE0EEES8_NS1_28merge_sort_block_sort_configILj256ELj4ELNS0_20block_sort_algorithmE0EEENS0_14default_configENS1_37merge_sort_block_sort_config_selectorIjN6thrust23THRUST_200600_302600_NS5tupleIffNSF_9null_typeESH_SH_SH_SH_SH_SH_SH_EEEENS1_38merge_sort_block_merge_config_selectorIjSI_EEEEvv.private_seg_size, 0
	.set _ZN7rocprim17ROCPRIM_400000_NS6detail44device_merge_sort_compile_time_verifier_archINS1_11comp_targetILNS1_3genE9ELNS1_11target_archE1100ELNS1_3gpuE3ELNS1_3repE0EEES8_NS1_28merge_sort_block_sort_configILj256ELj4ELNS0_20block_sort_algorithmE0EEENS0_14default_configENS1_37merge_sort_block_sort_config_selectorIjN6thrust23THRUST_200600_302600_NS5tupleIffNSF_9null_typeESH_SH_SH_SH_SH_SH_SH_EEEENS1_38merge_sort_block_merge_config_selectorIjSI_EEEEvv.uses_vcc, 0
	.set _ZN7rocprim17ROCPRIM_400000_NS6detail44device_merge_sort_compile_time_verifier_archINS1_11comp_targetILNS1_3genE9ELNS1_11target_archE1100ELNS1_3gpuE3ELNS1_3repE0EEES8_NS1_28merge_sort_block_sort_configILj256ELj4ELNS0_20block_sort_algorithmE0EEENS0_14default_configENS1_37merge_sort_block_sort_config_selectorIjN6thrust23THRUST_200600_302600_NS5tupleIffNSF_9null_typeESH_SH_SH_SH_SH_SH_SH_EEEENS1_38merge_sort_block_merge_config_selectorIjSI_EEEEvv.uses_flat_scratch, 0
	.set _ZN7rocprim17ROCPRIM_400000_NS6detail44device_merge_sort_compile_time_verifier_archINS1_11comp_targetILNS1_3genE9ELNS1_11target_archE1100ELNS1_3gpuE3ELNS1_3repE0EEES8_NS1_28merge_sort_block_sort_configILj256ELj4ELNS0_20block_sort_algorithmE0EEENS0_14default_configENS1_37merge_sort_block_sort_config_selectorIjN6thrust23THRUST_200600_302600_NS5tupleIffNSF_9null_typeESH_SH_SH_SH_SH_SH_SH_EEEENS1_38merge_sort_block_merge_config_selectorIjSI_EEEEvv.has_dyn_sized_stack, 0
	.set _ZN7rocprim17ROCPRIM_400000_NS6detail44device_merge_sort_compile_time_verifier_archINS1_11comp_targetILNS1_3genE9ELNS1_11target_archE1100ELNS1_3gpuE3ELNS1_3repE0EEES8_NS1_28merge_sort_block_sort_configILj256ELj4ELNS0_20block_sort_algorithmE0EEENS0_14default_configENS1_37merge_sort_block_sort_config_selectorIjN6thrust23THRUST_200600_302600_NS5tupleIffNSF_9null_typeESH_SH_SH_SH_SH_SH_SH_EEEENS1_38merge_sort_block_merge_config_selectorIjSI_EEEEvv.has_recursion, 0
	.set _ZN7rocprim17ROCPRIM_400000_NS6detail44device_merge_sort_compile_time_verifier_archINS1_11comp_targetILNS1_3genE9ELNS1_11target_archE1100ELNS1_3gpuE3ELNS1_3repE0EEES8_NS1_28merge_sort_block_sort_configILj256ELj4ELNS0_20block_sort_algorithmE0EEENS0_14default_configENS1_37merge_sort_block_sort_config_selectorIjN6thrust23THRUST_200600_302600_NS5tupleIffNSF_9null_typeESH_SH_SH_SH_SH_SH_SH_EEEENS1_38merge_sort_block_merge_config_selectorIjSI_EEEEvv.has_indirect_call, 0
	.section	.AMDGPU.csdata,"",@progbits
; Kernel info:
; codeLenInByte = 4
; TotalNumSgprs: 0
; NumVgprs: 0
; ScratchSize: 0
; MemoryBound: 0
; FloatMode: 240
; IeeeMode: 1
; LDSByteSize: 0 bytes/workgroup (compile time only)
; SGPRBlocks: 0
; VGPRBlocks: 0
; NumSGPRsForWavesPerEU: 1
; NumVGPRsForWavesPerEU: 1
; NamedBarCnt: 0
; Occupancy: 16
; WaveLimiterHint : 0
; COMPUTE_PGM_RSRC2:SCRATCH_EN: 0
; COMPUTE_PGM_RSRC2:USER_SGPR: 0
; COMPUTE_PGM_RSRC2:TRAP_HANDLER: 0
; COMPUTE_PGM_RSRC2:TGID_X_EN: 1
; COMPUTE_PGM_RSRC2:TGID_Y_EN: 0
; COMPUTE_PGM_RSRC2:TGID_Z_EN: 0
; COMPUTE_PGM_RSRC2:TIDIG_COMP_CNT: 0
	.section	.text._ZN7rocprim17ROCPRIM_400000_NS6detail44device_merge_sort_compile_time_verifier_archINS1_11comp_targetILNS1_3genE8ELNS1_11target_archE1030ELNS1_3gpuE2ELNS1_3repE0EEES8_NS1_28merge_sort_block_sort_configILj256ELj4ELNS0_20block_sort_algorithmE0EEENS0_14default_configENS1_37merge_sort_block_sort_config_selectorIjN6thrust23THRUST_200600_302600_NS5tupleIffNSF_9null_typeESH_SH_SH_SH_SH_SH_SH_EEEENS1_38merge_sort_block_merge_config_selectorIjSI_EEEEvv,"axG",@progbits,_ZN7rocprim17ROCPRIM_400000_NS6detail44device_merge_sort_compile_time_verifier_archINS1_11comp_targetILNS1_3genE8ELNS1_11target_archE1030ELNS1_3gpuE2ELNS1_3repE0EEES8_NS1_28merge_sort_block_sort_configILj256ELj4ELNS0_20block_sort_algorithmE0EEENS0_14default_configENS1_37merge_sort_block_sort_config_selectorIjN6thrust23THRUST_200600_302600_NS5tupleIffNSF_9null_typeESH_SH_SH_SH_SH_SH_SH_EEEENS1_38merge_sort_block_merge_config_selectorIjSI_EEEEvv,comdat
	.protected	_ZN7rocprim17ROCPRIM_400000_NS6detail44device_merge_sort_compile_time_verifier_archINS1_11comp_targetILNS1_3genE8ELNS1_11target_archE1030ELNS1_3gpuE2ELNS1_3repE0EEES8_NS1_28merge_sort_block_sort_configILj256ELj4ELNS0_20block_sort_algorithmE0EEENS0_14default_configENS1_37merge_sort_block_sort_config_selectorIjN6thrust23THRUST_200600_302600_NS5tupleIffNSF_9null_typeESH_SH_SH_SH_SH_SH_SH_EEEENS1_38merge_sort_block_merge_config_selectorIjSI_EEEEvv ; -- Begin function _ZN7rocprim17ROCPRIM_400000_NS6detail44device_merge_sort_compile_time_verifier_archINS1_11comp_targetILNS1_3genE8ELNS1_11target_archE1030ELNS1_3gpuE2ELNS1_3repE0EEES8_NS1_28merge_sort_block_sort_configILj256ELj4ELNS0_20block_sort_algorithmE0EEENS0_14default_configENS1_37merge_sort_block_sort_config_selectorIjN6thrust23THRUST_200600_302600_NS5tupleIffNSF_9null_typeESH_SH_SH_SH_SH_SH_SH_EEEENS1_38merge_sort_block_merge_config_selectorIjSI_EEEEvv
	.globl	_ZN7rocprim17ROCPRIM_400000_NS6detail44device_merge_sort_compile_time_verifier_archINS1_11comp_targetILNS1_3genE8ELNS1_11target_archE1030ELNS1_3gpuE2ELNS1_3repE0EEES8_NS1_28merge_sort_block_sort_configILj256ELj4ELNS0_20block_sort_algorithmE0EEENS0_14default_configENS1_37merge_sort_block_sort_config_selectorIjN6thrust23THRUST_200600_302600_NS5tupleIffNSF_9null_typeESH_SH_SH_SH_SH_SH_SH_EEEENS1_38merge_sort_block_merge_config_selectorIjSI_EEEEvv
	.p2align	8
	.type	_ZN7rocprim17ROCPRIM_400000_NS6detail44device_merge_sort_compile_time_verifier_archINS1_11comp_targetILNS1_3genE8ELNS1_11target_archE1030ELNS1_3gpuE2ELNS1_3repE0EEES8_NS1_28merge_sort_block_sort_configILj256ELj4ELNS0_20block_sort_algorithmE0EEENS0_14default_configENS1_37merge_sort_block_sort_config_selectorIjN6thrust23THRUST_200600_302600_NS5tupleIffNSF_9null_typeESH_SH_SH_SH_SH_SH_SH_EEEENS1_38merge_sort_block_merge_config_selectorIjSI_EEEEvv,@function
_ZN7rocprim17ROCPRIM_400000_NS6detail44device_merge_sort_compile_time_verifier_archINS1_11comp_targetILNS1_3genE8ELNS1_11target_archE1030ELNS1_3gpuE2ELNS1_3repE0EEES8_NS1_28merge_sort_block_sort_configILj256ELj4ELNS0_20block_sort_algorithmE0EEENS0_14default_configENS1_37merge_sort_block_sort_config_selectorIjN6thrust23THRUST_200600_302600_NS5tupleIffNSF_9null_typeESH_SH_SH_SH_SH_SH_SH_EEEENS1_38merge_sort_block_merge_config_selectorIjSI_EEEEvv: ; @_ZN7rocprim17ROCPRIM_400000_NS6detail44device_merge_sort_compile_time_verifier_archINS1_11comp_targetILNS1_3genE8ELNS1_11target_archE1030ELNS1_3gpuE2ELNS1_3repE0EEES8_NS1_28merge_sort_block_sort_configILj256ELj4ELNS0_20block_sort_algorithmE0EEENS0_14default_configENS1_37merge_sort_block_sort_config_selectorIjN6thrust23THRUST_200600_302600_NS5tupleIffNSF_9null_typeESH_SH_SH_SH_SH_SH_SH_EEEENS1_38merge_sort_block_merge_config_selectorIjSI_EEEEvv
; %bb.0:
	s_endpgm
	.section	.rodata,"a",@progbits
	.p2align	6, 0x0
	.amdhsa_kernel _ZN7rocprim17ROCPRIM_400000_NS6detail44device_merge_sort_compile_time_verifier_archINS1_11comp_targetILNS1_3genE8ELNS1_11target_archE1030ELNS1_3gpuE2ELNS1_3repE0EEES8_NS1_28merge_sort_block_sort_configILj256ELj4ELNS0_20block_sort_algorithmE0EEENS0_14default_configENS1_37merge_sort_block_sort_config_selectorIjN6thrust23THRUST_200600_302600_NS5tupleIffNSF_9null_typeESH_SH_SH_SH_SH_SH_SH_EEEENS1_38merge_sort_block_merge_config_selectorIjSI_EEEEvv
		.amdhsa_group_segment_fixed_size 0
		.amdhsa_private_segment_fixed_size 0
		.amdhsa_kernarg_size 0
		.amdhsa_user_sgpr_count 0
		.amdhsa_user_sgpr_dispatch_ptr 0
		.amdhsa_user_sgpr_queue_ptr 0
		.amdhsa_user_sgpr_kernarg_segment_ptr 0
		.amdhsa_user_sgpr_dispatch_id 0
		.amdhsa_user_sgpr_kernarg_preload_length 0
		.amdhsa_user_sgpr_kernarg_preload_offset 0
		.amdhsa_user_sgpr_private_segment_size 0
		.amdhsa_wavefront_size32 1
		.amdhsa_uses_dynamic_stack 0
		.amdhsa_enable_private_segment 0
		.amdhsa_system_sgpr_workgroup_id_x 1
		.amdhsa_system_sgpr_workgroup_id_y 0
		.amdhsa_system_sgpr_workgroup_id_z 0
		.amdhsa_system_sgpr_workgroup_info 0
		.amdhsa_system_vgpr_workitem_id 0
		.amdhsa_next_free_vgpr 1
		.amdhsa_next_free_sgpr 1
		.amdhsa_named_barrier_count 0
		.amdhsa_reserve_vcc 0
		.amdhsa_float_round_mode_32 0
		.amdhsa_float_round_mode_16_64 0
		.amdhsa_float_denorm_mode_32 3
		.amdhsa_float_denorm_mode_16_64 3
		.amdhsa_fp16_overflow 0
		.amdhsa_memory_ordered 1
		.amdhsa_forward_progress 1
		.amdhsa_inst_pref_size 1
		.amdhsa_round_robin_scheduling 0
		.amdhsa_exception_fp_ieee_invalid_op 0
		.amdhsa_exception_fp_denorm_src 0
		.amdhsa_exception_fp_ieee_div_zero 0
		.amdhsa_exception_fp_ieee_overflow 0
		.amdhsa_exception_fp_ieee_underflow 0
		.amdhsa_exception_fp_ieee_inexact 0
		.amdhsa_exception_int_div_zero 0
	.end_amdhsa_kernel
	.section	.text._ZN7rocprim17ROCPRIM_400000_NS6detail44device_merge_sort_compile_time_verifier_archINS1_11comp_targetILNS1_3genE8ELNS1_11target_archE1030ELNS1_3gpuE2ELNS1_3repE0EEES8_NS1_28merge_sort_block_sort_configILj256ELj4ELNS0_20block_sort_algorithmE0EEENS0_14default_configENS1_37merge_sort_block_sort_config_selectorIjN6thrust23THRUST_200600_302600_NS5tupleIffNSF_9null_typeESH_SH_SH_SH_SH_SH_SH_EEEENS1_38merge_sort_block_merge_config_selectorIjSI_EEEEvv,"axG",@progbits,_ZN7rocprim17ROCPRIM_400000_NS6detail44device_merge_sort_compile_time_verifier_archINS1_11comp_targetILNS1_3genE8ELNS1_11target_archE1030ELNS1_3gpuE2ELNS1_3repE0EEES8_NS1_28merge_sort_block_sort_configILj256ELj4ELNS0_20block_sort_algorithmE0EEENS0_14default_configENS1_37merge_sort_block_sort_config_selectorIjN6thrust23THRUST_200600_302600_NS5tupleIffNSF_9null_typeESH_SH_SH_SH_SH_SH_SH_EEEENS1_38merge_sort_block_merge_config_selectorIjSI_EEEEvv,comdat
.Lfunc_end24:
	.size	_ZN7rocprim17ROCPRIM_400000_NS6detail44device_merge_sort_compile_time_verifier_archINS1_11comp_targetILNS1_3genE8ELNS1_11target_archE1030ELNS1_3gpuE2ELNS1_3repE0EEES8_NS1_28merge_sort_block_sort_configILj256ELj4ELNS0_20block_sort_algorithmE0EEENS0_14default_configENS1_37merge_sort_block_sort_config_selectorIjN6thrust23THRUST_200600_302600_NS5tupleIffNSF_9null_typeESH_SH_SH_SH_SH_SH_SH_EEEENS1_38merge_sort_block_merge_config_selectorIjSI_EEEEvv, .Lfunc_end24-_ZN7rocprim17ROCPRIM_400000_NS6detail44device_merge_sort_compile_time_verifier_archINS1_11comp_targetILNS1_3genE8ELNS1_11target_archE1030ELNS1_3gpuE2ELNS1_3repE0EEES8_NS1_28merge_sort_block_sort_configILj256ELj4ELNS0_20block_sort_algorithmE0EEENS0_14default_configENS1_37merge_sort_block_sort_config_selectorIjN6thrust23THRUST_200600_302600_NS5tupleIffNSF_9null_typeESH_SH_SH_SH_SH_SH_SH_EEEENS1_38merge_sort_block_merge_config_selectorIjSI_EEEEvv
                                        ; -- End function
	.set _ZN7rocprim17ROCPRIM_400000_NS6detail44device_merge_sort_compile_time_verifier_archINS1_11comp_targetILNS1_3genE8ELNS1_11target_archE1030ELNS1_3gpuE2ELNS1_3repE0EEES8_NS1_28merge_sort_block_sort_configILj256ELj4ELNS0_20block_sort_algorithmE0EEENS0_14default_configENS1_37merge_sort_block_sort_config_selectorIjN6thrust23THRUST_200600_302600_NS5tupleIffNSF_9null_typeESH_SH_SH_SH_SH_SH_SH_EEEENS1_38merge_sort_block_merge_config_selectorIjSI_EEEEvv.num_vgpr, 0
	.set _ZN7rocprim17ROCPRIM_400000_NS6detail44device_merge_sort_compile_time_verifier_archINS1_11comp_targetILNS1_3genE8ELNS1_11target_archE1030ELNS1_3gpuE2ELNS1_3repE0EEES8_NS1_28merge_sort_block_sort_configILj256ELj4ELNS0_20block_sort_algorithmE0EEENS0_14default_configENS1_37merge_sort_block_sort_config_selectorIjN6thrust23THRUST_200600_302600_NS5tupleIffNSF_9null_typeESH_SH_SH_SH_SH_SH_SH_EEEENS1_38merge_sort_block_merge_config_selectorIjSI_EEEEvv.num_agpr, 0
	.set _ZN7rocprim17ROCPRIM_400000_NS6detail44device_merge_sort_compile_time_verifier_archINS1_11comp_targetILNS1_3genE8ELNS1_11target_archE1030ELNS1_3gpuE2ELNS1_3repE0EEES8_NS1_28merge_sort_block_sort_configILj256ELj4ELNS0_20block_sort_algorithmE0EEENS0_14default_configENS1_37merge_sort_block_sort_config_selectorIjN6thrust23THRUST_200600_302600_NS5tupleIffNSF_9null_typeESH_SH_SH_SH_SH_SH_SH_EEEENS1_38merge_sort_block_merge_config_selectorIjSI_EEEEvv.numbered_sgpr, 0
	.set _ZN7rocprim17ROCPRIM_400000_NS6detail44device_merge_sort_compile_time_verifier_archINS1_11comp_targetILNS1_3genE8ELNS1_11target_archE1030ELNS1_3gpuE2ELNS1_3repE0EEES8_NS1_28merge_sort_block_sort_configILj256ELj4ELNS0_20block_sort_algorithmE0EEENS0_14default_configENS1_37merge_sort_block_sort_config_selectorIjN6thrust23THRUST_200600_302600_NS5tupleIffNSF_9null_typeESH_SH_SH_SH_SH_SH_SH_EEEENS1_38merge_sort_block_merge_config_selectorIjSI_EEEEvv.num_named_barrier, 0
	.set _ZN7rocprim17ROCPRIM_400000_NS6detail44device_merge_sort_compile_time_verifier_archINS1_11comp_targetILNS1_3genE8ELNS1_11target_archE1030ELNS1_3gpuE2ELNS1_3repE0EEES8_NS1_28merge_sort_block_sort_configILj256ELj4ELNS0_20block_sort_algorithmE0EEENS0_14default_configENS1_37merge_sort_block_sort_config_selectorIjN6thrust23THRUST_200600_302600_NS5tupleIffNSF_9null_typeESH_SH_SH_SH_SH_SH_SH_EEEENS1_38merge_sort_block_merge_config_selectorIjSI_EEEEvv.private_seg_size, 0
	.set _ZN7rocprim17ROCPRIM_400000_NS6detail44device_merge_sort_compile_time_verifier_archINS1_11comp_targetILNS1_3genE8ELNS1_11target_archE1030ELNS1_3gpuE2ELNS1_3repE0EEES8_NS1_28merge_sort_block_sort_configILj256ELj4ELNS0_20block_sort_algorithmE0EEENS0_14default_configENS1_37merge_sort_block_sort_config_selectorIjN6thrust23THRUST_200600_302600_NS5tupleIffNSF_9null_typeESH_SH_SH_SH_SH_SH_SH_EEEENS1_38merge_sort_block_merge_config_selectorIjSI_EEEEvv.uses_vcc, 0
	.set _ZN7rocprim17ROCPRIM_400000_NS6detail44device_merge_sort_compile_time_verifier_archINS1_11comp_targetILNS1_3genE8ELNS1_11target_archE1030ELNS1_3gpuE2ELNS1_3repE0EEES8_NS1_28merge_sort_block_sort_configILj256ELj4ELNS0_20block_sort_algorithmE0EEENS0_14default_configENS1_37merge_sort_block_sort_config_selectorIjN6thrust23THRUST_200600_302600_NS5tupleIffNSF_9null_typeESH_SH_SH_SH_SH_SH_SH_EEEENS1_38merge_sort_block_merge_config_selectorIjSI_EEEEvv.uses_flat_scratch, 0
	.set _ZN7rocprim17ROCPRIM_400000_NS6detail44device_merge_sort_compile_time_verifier_archINS1_11comp_targetILNS1_3genE8ELNS1_11target_archE1030ELNS1_3gpuE2ELNS1_3repE0EEES8_NS1_28merge_sort_block_sort_configILj256ELj4ELNS0_20block_sort_algorithmE0EEENS0_14default_configENS1_37merge_sort_block_sort_config_selectorIjN6thrust23THRUST_200600_302600_NS5tupleIffNSF_9null_typeESH_SH_SH_SH_SH_SH_SH_EEEENS1_38merge_sort_block_merge_config_selectorIjSI_EEEEvv.has_dyn_sized_stack, 0
	.set _ZN7rocprim17ROCPRIM_400000_NS6detail44device_merge_sort_compile_time_verifier_archINS1_11comp_targetILNS1_3genE8ELNS1_11target_archE1030ELNS1_3gpuE2ELNS1_3repE0EEES8_NS1_28merge_sort_block_sort_configILj256ELj4ELNS0_20block_sort_algorithmE0EEENS0_14default_configENS1_37merge_sort_block_sort_config_selectorIjN6thrust23THRUST_200600_302600_NS5tupleIffNSF_9null_typeESH_SH_SH_SH_SH_SH_SH_EEEENS1_38merge_sort_block_merge_config_selectorIjSI_EEEEvv.has_recursion, 0
	.set _ZN7rocprim17ROCPRIM_400000_NS6detail44device_merge_sort_compile_time_verifier_archINS1_11comp_targetILNS1_3genE8ELNS1_11target_archE1030ELNS1_3gpuE2ELNS1_3repE0EEES8_NS1_28merge_sort_block_sort_configILj256ELj4ELNS0_20block_sort_algorithmE0EEENS0_14default_configENS1_37merge_sort_block_sort_config_selectorIjN6thrust23THRUST_200600_302600_NS5tupleIffNSF_9null_typeESH_SH_SH_SH_SH_SH_SH_EEEENS1_38merge_sort_block_merge_config_selectorIjSI_EEEEvv.has_indirect_call, 0
	.section	.AMDGPU.csdata,"",@progbits
; Kernel info:
; codeLenInByte = 4
; TotalNumSgprs: 0
; NumVgprs: 0
; ScratchSize: 0
; MemoryBound: 0
; FloatMode: 240
; IeeeMode: 1
; LDSByteSize: 0 bytes/workgroup (compile time only)
; SGPRBlocks: 0
; VGPRBlocks: 0
; NumSGPRsForWavesPerEU: 1
; NumVGPRsForWavesPerEU: 1
; NamedBarCnt: 0
; Occupancy: 16
; WaveLimiterHint : 0
; COMPUTE_PGM_RSRC2:SCRATCH_EN: 0
; COMPUTE_PGM_RSRC2:USER_SGPR: 0
; COMPUTE_PGM_RSRC2:TRAP_HANDLER: 0
; COMPUTE_PGM_RSRC2:TGID_X_EN: 1
; COMPUTE_PGM_RSRC2:TGID_Y_EN: 0
; COMPUTE_PGM_RSRC2:TGID_Z_EN: 0
; COMPUTE_PGM_RSRC2:TIDIG_COMP_CNT: 0
	.section	.text._ZN7rocprim17ROCPRIM_400000_NS6detail17trampoline_kernelINS0_14default_configENS1_38merge_sort_block_merge_config_selectorIjN6thrust23THRUST_200600_302600_NS5tupleIffNS6_9null_typeES8_S8_S8_S8_S8_S8_S8_EEEEZZNS1_27merge_sort_block_merge_implIS3_NS6_6detail15normal_iteratorINS6_10device_ptrIjEEEENSD_INSE_IS9_EEEEjNS1_19radix_merge_compareILb0ELb0EjNS0_19identity_decomposerEEEEE10hipError_tT0_T1_T2_jT3_P12ihipStream_tbPNSt15iterator_traitsISN_E10value_typeEPNST_ISO_E10value_typeEPSP_NS1_7vsmem_tEENKUlT_SN_SO_SP_E_clIPjSG_PS9_SI_EESM_S12_SN_SO_SP_EUlS12_E_NS1_11comp_targetILNS1_3genE0ELNS1_11target_archE4294967295ELNS1_3gpuE0ELNS1_3repE0EEENS1_48merge_mergepath_partition_config_static_selectorELNS0_4arch9wavefront6targetE0EEEvSO_,"axG",@progbits,_ZN7rocprim17ROCPRIM_400000_NS6detail17trampoline_kernelINS0_14default_configENS1_38merge_sort_block_merge_config_selectorIjN6thrust23THRUST_200600_302600_NS5tupleIffNS6_9null_typeES8_S8_S8_S8_S8_S8_S8_EEEEZZNS1_27merge_sort_block_merge_implIS3_NS6_6detail15normal_iteratorINS6_10device_ptrIjEEEENSD_INSE_IS9_EEEEjNS1_19radix_merge_compareILb0ELb0EjNS0_19identity_decomposerEEEEE10hipError_tT0_T1_T2_jT3_P12ihipStream_tbPNSt15iterator_traitsISN_E10value_typeEPNST_ISO_E10value_typeEPSP_NS1_7vsmem_tEENKUlT_SN_SO_SP_E_clIPjSG_PS9_SI_EESM_S12_SN_SO_SP_EUlS12_E_NS1_11comp_targetILNS1_3genE0ELNS1_11target_archE4294967295ELNS1_3gpuE0ELNS1_3repE0EEENS1_48merge_mergepath_partition_config_static_selectorELNS0_4arch9wavefront6targetE0EEEvSO_,comdat
	.protected	_ZN7rocprim17ROCPRIM_400000_NS6detail17trampoline_kernelINS0_14default_configENS1_38merge_sort_block_merge_config_selectorIjN6thrust23THRUST_200600_302600_NS5tupleIffNS6_9null_typeES8_S8_S8_S8_S8_S8_S8_EEEEZZNS1_27merge_sort_block_merge_implIS3_NS6_6detail15normal_iteratorINS6_10device_ptrIjEEEENSD_INSE_IS9_EEEEjNS1_19radix_merge_compareILb0ELb0EjNS0_19identity_decomposerEEEEE10hipError_tT0_T1_T2_jT3_P12ihipStream_tbPNSt15iterator_traitsISN_E10value_typeEPNST_ISO_E10value_typeEPSP_NS1_7vsmem_tEENKUlT_SN_SO_SP_E_clIPjSG_PS9_SI_EESM_S12_SN_SO_SP_EUlS12_E_NS1_11comp_targetILNS1_3genE0ELNS1_11target_archE4294967295ELNS1_3gpuE0ELNS1_3repE0EEENS1_48merge_mergepath_partition_config_static_selectorELNS0_4arch9wavefront6targetE0EEEvSO_ ; -- Begin function _ZN7rocprim17ROCPRIM_400000_NS6detail17trampoline_kernelINS0_14default_configENS1_38merge_sort_block_merge_config_selectorIjN6thrust23THRUST_200600_302600_NS5tupleIffNS6_9null_typeES8_S8_S8_S8_S8_S8_S8_EEEEZZNS1_27merge_sort_block_merge_implIS3_NS6_6detail15normal_iteratorINS6_10device_ptrIjEEEENSD_INSE_IS9_EEEEjNS1_19radix_merge_compareILb0ELb0EjNS0_19identity_decomposerEEEEE10hipError_tT0_T1_T2_jT3_P12ihipStream_tbPNSt15iterator_traitsISN_E10value_typeEPNST_ISO_E10value_typeEPSP_NS1_7vsmem_tEENKUlT_SN_SO_SP_E_clIPjSG_PS9_SI_EESM_S12_SN_SO_SP_EUlS12_E_NS1_11comp_targetILNS1_3genE0ELNS1_11target_archE4294967295ELNS1_3gpuE0ELNS1_3repE0EEENS1_48merge_mergepath_partition_config_static_selectorELNS0_4arch9wavefront6targetE0EEEvSO_
	.globl	_ZN7rocprim17ROCPRIM_400000_NS6detail17trampoline_kernelINS0_14default_configENS1_38merge_sort_block_merge_config_selectorIjN6thrust23THRUST_200600_302600_NS5tupleIffNS6_9null_typeES8_S8_S8_S8_S8_S8_S8_EEEEZZNS1_27merge_sort_block_merge_implIS3_NS6_6detail15normal_iteratorINS6_10device_ptrIjEEEENSD_INSE_IS9_EEEEjNS1_19radix_merge_compareILb0ELb0EjNS0_19identity_decomposerEEEEE10hipError_tT0_T1_T2_jT3_P12ihipStream_tbPNSt15iterator_traitsISN_E10value_typeEPNST_ISO_E10value_typeEPSP_NS1_7vsmem_tEENKUlT_SN_SO_SP_E_clIPjSG_PS9_SI_EESM_S12_SN_SO_SP_EUlS12_E_NS1_11comp_targetILNS1_3genE0ELNS1_11target_archE4294967295ELNS1_3gpuE0ELNS1_3repE0EEENS1_48merge_mergepath_partition_config_static_selectorELNS0_4arch9wavefront6targetE0EEEvSO_
	.p2align	8
	.type	_ZN7rocprim17ROCPRIM_400000_NS6detail17trampoline_kernelINS0_14default_configENS1_38merge_sort_block_merge_config_selectorIjN6thrust23THRUST_200600_302600_NS5tupleIffNS6_9null_typeES8_S8_S8_S8_S8_S8_S8_EEEEZZNS1_27merge_sort_block_merge_implIS3_NS6_6detail15normal_iteratorINS6_10device_ptrIjEEEENSD_INSE_IS9_EEEEjNS1_19radix_merge_compareILb0ELb0EjNS0_19identity_decomposerEEEEE10hipError_tT0_T1_T2_jT3_P12ihipStream_tbPNSt15iterator_traitsISN_E10value_typeEPNST_ISO_E10value_typeEPSP_NS1_7vsmem_tEENKUlT_SN_SO_SP_E_clIPjSG_PS9_SI_EESM_S12_SN_SO_SP_EUlS12_E_NS1_11comp_targetILNS1_3genE0ELNS1_11target_archE4294967295ELNS1_3gpuE0ELNS1_3repE0EEENS1_48merge_mergepath_partition_config_static_selectorELNS0_4arch9wavefront6targetE0EEEvSO_,@function
_ZN7rocprim17ROCPRIM_400000_NS6detail17trampoline_kernelINS0_14default_configENS1_38merge_sort_block_merge_config_selectorIjN6thrust23THRUST_200600_302600_NS5tupleIffNS6_9null_typeES8_S8_S8_S8_S8_S8_S8_EEEEZZNS1_27merge_sort_block_merge_implIS3_NS6_6detail15normal_iteratorINS6_10device_ptrIjEEEENSD_INSE_IS9_EEEEjNS1_19radix_merge_compareILb0ELb0EjNS0_19identity_decomposerEEEEE10hipError_tT0_T1_T2_jT3_P12ihipStream_tbPNSt15iterator_traitsISN_E10value_typeEPNST_ISO_E10value_typeEPSP_NS1_7vsmem_tEENKUlT_SN_SO_SP_E_clIPjSG_PS9_SI_EESM_S12_SN_SO_SP_EUlS12_E_NS1_11comp_targetILNS1_3genE0ELNS1_11target_archE4294967295ELNS1_3gpuE0ELNS1_3repE0EEENS1_48merge_mergepath_partition_config_static_selectorELNS0_4arch9wavefront6targetE0EEEvSO_: ; @_ZN7rocprim17ROCPRIM_400000_NS6detail17trampoline_kernelINS0_14default_configENS1_38merge_sort_block_merge_config_selectorIjN6thrust23THRUST_200600_302600_NS5tupleIffNS6_9null_typeES8_S8_S8_S8_S8_S8_S8_EEEEZZNS1_27merge_sort_block_merge_implIS3_NS6_6detail15normal_iteratorINS6_10device_ptrIjEEEENSD_INSE_IS9_EEEEjNS1_19radix_merge_compareILb0ELb0EjNS0_19identity_decomposerEEEEE10hipError_tT0_T1_T2_jT3_P12ihipStream_tbPNSt15iterator_traitsISN_E10value_typeEPNST_ISO_E10value_typeEPSP_NS1_7vsmem_tEENKUlT_SN_SO_SP_E_clIPjSG_PS9_SI_EESM_S12_SN_SO_SP_EUlS12_E_NS1_11comp_targetILNS1_3genE0ELNS1_11target_archE4294967295ELNS1_3gpuE0ELNS1_3repE0EEENS1_48merge_mergepath_partition_config_static_selectorELNS0_4arch9wavefront6targetE0EEEvSO_
; %bb.0:
	s_load_b32 s2, s[0:1], 0x0
	s_bfe_u32 s3, ttmp6, 0x4000c
	s_and_b32 s4, ttmp6, 15
	s_add_co_i32 s3, s3, 1
	s_getreg_b32 s5, hwreg(HW_REG_IB_STS2, 6, 4)
	s_mul_i32 s3, ttmp9, s3
	s_delay_alu instid0(SALU_CYCLE_1) | instskip(SKIP_2) | instid1(SALU_CYCLE_1)
	s_add_co_i32 s4, s4, s3
	s_cmp_eq_u32 s5, 0
	s_cselect_b32 s3, ttmp9, s4
	v_lshl_or_b32 v8, s3, 7, v0
	s_wait_kmcnt 0x0
	s_delay_alu instid0(VALU_DEP_1)
	v_cmp_gt_u32_e32 vcc_lo, s2, v8
	s_and_saveexec_b32 s2, vcc_lo
	s_cbranch_execz .LBB25_6
; %bb.1:
	s_load_b64 s[2:3], s[0:1], 0x4
	s_wait_kmcnt 0x0
	s_lshr_b32 s4, s2, 9
	s_delay_alu instid0(SALU_CYCLE_1) | instskip(NEXT) | instid1(SALU_CYCLE_1)
	s_and_b32 s4, s4, 0x7ffffe
	s_sub_co_i32 s5, 0, s4
	s_add_co_i32 s4, s4, -1
	s_delay_alu instid0(SALU_CYCLE_1) | instskip(SKIP_2) | instid1(VALU_DEP_1)
	v_and_b32_e32 v1, s4, v8
	v_and_b32_e32 v0, s5, v8
	s_mov_b32 s4, exec_lo
	v_dual_lshlrev_b32 v1, 10, v1 :: v_dual_lshlrev_b32 v0, 10, v0
	s_delay_alu instid0(VALU_DEP_1) | instskip(SKIP_1) | instid1(VALU_DEP_2)
	v_add_min_u32_e64 v2, v0, s2, s3
	v_min_u32_e32 v0, s3, v0
	v_add_min_u32_e64 v3, v2, s2, s3
	s_load_b64 s[2:3], s[0:1], 0x20
	s_delay_alu instid0(VALU_DEP_1) | instskip(NEXT) | instid1(VALU_DEP_1)
	v_dual_sub_nc_u32 v4, v3, v0 :: v_dual_sub_nc_u32 v3, v3, v2
	v_min_u32_e32 v10, v4, v1
	v_sub_nc_u32_e32 v1, v2, v0
	s_delay_alu instid0(VALU_DEP_2) | instskip(NEXT) | instid1(VALU_DEP_2)
	v_sub_nc_u32_e64 v9, v10, v3 clamp
	v_min_u32_e32 v11, v10, v1
	s_delay_alu instid0(VALU_DEP_1)
	v_cmpx_lt_u32_e64 v9, v11
	s_cbranch_execz .LBB25_5
; %bb.2:
	s_wait_xcnt 0x0
	s_load_b64 s[0:1], s[0:1], 0x10
	v_mov_b32_e32 v3, 0
	s_delay_alu instid0(VALU_DEP_1) | instskip(SKIP_1) | instid1(VALU_DEP_1)
	v_mov_b32_e32 v1, v3
	s_wait_kmcnt 0x0
	v_lshl_add_u64 v[4:5], v[0:1], 2, s[0:1]
	v_lshl_add_u64 v[6:7], v[2:3], 2, s[0:1]
	s_mov_b32 s0, 0
.LBB25_3:                               ; =>This Inner Loop Header: Depth=1
	v_add_nc_u32_e32 v1, v11, v9
	s_delay_alu instid0(VALU_DEP_1) | instskip(NEXT) | instid1(VALU_DEP_1)
	v_dual_mov_b32 v13, v3 :: v_dual_lshrrev_b32 v2, 1, v1
	v_xad_u32 v12, v2, -1, v10
	v_lshl_add_u64 v[14:15], v[2:3], 2, v[4:5]
	s_delay_alu instid0(VALU_DEP_2)
	v_lshl_add_u64 v[12:13], v[12:13], 2, v[6:7]
	s_clause 0x1
	global_load_b32 v1, v[14:15], off
	global_load_b32 v16, v[12:13], off
	s_wait_xcnt 0x0
	v_add_nc_u32_e32 v12, 1, v2
	s_wait_loadcnt 0x0
	v_cmp_gt_u32_e32 vcc_lo, v1, v16
	s_delay_alu instid0(VALU_DEP_2) | instskip(NEXT) | instid1(VALU_DEP_1)
	v_dual_cndmask_b32 v11, v11, v2, vcc_lo :: v_dual_cndmask_b32 v9, v12, v9, vcc_lo
	v_cmp_ge_u32_e32 vcc_lo, v9, v11
	s_or_b32 s0, vcc_lo, s0
	s_delay_alu instid0(SALU_CYCLE_1)
	s_and_not1_b32 exec_lo, exec_lo, s0
	s_cbranch_execnz .LBB25_3
; %bb.4:
	s_or_b32 exec_lo, exec_lo, s0
.LBB25_5:
	s_delay_alu instid0(SALU_CYCLE_1)
	s_or_b32 exec_lo, exec_lo, s4
	v_add_nc_u32_e32 v0, v9, v0
	s_wait_kmcnt 0x0
	global_store_b32 v8, v0, s[2:3] scale_offset
.LBB25_6:
	s_endpgm
	.section	.rodata,"a",@progbits
	.p2align	6, 0x0
	.amdhsa_kernel _ZN7rocprim17ROCPRIM_400000_NS6detail17trampoline_kernelINS0_14default_configENS1_38merge_sort_block_merge_config_selectorIjN6thrust23THRUST_200600_302600_NS5tupleIffNS6_9null_typeES8_S8_S8_S8_S8_S8_S8_EEEEZZNS1_27merge_sort_block_merge_implIS3_NS6_6detail15normal_iteratorINS6_10device_ptrIjEEEENSD_INSE_IS9_EEEEjNS1_19radix_merge_compareILb0ELb0EjNS0_19identity_decomposerEEEEE10hipError_tT0_T1_T2_jT3_P12ihipStream_tbPNSt15iterator_traitsISN_E10value_typeEPNST_ISO_E10value_typeEPSP_NS1_7vsmem_tEENKUlT_SN_SO_SP_E_clIPjSG_PS9_SI_EESM_S12_SN_SO_SP_EUlS12_E_NS1_11comp_targetILNS1_3genE0ELNS1_11target_archE4294967295ELNS1_3gpuE0ELNS1_3repE0EEENS1_48merge_mergepath_partition_config_static_selectorELNS0_4arch9wavefront6targetE0EEEvSO_
		.amdhsa_group_segment_fixed_size 0
		.amdhsa_private_segment_fixed_size 0
		.amdhsa_kernarg_size 40
		.amdhsa_user_sgpr_count 2
		.amdhsa_user_sgpr_dispatch_ptr 0
		.amdhsa_user_sgpr_queue_ptr 0
		.amdhsa_user_sgpr_kernarg_segment_ptr 1
		.amdhsa_user_sgpr_dispatch_id 0
		.amdhsa_user_sgpr_kernarg_preload_length 0
		.amdhsa_user_sgpr_kernarg_preload_offset 0
		.amdhsa_user_sgpr_private_segment_size 0
		.amdhsa_wavefront_size32 1
		.amdhsa_uses_dynamic_stack 0
		.amdhsa_enable_private_segment 0
		.amdhsa_system_sgpr_workgroup_id_x 1
		.amdhsa_system_sgpr_workgroup_id_y 0
		.amdhsa_system_sgpr_workgroup_id_z 0
		.amdhsa_system_sgpr_workgroup_info 0
		.amdhsa_system_vgpr_workitem_id 0
		.amdhsa_next_free_vgpr 17
		.amdhsa_next_free_sgpr 6
		.amdhsa_named_barrier_count 0
		.amdhsa_reserve_vcc 1
		.amdhsa_float_round_mode_32 0
		.amdhsa_float_round_mode_16_64 0
		.amdhsa_float_denorm_mode_32 3
		.amdhsa_float_denorm_mode_16_64 3
		.amdhsa_fp16_overflow 0
		.amdhsa_memory_ordered 1
		.amdhsa_forward_progress 1
		.amdhsa_inst_pref_size 4
		.amdhsa_round_robin_scheduling 0
		.amdhsa_exception_fp_ieee_invalid_op 0
		.amdhsa_exception_fp_denorm_src 0
		.amdhsa_exception_fp_ieee_div_zero 0
		.amdhsa_exception_fp_ieee_overflow 0
		.amdhsa_exception_fp_ieee_underflow 0
		.amdhsa_exception_fp_ieee_inexact 0
		.amdhsa_exception_int_div_zero 0
	.end_amdhsa_kernel
	.section	.text._ZN7rocprim17ROCPRIM_400000_NS6detail17trampoline_kernelINS0_14default_configENS1_38merge_sort_block_merge_config_selectorIjN6thrust23THRUST_200600_302600_NS5tupleIffNS6_9null_typeES8_S8_S8_S8_S8_S8_S8_EEEEZZNS1_27merge_sort_block_merge_implIS3_NS6_6detail15normal_iteratorINS6_10device_ptrIjEEEENSD_INSE_IS9_EEEEjNS1_19radix_merge_compareILb0ELb0EjNS0_19identity_decomposerEEEEE10hipError_tT0_T1_T2_jT3_P12ihipStream_tbPNSt15iterator_traitsISN_E10value_typeEPNST_ISO_E10value_typeEPSP_NS1_7vsmem_tEENKUlT_SN_SO_SP_E_clIPjSG_PS9_SI_EESM_S12_SN_SO_SP_EUlS12_E_NS1_11comp_targetILNS1_3genE0ELNS1_11target_archE4294967295ELNS1_3gpuE0ELNS1_3repE0EEENS1_48merge_mergepath_partition_config_static_selectorELNS0_4arch9wavefront6targetE0EEEvSO_,"axG",@progbits,_ZN7rocprim17ROCPRIM_400000_NS6detail17trampoline_kernelINS0_14default_configENS1_38merge_sort_block_merge_config_selectorIjN6thrust23THRUST_200600_302600_NS5tupleIffNS6_9null_typeES8_S8_S8_S8_S8_S8_S8_EEEEZZNS1_27merge_sort_block_merge_implIS3_NS6_6detail15normal_iteratorINS6_10device_ptrIjEEEENSD_INSE_IS9_EEEEjNS1_19radix_merge_compareILb0ELb0EjNS0_19identity_decomposerEEEEE10hipError_tT0_T1_T2_jT3_P12ihipStream_tbPNSt15iterator_traitsISN_E10value_typeEPNST_ISO_E10value_typeEPSP_NS1_7vsmem_tEENKUlT_SN_SO_SP_E_clIPjSG_PS9_SI_EESM_S12_SN_SO_SP_EUlS12_E_NS1_11comp_targetILNS1_3genE0ELNS1_11target_archE4294967295ELNS1_3gpuE0ELNS1_3repE0EEENS1_48merge_mergepath_partition_config_static_selectorELNS0_4arch9wavefront6targetE0EEEvSO_,comdat
.Lfunc_end25:
	.size	_ZN7rocprim17ROCPRIM_400000_NS6detail17trampoline_kernelINS0_14default_configENS1_38merge_sort_block_merge_config_selectorIjN6thrust23THRUST_200600_302600_NS5tupleIffNS6_9null_typeES8_S8_S8_S8_S8_S8_S8_EEEEZZNS1_27merge_sort_block_merge_implIS3_NS6_6detail15normal_iteratorINS6_10device_ptrIjEEEENSD_INSE_IS9_EEEEjNS1_19radix_merge_compareILb0ELb0EjNS0_19identity_decomposerEEEEE10hipError_tT0_T1_T2_jT3_P12ihipStream_tbPNSt15iterator_traitsISN_E10value_typeEPNST_ISO_E10value_typeEPSP_NS1_7vsmem_tEENKUlT_SN_SO_SP_E_clIPjSG_PS9_SI_EESM_S12_SN_SO_SP_EUlS12_E_NS1_11comp_targetILNS1_3genE0ELNS1_11target_archE4294967295ELNS1_3gpuE0ELNS1_3repE0EEENS1_48merge_mergepath_partition_config_static_selectorELNS0_4arch9wavefront6targetE0EEEvSO_, .Lfunc_end25-_ZN7rocprim17ROCPRIM_400000_NS6detail17trampoline_kernelINS0_14default_configENS1_38merge_sort_block_merge_config_selectorIjN6thrust23THRUST_200600_302600_NS5tupleIffNS6_9null_typeES8_S8_S8_S8_S8_S8_S8_EEEEZZNS1_27merge_sort_block_merge_implIS3_NS6_6detail15normal_iteratorINS6_10device_ptrIjEEEENSD_INSE_IS9_EEEEjNS1_19radix_merge_compareILb0ELb0EjNS0_19identity_decomposerEEEEE10hipError_tT0_T1_T2_jT3_P12ihipStream_tbPNSt15iterator_traitsISN_E10value_typeEPNST_ISO_E10value_typeEPSP_NS1_7vsmem_tEENKUlT_SN_SO_SP_E_clIPjSG_PS9_SI_EESM_S12_SN_SO_SP_EUlS12_E_NS1_11comp_targetILNS1_3genE0ELNS1_11target_archE4294967295ELNS1_3gpuE0ELNS1_3repE0EEENS1_48merge_mergepath_partition_config_static_selectorELNS0_4arch9wavefront6targetE0EEEvSO_
                                        ; -- End function
	.set _ZN7rocprim17ROCPRIM_400000_NS6detail17trampoline_kernelINS0_14default_configENS1_38merge_sort_block_merge_config_selectorIjN6thrust23THRUST_200600_302600_NS5tupleIffNS6_9null_typeES8_S8_S8_S8_S8_S8_S8_EEEEZZNS1_27merge_sort_block_merge_implIS3_NS6_6detail15normal_iteratorINS6_10device_ptrIjEEEENSD_INSE_IS9_EEEEjNS1_19radix_merge_compareILb0ELb0EjNS0_19identity_decomposerEEEEE10hipError_tT0_T1_T2_jT3_P12ihipStream_tbPNSt15iterator_traitsISN_E10value_typeEPNST_ISO_E10value_typeEPSP_NS1_7vsmem_tEENKUlT_SN_SO_SP_E_clIPjSG_PS9_SI_EESM_S12_SN_SO_SP_EUlS12_E_NS1_11comp_targetILNS1_3genE0ELNS1_11target_archE4294967295ELNS1_3gpuE0ELNS1_3repE0EEENS1_48merge_mergepath_partition_config_static_selectorELNS0_4arch9wavefront6targetE0EEEvSO_.num_vgpr, 17
	.set _ZN7rocprim17ROCPRIM_400000_NS6detail17trampoline_kernelINS0_14default_configENS1_38merge_sort_block_merge_config_selectorIjN6thrust23THRUST_200600_302600_NS5tupleIffNS6_9null_typeES8_S8_S8_S8_S8_S8_S8_EEEEZZNS1_27merge_sort_block_merge_implIS3_NS6_6detail15normal_iteratorINS6_10device_ptrIjEEEENSD_INSE_IS9_EEEEjNS1_19radix_merge_compareILb0ELb0EjNS0_19identity_decomposerEEEEE10hipError_tT0_T1_T2_jT3_P12ihipStream_tbPNSt15iterator_traitsISN_E10value_typeEPNST_ISO_E10value_typeEPSP_NS1_7vsmem_tEENKUlT_SN_SO_SP_E_clIPjSG_PS9_SI_EESM_S12_SN_SO_SP_EUlS12_E_NS1_11comp_targetILNS1_3genE0ELNS1_11target_archE4294967295ELNS1_3gpuE0ELNS1_3repE0EEENS1_48merge_mergepath_partition_config_static_selectorELNS0_4arch9wavefront6targetE0EEEvSO_.num_agpr, 0
	.set _ZN7rocprim17ROCPRIM_400000_NS6detail17trampoline_kernelINS0_14default_configENS1_38merge_sort_block_merge_config_selectorIjN6thrust23THRUST_200600_302600_NS5tupleIffNS6_9null_typeES8_S8_S8_S8_S8_S8_S8_EEEEZZNS1_27merge_sort_block_merge_implIS3_NS6_6detail15normal_iteratorINS6_10device_ptrIjEEEENSD_INSE_IS9_EEEEjNS1_19radix_merge_compareILb0ELb0EjNS0_19identity_decomposerEEEEE10hipError_tT0_T1_T2_jT3_P12ihipStream_tbPNSt15iterator_traitsISN_E10value_typeEPNST_ISO_E10value_typeEPSP_NS1_7vsmem_tEENKUlT_SN_SO_SP_E_clIPjSG_PS9_SI_EESM_S12_SN_SO_SP_EUlS12_E_NS1_11comp_targetILNS1_3genE0ELNS1_11target_archE4294967295ELNS1_3gpuE0ELNS1_3repE0EEENS1_48merge_mergepath_partition_config_static_selectorELNS0_4arch9wavefront6targetE0EEEvSO_.numbered_sgpr, 6
	.set _ZN7rocprim17ROCPRIM_400000_NS6detail17trampoline_kernelINS0_14default_configENS1_38merge_sort_block_merge_config_selectorIjN6thrust23THRUST_200600_302600_NS5tupleIffNS6_9null_typeES8_S8_S8_S8_S8_S8_S8_EEEEZZNS1_27merge_sort_block_merge_implIS3_NS6_6detail15normal_iteratorINS6_10device_ptrIjEEEENSD_INSE_IS9_EEEEjNS1_19radix_merge_compareILb0ELb0EjNS0_19identity_decomposerEEEEE10hipError_tT0_T1_T2_jT3_P12ihipStream_tbPNSt15iterator_traitsISN_E10value_typeEPNST_ISO_E10value_typeEPSP_NS1_7vsmem_tEENKUlT_SN_SO_SP_E_clIPjSG_PS9_SI_EESM_S12_SN_SO_SP_EUlS12_E_NS1_11comp_targetILNS1_3genE0ELNS1_11target_archE4294967295ELNS1_3gpuE0ELNS1_3repE0EEENS1_48merge_mergepath_partition_config_static_selectorELNS0_4arch9wavefront6targetE0EEEvSO_.num_named_barrier, 0
	.set _ZN7rocprim17ROCPRIM_400000_NS6detail17trampoline_kernelINS0_14default_configENS1_38merge_sort_block_merge_config_selectorIjN6thrust23THRUST_200600_302600_NS5tupleIffNS6_9null_typeES8_S8_S8_S8_S8_S8_S8_EEEEZZNS1_27merge_sort_block_merge_implIS3_NS6_6detail15normal_iteratorINS6_10device_ptrIjEEEENSD_INSE_IS9_EEEEjNS1_19radix_merge_compareILb0ELb0EjNS0_19identity_decomposerEEEEE10hipError_tT0_T1_T2_jT3_P12ihipStream_tbPNSt15iterator_traitsISN_E10value_typeEPNST_ISO_E10value_typeEPSP_NS1_7vsmem_tEENKUlT_SN_SO_SP_E_clIPjSG_PS9_SI_EESM_S12_SN_SO_SP_EUlS12_E_NS1_11comp_targetILNS1_3genE0ELNS1_11target_archE4294967295ELNS1_3gpuE0ELNS1_3repE0EEENS1_48merge_mergepath_partition_config_static_selectorELNS0_4arch9wavefront6targetE0EEEvSO_.private_seg_size, 0
	.set _ZN7rocprim17ROCPRIM_400000_NS6detail17trampoline_kernelINS0_14default_configENS1_38merge_sort_block_merge_config_selectorIjN6thrust23THRUST_200600_302600_NS5tupleIffNS6_9null_typeES8_S8_S8_S8_S8_S8_S8_EEEEZZNS1_27merge_sort_block_merge_implIS3_NS6_6detail15normal_iteratorINS6_10device_ptrIjEEEENSD_INSE_IS9_EEEEjNS1_19radix_merge_compareILb0ELb0EjNS0_19identity_decomposerEEEEE10hipError_tT0_T1_T2_jT3_P12ihipStream_tbPNSt15iterator_traitsISN_E10value_typeEPNST_ISO_E10value_typeEPSP_NS1_7vsmem_tEENKUlT_SN_SO_SP_E_clIPjSG_PS9_SI_EESM_S12_SN_SO_SP_EUlS12_E_NS1_11comp_targetILNS1_3genE0ELNS1_11target_archE4294967295ELNS1_3gpuE0ELNS1_3repE0EEENS1_48merge_mergepath_partition_config_static_selectorELNS0_4arch9wavefront6targetE0EEEvSO_.uses_vcc, 1
	.set _ZN7rocprim17ROCPRIM_400000_NS6detail17trampoline_kernelINS0_14default_configENS1_38merge_sort_block_merge_config_selectorIjN6thrust23THRUST_200600_302600_NS5tupleIffNS6_9null_typeES8_S8_S8_S8_S8_S8_S8_EEEEZZNS1_27merge_sort_block_merge_implIS3_NS6_6detail15normal_iteratorINS6_10device_ptrIjEEEENSD_INSE_IS9_EEEEjNS1_19radix_merge_compareILb0ELb0EjNS0_19identity_decomposerEEEEE10hipError_tT0_T1_T2_jT3_P12ihipStream_tbPNSt15iterator_traitsISN_E10value_typeEPNST_ISO_E10value_typeEPSP_NS1_7vsmem_tEENKUlT_SN_SO_SP_E_clIPjSG_PS9_SI_EESM_S12_SN_SO_SP_EUlS12_E_NS1_11comp_targetILNS1_3genE0ELNS1_11target_archE4294967295ELNS1_3gpuE0ELNS1_3repE0EEENS1_48merge_mergepath_partition_config_static_selectorELNS0_4arch9wavefront6targetE0EEEvSO_.uses_flat_scratch, 0
	.set _ZN7rocprim17ROCPRIM_400000_NS6detail17trampoline_kernelINS0_14default_configENS1_38merge_sort_block_merge_config_selectorIjN6thrust23THRUST_200600_302600_NS5tupleIffNS6_9null_typeES8_S8_S8_S8_S8_S8_S8_EEEEZZNS1_27merge_sort_block_merge_implIS3_NS6_6detail15normal_iteratorINS6_10device_ptrIjEEEENSD_INSE_IS9_EEEEjNS1_19radix_merge_compareILb0ELb0EjNS0_19identity_decomposerEEEEE10hipError_tT0_T1_T2_jT3_P12ihipStream_tbPNSt15iterator_traitsISN_E10value_typeEPNST_ISO_E10value_typeEPSP_NS1_7vsmem_tEENKUlT_SN_SO_SP_E_clIPjSG_PS9_SI_EESM_S12_SN_SO_SP_EUlS12_E_NS1_11comp_targetILNS1_3genE0ELNS1_11target_archE4294967295ELNS1_3gpuE0ELNS1_3repE0EEENS1_48merge_mergepath_partition_config_static_selectorELNS0_4arch9wavefront6targetE0EEEvSO_.has_dyn_sized_stack, 0
	.set _ZN7rocprim17ROCPRIM_400000_NS6detail17trampoline_kernelINS0_14default_configENS1_38merge_sort_block_merge_config_selectorIjN6thrust23THRUST_200600_302600_NS5tupleIffNS6_9null_typeES8_S8_S8_S8_S8_S8_S8_EEEEZZNS1_27merge_sort_block_merge_implIS3_NS6_6detail15normal_iteratorINS6_10device_ptrIjEEEENSD_INSE_IS9_EEEEjNS1_19radix_merge_compareILb0ELb0EjNS0_19identity_decomposerEEEEE10hipError_tT0_T1_T2_jT3_P12ihipStream_tbPNSt15iterator_traitsISN_E10value_typeEPNST_ISO_E10value_typeEPSP_NS1_7vsmem_tEENKUlT_SN_SO_SP_E_clIPjSG_PS9_SI_EESM_S12_SN_SO_SP_EUlS12_E_NS1_11comp_targetILNS1_3genE0ELNS1_11target_archE4294967295ELNS1_3gpuE0ELNS1_3repE0EEENS1_48merge_mergepath_partition_config_static_selectorELNS0_4arch9wavefront6targetE0EEEvSO_.has_recursion, 0
	.set _ZN7rocprim17ROCPRIM_400000_NS6detail17trampoline_kernelINS0_14default_configENS1_38merge_sort_block_merge_config_selectorIjN6thrust23THRUST_200600_302600_NS5tupleIffNS6_9null_typeES8_S8_S8_S8_S8_S8_S8_EEEEZZNS1_27merge_sort_block_merge_implIS3_NS6_6detail15normal_iteratorINS6_10device_ptrIjEEEENSD_INSE_IS9_EEEEjNS1_19radix_merge_compareILb0ELb0EjNS0_19identity_decomposerEEEEE10hipError_tT0_T1_T2_jT3_P12ihipStream_tbPNSt15iterator_traitsISN_E10value_typeEPNST_ISO_E10value_typeEPSP_NS1_7vsmem_tEENKUlT_SN_SO_SP_E_clIPjSG_PS9_SI_EESM_S12_SN_SO_SP_EUlS12_E_NS1_11comp_targetILNS1_3genE0ELNS1_11target_archE4294967295ELNS1_3gpuE0ELNS1_3repE0EEENS1_48merge_mergepath_partition_config_static_selectorELNS0_4arch9wavefront6targetE0EEEvSO_.has_indirect_call, 0
	.section	.AMDGPU.csdata,"",@progbits
; Kernel info:
; codeLenInByte = 436
; TotalNumSgprs: 8
; NumVgprs: 17
; ScratchSize: 0
; MemoryBound: 0
; FloatMode: 240
; IeeeMode: 1
; LDSByteSize: 0 bytes/workgroup (compile time only)
; SGPRBlocks: 0
; VGPRBlocks: 1
; NumSGPRsForWavesPerEU: 8
; NumVGPRsForWavesPerEU: 17
; NamedBarCnt: 0
; Occupancy: 16
; WaveLimiterHint : 0
; COMPUTE_PGM_RSRC2:SCRATCH_EN: 0
; COMPUTE_PGM_RSRC2:USER_SGPR: 2
; COMPUTE_PGM_RSRC2:TRAP_HANDLER: 0
; COMPUTE_PGM_RSRC2:TGID_X_EN: 1
; COMPUTE_PGM_RSRC2:TGID_Y_EN: 0
; COMPUTE_PGM_RSRC2:TGID_Z_EN: 0
; COMPUTE_PGM_RSRC2:TIDIG_COMP_CNT: 0
	.section	.text._ZN7rocprim17ROCPRIM_400000_NS6detail17trampoline_kernelINS0_14default_configENS1_38merge_sort_block_merge_config_selectorIjN6thrust23THRUST_200600_302600_NS5tupleIffNS6_9null_typeES8_S8_S8_S8_S8_S8_S8_EEEEZZNS1_27merge_sort_block_merge_implIS3_NS6_6detail15normal_iteratorINS6_10device_ptrIjEEEENSD_INSE_IS9_EEEEjNS1_19radix_merge_compareILb0ELb0EjNS0_19identity_decomposerEEEEE10hipError_tT0_T1_T2_jT3_P12ihipStream_tbPNSt15iterator_traitsISN_E10value_typeEPNST_ISO_E10value_typeEPSP_NS1_7vsmem_tEENKUlT_SN_SO_SP_E_clIPjSG_PS9_SI_EESM_S12_SN_SO_SP_EUlS12_E_NS1_11comp_targetILNS1_3genE10ELNS1_11target_archE1201ELNS1_3gpuE5ELNS1_3repE0EEENS1_48merge_mergepath_partition_config_static_selectorELNS0_4arch9wavefront6targetE0EEEvSO_,"axG",@progbits,_ZN7rocprim17ROCPRIM_400000_NS6detail17trampoline_kernelINS0_14default_configENS1_38merge_sort_block_merge_config_selectorIjN6thrust23THRUST_200600_302600_NS5tupleIffNS6_9null_typeES8_S8_S8_S8_S8_S8_S8_EEEEZZNS1_27merge_sort_block_merge_implIS3_NS6_6detail15normal_iteratorINS6_10device_ptrIjEEEENSD_INSE_IS9_EEEEjNS1_19radix_merge_compareILb0ELb0EjNS0_19identity_decomposerEEEEE10hipError_tT0_T1_T2_jT3_P12ihipStream_tbPNSt15iterator_traitsISN_E10value_typeEPNST_ISO_E10value_typeEPSP_NS1_7vsmem_tEENKUlT_SN_SO_SP_E_clIPjSG_PS9_SI_EESM_S12_SN_SO_SP_EUlS12_E_NS1_11comp_targetILNS1_3genE10ELNS1_11target_archE1201ELNS1_3gpuE5ELNS1_3repE0EEENS1_48merge_mergepath_partition_config_static_selectorELNS0_4arch9wavefront6targetE0EEEvSO_,comdat
	.protected	_ZN7rocprim17ROCPRIM_400000_NS6detail17trampoline_kernelINS0_14default_configENS1_38merge_sort_block_merge_config_selectorIjN6thrust23THRUST_200600_302600_NS5tupleIffNS6_9null_typeES8_S8_S8_S8_S8_S8_S8_EEEEZZNS1_27merge_sort_block_merge_implIS3_NS6_6detail15normal_iteratorINS6_10device_ptrIjEEEENSD_INSE_IS9_EEEEjNS1_19radix_merge_compareILb0ELb0EjNS0_19identity_decomposerEEEEE10hipError_tT0_T1_T2_jT3_P12ihipStream_tbPNSt15iterator_traitsISN_E10value_typeEPNST_ISO_E10value_typeEPSP_NS1_7vsmem_tEENKUlT_SN_SO_SP_E_clIPjSG_PS9_SI_EESM_S12_SN_SO_SP_EUlS12_E_NS1_11comp_targetILNS1_3genE10ELNS1_11target_archE1201ELNS1_3gpuE5ELNS1_3repE0EEENS1_48merge_mergepath_partition_config_static_selectorELNS0_4arch9wavefront6targetE0EEEvSO_ ; -- Begin function _ZN7rocprim17ROCPRIM_400000_NS6detail17trampoline_kernelINS0_14default_configENS1_38merge_sort_block_merge_config_selectorIjN6thrust23THRUST_200600_302600_NS5tupleIffNS6_9null_typeES8_S8_S8_S8_S8_S8_S8_EEEEZZNS1_27merge_sort_block_merge_implIS3_NS6_6detail15normal_iteratorINS6_10device_ptrIjEEEENSD_INSE_IS9_EEEEjNS1_19radix_merge_compareILb0ELb0EjNS0_19identity_decomposerEEEEE10hipError_tT0_T1_T2_jT3_P12ihipStream_tbPNSt15iterator_traitsISN_E10value_typeEPNST_ISO_E10value_typeEPSP_NS1_7vsmem_tEENKUlT_SN_SO_SP_E_clIPjSG_PS9_SI_EESM_S12_SN_SO_SP_EUlS12_E_NS1_11comp_targetILNS1_3genE10ELNS1_11target_archE1201ELNS1_3gpuE5ELNS1_3repE0EEENS1_48merge_mergepath_partition_config_static_selectorELNS0_4arch9wavefront6targetE0EEEvSO_
	.globl	_ZN7rocprim17ROCPRIM_400000_NS6detail17trampoline_kernelINS0_14default_configENS1_38merge_sort_block_merge_config_selectorIjN6thrust23THRUST_200600_302600_NS5tupleIffNS6_9null_typeES8_S8_S8_S8_S8_S8_S8_EEEEZZNS1_27merge_sort_block_merge_implIS3_NS6_6detail15normal_iteratorINS6_10device_ptrIjEEEENSD_INSE_IS9_EEEEjNS1_19radix_merge_compareILb0ELb0EjNS0_19identity_decomposerEEEEE10hipError_tT0_T1_T2_jT3_P12ihipStream_tbPNSt15iterator_traitsISN_E10value_typeEPNST_ISO_E10value_typeEPSP_NS1_7vsmem_tEENKUlT_SN_SO_SP_E_clIPjSG_PS9_SI_EESM_S12_SN_SO_SP_EUlS12_E_NS1_11comp_targetILNS1_3genE10ELNS1_11target_archE1201ELNS1_3gpuE5ELNS1_3repE0EEENS1_48merge_mergepath_partition_config_static_selectorELNS0_4arch9wavefront6targetE0EEEvSO_
	.p2align	8
	.type	_ZN7rocprim17ROCPRIM_400000_NS6detail17trampoline_kernelINS0_14default_configENS1_38merge_sort_block_merge_config_selectorIjN6thrust23THRUST_200600_302600_NS5tupleIffNS6_9null_typeES8_S8_S8_S8_S8_S8_S8_EEEEZZNS1_27merge_sort_block_merge_implIS3_NS6_6detail15normal_iteratorINS6_10device_ptrIjEEEENSD_INSE_IS9_EEEEjNS1_19radix_merge_compareILb0ELb0EjNS0_19identity_decomposerEEEEE10hipError_tT0_T1_T2_jT3_P12ihipStream_tbPNSt15iterator_traitsISN_E10value_typeEPNST_ISO_E10value_typeEPSP_NS1_7vsmem_tEENKUlT_SN_SO_SP_E_clIPjSG_PS9_SI_EESM_S12_SN_SO_SP_EUlS12_E_NS1_11comp_targetILNS1_3genE10ELNS1_11target_archE1201ELNS1_3gpuE5ELNS1_3repE0EEENS1_48merge_mergepath_partition_config_static_selectorELNS0_4arch9wavefront6targetE0EEEvSO_,@function
_ZN7rocprim17ROCPRIM_400000_NS6detail17trampoline_kernelINS0_14default_configENS1_38merge_sort_block_merge_config_selectorIjN6thrust23THRUST_200600_302600_NS5tupleIffNS6_9null_typeES8_S8_S8_S8_S8_S8_S8_EEEEZZNS1_27merge_sort_block_merge_implIS3_NS6_6detail15normal_iteratorINS6_10device_ptrIjEEEENSD_INSE_IS9_EEEEjNS1_19radix_merge_compareILb0ELb0EjNS0_19identity_decomposerEEEEE10hipError_tT0_T1_T2_jT3_P12ihipStream_tbPNSt15iterator_traitsISN_E10value_typeEPNST_ISO_E10value_typeEPSP_NS1_7vsmem_tEENKUlT_SN_SO_SP_E_clIPjSG_PS9_SI_EESM_S12_SN_SO_SP_EUlS12_E_NS1_11comp_targetILNS1_3genE10ELNS1_11target_archE1201ELNS1_3gpuE5ELNS1_3repE0EEENS1_48merge_mergepath_partition_config_static_selectorELNS0_4arch9wavefront6targetE0EEEvSO_: ; @_ZN7rocprim17ROCPRIM_400000_NS6detail17trampoline_kernelINS0_14default_configENS1_38merge_sort_block_merge_config_selectorIjN6thrust23THRUST_200600_302600_NS5tupleIffNS6_9null_typeES8_S8_S8_S8_S8_S8_S8_EEEEZZNS1_27merge_sort_block_merge_implIS3_NS6_6detail15normal_iteratorINS6_10device_ptrIjEEEENSD_INSE_IS9_EEEEjNS1_19radix_merge_compareILb0ELb0EjNS0_19identity_decomposerEEEEE10hipError_tT0_T1_T2_jT3_P12ihipStream_tbPNSt15iterator_traitsISN_E10value_typeEPNST_ISO_E10value_typeEPSP_NS1_7vsmem_tEENKUlT_SN_SO_SP_E_clIPjSG_PS9_SI_EESM_S12_SN_SO_SP_EUlS12_E_NS1_11comp_targetILNS1_3genE10ELNS1_11target_archE1201ELNS1_3gpuE5ELNS1_3repE0EEENS1_48merge_mergepath_partition_config_static_selectorELNS0_4arch9wavefront6targetE0EEEvSO_
; %bb.0:
	.section	.rodata,"a",@progbits
	.p2align	6, 0x0
	.amdhsa_kernel _ZN7rocprim17ROCPRIM_400000_NS6detail17trampoline_kernelINS0_14default_configENS1_38merge_sort_block_merge_config_selectorIjN6thrust23THRUST_200600_302600_NS5tupleIffNS6_9null_typeES8_S8_S8_S8_S8_S8_S8_EEEEZZNS1_27merge_sort_block_merge_implIS3_NS6_6detail15normal_iteratorINS6_10device_ptrIjEEEENSD_INSE_IS9_EEEEjNS1_19radix_merge_compareILb0ELb0EjNS0_19identity_decomposerEEEEE10hipError_tT0_T1_T2_jT3_P12ihipStream_tbPNSt15iterator_traitsISN_E10value_typeEPNST_ISO_E10value_typeEPSP_NS1_7vsmem_tEENKUlT_SN_SO_SP_E_clIPjSG_PS9_SI_EESM_S12_SN_SO_SP_EUlS12_E_NS1_11comp_targetILNS1_3genE10ELNS1_11target_archE1201ELNS1_3gpuE5ELNS1_3repE0EEENS1_48merge_mergepath_partition_config_static_selectorELNS0_4arch9wavefront6targetE0EEEvSO_
		.amdhsa_group_segment_fixed_size 0
		.amdhsa_private_segment_fixed_size 0
		.amdhsa_kernarg_size 40
		.amdhsa_user_sgpr_count 2
		.amdhsa_user_sgpr_dispatch_ptr 0
		.amdhsa_user_sgpr_queue_ptr 0
		.amdhsa_user_sgpr_kernarg_segment_ptr 1
		.amdhsa_user_sgpr_dispatch_id 0
		.amdhsa_user_sgpr_kernarg_preload_length 0
		.amdhsa_user_sgpr_kernarg_preload_offset 0
		.amdhsa_user_sgpr_private_segment_size 0
		.amdhsa_wavefront_size32 1
		.amdhsa_uses_dynamic_stack 0
		.amdhsa_enable_private_segment 0
		.amdhsa_system_sgpr_workgroup_id_x 1
		.amdhsa_system_sgpr_workgroup_id_y 0
		.amdhsa_system_sgpr_workgroup_id_z 0
		.amdhsa_system_sgpr_workgroup_info 0
		.amdhsa_system_vgpr_workitem_id 0
		.amdhsa_next_free_vgpr 1
		.amdhsa_next_free_sgpr 1
		.amdhsa_named_barrier_count 0
		.amdhsa_reserve_vcc 0
		.amdhsa_float_round_mode_32 0
		.amdhsa_float_round_mode_16_64 0
		.amdhsa_float_denorm_mode_32 3
		.amdhsa_float_denorm_mode_16_64 3
		.amdhsa_fp16_overflow 0
		.amdhsa_memory_ordered 1
		.amdhsa_forward_progress 1
		.amdhsa_inst_pref_size 0
		.amdhsa_round_robin_scheduling 0
		.amdhsa_exception_fp_ieee_invalid_op 0
		.amdhsa_exception_fp_denorm_src 0
		.amdhsa_exception_fp_ieee_div_zero 0
		.amdhsa_exception_fp_ieee_overflow 0
		.amdhsa_exception_fp_ieee_underflow 0
		.amdhsa_exception_fp_ieee_inexact 0
		.amdhsa_exception_int_div_zero 0
	.end_amdhsa_kernel
	.section	.text._ZN7rocprim17ROCPRIM_400000_NS6detail17trampoline_kernelINS0_14default_configENS1_38merge_sort_block_merge_config_selectorIjN6thrust23THRUST_200600_302600_NS5tupleIffNS6_9null_typeES8_S8_S8_S8_S8_S8_S8_EEEEZZNS1_27merge_sort_block_merge_implIS3_NS6_6detail15normal_iteratorINS6_10device_ptrIjEEEENSD_INSE_IS9_EEEEjNS1_19radix_merge_compareILb0ELb0EjNS0_19identity_decomposerEEEEE10hipError_tT0_T1_T2_jT3_P12ihipStream_tbPNSt15iterator_traitsISN_E10value_typeEPNST_ISO_E10value_typeEPSP_NS1_7vsmem_tEENKUlT_SN_SO_SP_E_clIPjSG_PS9_SI_EESM_S12_SN_SO_SP_EUlS12_E_NS1_11comp_targetILNS1_3genE10ELNS1_11target_archE1201ELNS1_3gpuE5ELNS1_3repE0EEENS1_48merge_mergepath_partition_config_static_selectorELNS0_4arch9wavefront6targetE0EEEvSO_,"axG",@progbits,_ZN7rocprim17ROCPRIM_400000_NS6detail17trampoline_kernelINS0_14default_configENS1_38merge_sort_block_merge_config_selectorIjN6thrust23THRUST_200600_302600_NS5tupleIffNS6_9null_typeES8_S8_S8_S8_S8_S8_S8_EEEEZZNS1_27merge_sort_block_merge_implIS3_NS6_6detail15normal_iteratorINS6_10device_ptrIjEEEENSD_INSE_IS9_EEEEjNS1_19radix_merge_compareILb0ELb0EjNS0_19identity_decomposerEEEEE10hipError_tT0_T1_T2_jT3_P12ihipStream_tbPNSt15iterator_traitsISN_E10value_typeEPNST_ISO_E10value_typeEPSP_NS1_7vsmem_tEENKUlT_SN_SO_SP_E_clIPjSG_PS9_SI_EESM_S12_SN_SO_SP_EUlS12_E_NS1_11comp_targetILNS1_3genE10ELNS1_11target_archE1201ELNS1_3gpuE5ELNS1_3repE0EEENS1_48merge_mergepath_partition_config_static_selectorELNS0_4arch9wavefront6targetE0EEEvSO_,comdat
.Lfunc_end26:
	.size	_ZN7rocprim17ROCPRIM_400000_NS6detail17trampoline_kernelINS0_14default_configENS1_38merge_sort_block_merge_config_selectorIjN6thrust23THRUST_200600_302600_NS5tupleIffNS6_9null_typeES8_S8_S8_S8_S8_S8_S8_EEEEZZNS1_27merge_sort_block_merge_implIS3_NS6_6detail15normal_iteratorINS6_10device_ptrIjEEEENSD_INSE_IS9_EEEEjNS1_19radix_merge_compareILb0ELb0EjNS0_19identity_decomposerEEEEE10hipError_tT0_T1_T2_jT3_P12ihipStream_tbPNSt15iterator_traitsISN_E10value_typeEPNST_ISO_E10value_typeEPSP_NS1_7vsmem_tEENKUlT_SN_SO_SP_E_clIPjSG_PS9_SI_EESM_S12_SN_SO_SP_EUlS12_E_NS1_11comp_targetILNS1_3genE10ELNS1_11target_archE1201ELNS1_3gpuE5ELNS1_3repE0EEENS1_48merge_mergepath_partition_config_static_selectorELNS0_4arch9wavefront6targetE0EEEvSO_, .Lfunc_end26-_ZN7rocprim17ROCPRIM_400000_NS6detail17trampoline_kernelINS0_14default_configENS1_38merge_sort_block_merge_config_selectorIjN6thrust23THRUST_200600_302600_NS5tupleIffNS6_9null_typeES8_S8_S8_S8_S8_S8_S8_EEEEZZNS1_27merge_sort_block_merge_implIS3_NS6_6detail15normal_iteratorINS6_10device_ptrIjEEEENSD_INSE_IS9_EEEEjNS1_19radix_merge_compareILb0ELb0EjNS0_19identity_decomposerEEEEE10hipError_tT0_T1_T2_jT3_P12ihipStream_tbPNSt15iterator_traitsISN_E10value_typeEPNST_ISO_E10value_typeEPSP_NS1_7vsmem_tEENKUlT_SN_SO_SP_E_clIPjSG_PS9_SI_EESM_S12_SN_SO_SP_EUlS12_E_NS1_11comp_targetILNS1_3genE10ELNS1_11target_archE1201ELNS1_3gpuE5ELNS1_3repE0EEENS1_48merge_mergepath_partition_config_static_selectorELNS0_4arch9wavefront6targetE0EEEvSO_
                                        ; -- End function
	.set _ZN7rocprim17ROCPRIM_400000_NS6detail17trampoline_kernelINS0_14default_configENS1_38merge_sort_block_merge_config_selectorIjN6thrust23THRUST_200600_302600_NS5tupleIffNS6_9null_typeES8_S8_S8_S8_S8_S8_S8_EEEEZZNS1_27merge_sort_block_merge_implIS3_NS6_6detail15normal_iteratorINS6_10device_ptrIjEEEENSD_INSE_IS9_EEEEjNS1_19radix_merge_compareILb0ELb0EjNS0_19identity_decomposerEEEEE10hipError_tT0_T1_T2_jT3_P12ihipStream_tbPNSt15iterator_traitsISN_E10value_typeEPNST_ISO_E10value_typeEPSP_NS1_7vsmem_tEENKUlT_SN_SO_SP_E_clIPjSG_PS9_SI_EESM_S12_SN_SO_SP_EUlS12_E_NS1_11comp_targetILNS1_3genE10ELNS1_11target_archE1201ELNS1_3gpuE5ELNS1_3repE0EEENS1_48merge_mergepath_partition_config_static_selectorELNS0_4arch9wavefront6targetE0EEEvSO_.num_vgpr, 0
	.set _ZN7rocprim17ROCPRIM_400000_NS6detail17trampoline_kernelINS0_14default_configENS1_38merge_sort_block_merge_config_selectorIjN6thrust23THRUST_200600_302600_NS5tupleIffNS6_9null_typeES8_S8_S8_S8_S8_S8_S8_EEEEZZNS1_27merge_sort_block_merge_implIS3_NS6_6detail15normal_iteratorINS6_10device_ptrIjEEEENSD_INSE_IS9_EEEEjNS1_19radix_merge_compareILb0ELb0EjNS0_19identity_decomposerEEEEE10hipError_tT0_T1_T2_jT3_P12ihipStream_tbPNSt15iterator_traitsISN_E10value_typeEPNST_ISO_E10value_typeEPSP_NS1_7vsmem_tEENKUlT_SN_SO_SP_E_clIPjSG_PS9_SI_EESM_S12_SN_SO_SP_EUlS12_E_NS1_11comp_targetILNS1_3genE10ELNS1_11target_archE1201ELNS1_3gpuE5ELNS1_3repE0EEENS1_48merge_mergepath_partition_config_static_selectorELNS0_4arch9wavefront6targetE0EEEvSO_.num_agpr, 0
	.set _ZN7rocprim17ROCPRIM_400000_NS6detail17trampoline_kernelINS0_14default_configENS1_38merge_sort_block_merge_config_selectorIjN6thrust23THRUST_200600_302600_NS5tupleIffNS6_9null_typeES8_S8_S8_S8_S8_S8_S8_EEEEZZNS1_27merge_sort_block_merge_implIS3_NS6_6detail15normal_iteratorINS6_10device_ptrIjEEEENSD_INSE_IS9_EEEEjNS1_19radix_merge_compareILb0ELb0EjNS0_19identity_decomposerEEEEE10hipError_tT0_T1_T2_jT3_P12ihipStream_tbPNSt15iterator_traitsISN_E10value_typeEPNST_ISO_E10value_typeEPSP_NS1_7vsmem_tEENKUlT_SN_SO_SP_E_clIPjSG_PS9_SI_EESM_S12_SN_SO_SP_EUlS12_E_NS1_11comp_targetILNS1_3genE10ELNS1_11target_archE1201ELNS1_3gpuE5ELNS1_3repE0EEENS1_48merge_mergepath_partition_config_static_selectorELNS0_4arch9wavefront6targetE0EEEvSO_.numbered_sgpr, 0
	.set _ZN7rocprim17ROCPRIM_400000_NS6detail17trampoline_kernelINS0_14default_configENS1_38merge_sort_block_merge_config_selectorIjN6thrust23THRUST_200600_302600_NS5tupleIffNS6_9null_typeES8_S8_S8_S8_S8_S8_S8_EEEEZZNS1_27merge_sort_block_merge_implIS3_NS6_6detail15normal_iteratorINS6_10device_ptrIjEEEENSD_INSE_IS9_EEEEjNS1_19radix_merge_compareILb0ELb0EjNS0_19identity_decomposerEEEEE10hipError_tT0_T1_T2_jT3_P12ihipStream_tbPNSt15iterator_traitsISN_E10value_typeEPNST_ISO_E10value_typeEPSP_NS1_7vsmem_tEENKUlT_SN_SO_SP_E_clIPjSG_PS9_SI_EESM_S12_SN_SO_SP_EUlS12_E_NS1_11comp_targetILNS1_3genE10ELNS1_11target_archE1201ELNS1_3gpuE5ELNS1_3repE0EEENS1_48merge_mergepath_partition_config_static_selectorELNS0_4arch9wavefront6targetE0EEEvSO_.num_named_barrier, 0
	.set _ZN7rocprim17ROCPRIM_400000_NS6detail17trampoline_kernelINS0_14default_configENS1_38merge_sort_block_merge_config_selectorIjN6thrust23THRUST_200600_302600_NS5tupleIffNS6_9null_typeES8_S8_S8_S8_S8_S8_S8_EEEEZZNS1_27merge_sort_block_merge_implIS3_NS6_6detail15normal_iteratorINS6_10device_ptrIjEEEENSD_INSE_IS9_EEEEjNS1_19radix_merge_compareILb0ELb0EjNS0_19identity_decomposerEEEEE10hipError_tT0_T1_T2_jT3_P12ihipStream_tbPNSt15iterator_traitsISN_E10value_typeEPNST_ISO_E10value_typeEPSP_NS1_7vsmem_tEENKUlT_SN_SO_SP_E_clIPjSG_PS9_SI_EESM_S12_SN_SO_SP_EUlS12_E_NS1_11comp_targetILNS1_3genE10ELNS1_11target_archE1201ELNS1_3gpuE5ELNS1_3repE0EEENS1_48merge_mergepath_partition_config_static_selectorELNS0_4arch9wavefront6targetE0EEEvSO_.private_seg_size, 0
	.set _ZN7rocprim17ROCPRIM_400000_NS6detail17trampoline_kernelINS0_14default_configENS1_38merge_sort_block_merge_config_selectorIjN6thrust23THRUST_200600_302600_NS5tupleIffNS6_9null_typeES8_S8_S8_S8_S8_S8_S8_EEEEZZNS1_27merge_sort_block_merge_implIS3_NS6_6detail15normal_iteratorINS6_10device_ptrIjEEEENSD_INSE_IS9_EEEEjNS1_19radix_merge_compareILb0ELb0EjNS0_19identity_decomposerEEEEE10hipError_tT0_T1_T2_jT3_P12ihipStream_tbPNSt15iterator_traitsISN_E10value_typeEPNST_ISO_E10value_typeEPSP_NS1_7vsmem_tEENKUlT_SN_SO_SP_E_clIPjSG_PS9_SI_EESM_S12_SN_SO_SP_EUlS12_E_NS1_11comp_targetILNS1_3genE10ELNS1_11target_archE1201ELNS1_3gpuE5ELNS1_3repE0EEENS1_48merge_mergepath_partition_config_static_selectorELNS0_4arch9wavefront6targetE0EEEvSO_.uses_vcc, 0
	.set _ZN7rocprim17ROCPRIM_400000_NS6detail17trampoline_kernelINS0_14default_configENS1_38merge_sort_block_merge_config_selectorIjN6thrust23THRUST_200600_302600_NS5tupleIffNS6_9null_typeES8_S8_S8_S8_S8_S8_S8_EEEEZZNS1_27merge_sort_block_merge_implIS3_NS6_6detail15normal_iteratorINS6_10device_ptrIjEEEENSD_INSE_IS9_EEEEjNS1_19radix_merge_compareILb0ELb0EjNS0_19identity_decomposerEEEEE10hipError_tT0_T1_T2_jT3_P12ihipStream_tbPNSt15iterator_traitsISN_E10value_typeEPNST_ISO_E10value_typeEPSP_NS1_7vsmem_tEENKUlT_SN_SO_SP_E_clIPjSG_PS9_SI_EESM_S12_SN_SO_SP_EUlS12_E_NS1_11comp_targetILNS1_3genE10ELNS1_11target_archE1201ELNS1_3gpuE5ELNS1_3repE0EEENS1_48merge_mergepath_partition_config_static_selectorELNS0_4arch9wavefront6targetE0EEEvSO_.uses_flat_scratch, 0
	.set _ZN7rocprim17ROCPRIM_400000_NS6detail17trampoline_kernelINS0_14default_configENS1_38merge_sort_block_merge_config_selectorIjN6thrust23THRUST_200600_302600_NS5tupleIffNS6_9null_typeES8_S8_S8_S8_S8_S8_S8_EEEEZZNS1_27merge_sort_block_merge_implIS3_NS6_6detail15normal_iteratorINS6_10device_ptrIjEEEENSD_INSE_IS9_EEEEjNS1_19radix_merge_compareILb0ELb0EjNS0_19identity_decomposerEEEEE10hipError_tT0_T1_T2_jT3_P12ihipStream_tbPNSt15iterator_traitsISN_E10value_typeEPNST_ISO_E10value_typeEPSP_NS1_7vsmem_tEENKUlT_SN_SO_SP_E_clIPjSG_PS9_SI_EESM_S12_SN_SO_SP_EUlS12_E_NS1_11comp_targetILNS1_3genE10ELNS1_11target_archE1201ELNS1_3gpuE5ELNS1_3repE0EEENS1_48merge_mergepath_partition_config_static_selectorELNS0_4arch9wavefront6targetE0EEEvSO_.has_dyn_sized_stack, 0
	.set _ZN7rocprim17ROCPRIM_400000_NS6detail17trampoline_kernelINS0_14default_configENS1_38merge_sort_block_merge_config_selectorIjN6thrust23THRUST_200600_302600_NS5tupleIffNS6_9null_typeES8_S8_S8_S8_S8_S8_S8_EEEEZZNS1_27merge_sort_block_merge_implIS3_NS6_6detail15normal_iteratorINS6_10device_ptrIjEEEENSD_INSE_IS9_EEEEjNS1_19radix_merge_compareILb0ELb0EjNS0_19identity_decomposerEEEEE10hipError_tT0_T1_T2_jT3_P12ihipStream_tbPNSt15iterator_traitsISN_E10value_typeEPNST_ISO_E10value_typeEPSP_NS1_7vsmem_tEENKUlT_SN_SO_SP_E_clIPjSG_PS9_SI_EESM_S12_SN_SO_SP_EUlS12_E_NS1_11comp_targetILNS1_3genE10ELNS1_11target_archE1201ELNS1_3gpuE5ELNS1_3repE0EEENS1_48merge_mergepath_partition_config_static_selectorELNS0_4arch9wavefront6targetE0EEEvSO_.has_recursion, 0
	.set _ZN7rocprim17ROCPRIM_400000_NS6detail17trampoline_kernelINS0_14default_configENS1_38merge_sort_block_merge_config_selectorIjN6thrust23THRUST_200600_302600_NS5tupleIffNS6_9null_typeES8_S8_S8_S8_S8_S8_S8_EEEEZZNS1_27merge_sort_block_merge_implIS3_NS6_6detail15normal_iteratorINS6_10device_ptrIjEEEENSD_INSE_IS9_EEEEjNS1_19radix_merge_compareILb0ELb0EjNS0_19identity_decomposerEEEEE10hipError_tT0_T1_T2_jT3_P12ihipStream_tbPNSt15iterator_traitsISN_E10value_typeEPNST_ISO_E10value_typeEPSP_NS1_7vsmem_tEENKUlT_SN_SO_SP_E_clIPjSG_PS9_SI_EESM_S12_SN_SO_SP_EUlS12_E_NS1_11comp_targetILNS1_3genE10ELNS1_11target_archE1201ELNS1_3gpuE5ELNS1_3repE0EEENS1_48merge_mergepath_partition_config_static_selectorELNS0_4arch9wavefront6targetE0EEEvSO_.has_indirect_call, 0
	.section	.AMDGPU.csdata,"",@progbits
; Kernel info:
; codeLenInByte = 0
; TotalNumSgprs: 0
; NumVgprs: 0
; ScratchSize: 0
; MemoryBound: 0
; FloatMode: 240
; IeeeMode: 1
; LDSByteSize: 0 bytes/workgroup (compile time only)
; SGPRBlocks: 0
; VGPRBlocks: 0
; NumSGPRsForWavesPerEU: 1
; NumVGPRsForWavesPerEU: 1
; NamedBarCnt: 0
; Occupancy: 16
; WaveLimiterHint : 0
; COMPUTE_PGM_RSRC2:SCRATCH_EN: 0
; COMPUTE_PGM_RSRC2:USER_SGPR: 2
; COMPUTE_PGM_RSRC2:TRAP_HANDLER: 0
; COMPUTE_PGM_RSRC2:TGID_X_EN: 1
; COMPUTE_PGM_RSRC2:TGID_Y_EN: 0
; COMPUTE_PGM_RSRC2:TGID_Z_EN: 0
; COMPUTE_PGM_RSRC2:TIDIG_COMP_CNT: 0
	.section	.text._ZN7rocprim17ROCPRIM_400000_NS6detail17trampoline_kernelINS0_14default_configENS1_38merge_sort_block_merge_config_selectorIjN6thrust23THRUST_200600_302600_NS5tupleIffNS6_9null_typeES8_S8_S8_S8_S8_S8_S8_EEEEZZNS1_27merge_sort_block_merge_implIS3_NS6_6detail15normal_iteratorINS6_10device_ptrIjEEEENSD_INSE_IS9_EEEEjNS1_19radix_merge_compareILb0ELb0EjNS0_19identity_decomposerEEEEE10hipError_tT0_T1_T2_jT3_P12ihipStream_tbPNSt15iterator_traitsISN_E10value_typeEPNST_ISO_E10value_typeEPSP_NS1_7vsmem_tEENKUlT_SN_SO_SP_E_clIPjSG_PS9_SI_EESM_S12_SN_SO_SP_EUlS12_E_NS1_11comp_targetILNS1_3genE5ELNS1_11target_archE942ELNS1_3gpuE9ELNS1_3repE0EEENS1_48merge_mergepath_partition_config_static_selectorELNS0_4arch9wavefront6targetE0EEEvSO_,"axG",@progbits,_ZN7rocprim17ROCPRIM_400000_NS6detail17trampoline_kernelINS0_14default_configENS1_38merge_sort_block_merge_config_selectorIjN6thrust23THRUST_200600_302600_NS5tupleIffNS6_9null_typeES8_S8_S8_S8_S8_S8_S8_EEEEZZNS1_27merge_sort_block_merge_implIS3_NS6_6detail15normal_iteratorINS6_10device_ptrIjEEEENSD_INSE_IS9_EEEEjNS1_19radix_merge_compareILb0ELb0EjNS0_19identity_decomposerEEEEE10hipError_tT0_T1_T2_jT3_P12ihipStream_tbPNSt15iterator_traitsISN_E10value_typeEPNST_ISO_E10value_typeEPSP_NS1_7vsmem_tEENKUlT_SN_SO_SP_E_clIPjSG_PS9_SI_EESM_S12_SN_SO_SP_EUlS12_E_NS1_11comp_targetILNS1_3genE5ELNS1_11target_archE942ELNS1_3gpuE9ELNS1_3repE0EEENS1_48merge_mergepath_partition_config_static_selectorELNS0_4arch9wavefront6targetE0EEEvSO_,comdat
	.protected	_ZN7rocprim17ROCPRIM_400000_NS6detail17trampoline_kernelINS0_14default_configENS1_38merge_sort_block_merge_config_selectorIjN6thrust23THRUST_200600_302600_NS5tupleIffNS6_9null_typeES8_S8_S8_S8_S8_S8_S8_EEEEZZNS1_27merge_sort_block_merge_implIS3_NS6_6detail15normal_iteratorINS6_10device_ptrIjEEEENSD_INSE_IS9_EEEEjNS1_19radix_merge_compareILb0ELb0EjNS0_19identity_decomposerEEEEE10hipError_tT0_T1_T2_jT3_P12ihipStream_tbPNSt15iterator_traitsISN_E10value_typeEPNST_ISO_E10value_typeEPSP_NS1_7vsmem_tEENKUlT_SN_SO_SP_E_clIPjSG_PS9_SI_EESM_S12_SN_SO_SP_EUlS12_E_NS1_11comp_targetILNS1_3genE5ELNS1_11target_archE942ELNS1_3gpuE9ELNS1_3repE0EEENS1_48merge_mergepath_partition_config_static_selectorELNS0_4arch9wavefront6targetE0EEEvSO_ ; -- Begin function _ZN7rocprim17ROCPRIM_400000_NS6detail17trampoline_kernelINS0_14default_configENS1_38merge_sort_block_merge_config_selectorIjN6thrust23THRUST_200600_302600_NS5tupleIffNS6_9null_typeES8_S8_S8_S8_S8_S8_S8_EEEEZZNS1_27merge_sort_block_merge_implIS3_NS6_6detail15normal_iteratorINS6_10device_ptrIjEEEENSD_INSE_IS9_EEEEjNS1_19radix_merge_compareILb0ELb0EjNS0_19identity_decomposerEEEEE10hipError_tT0_T1_T2_jT3_P12ihipStream_tbPNSt15iterator_traitsISN_E10value_typeEPNST_ISO_E10value_typeEPSP_NS1_7vsmem_tEENKUlT_SN_SO_SP_E_clIPjSG_PS9_SI_EESM_S12_SN_SO_SP_EUlS12_E_NS1_11comp_targetILNS1_3genE5ELNS1_11target_archE942ELNS1_3gpuE9ELNS1_3repE0EEENS1_48merge_mergepath_partition_config_static_selectorELNS0_4arch9wavefront6targetE0EEEvSO_
	.globl	_ZN7rocprim17ROCPRIM_400000_NS6detail17trampoline_kernelINS0_14default_configENS1_38merge_sort_block_merge_config_selectorIjN6thrust23THRUST_200600_302600_NS5tupleIffNS6_9null_typeES8_S8_S8_S8_S8_S8_S8_EEEEZZNS1_27merge_sort_block_merge_implIS3_NS6_6detail15normal_iteratorINS6_10device_ptrIjEEEENSD_INSE_IS9_EEEEjNS1_19radix_merge_compareILb0ELb0EjNS0_19identity_decomposerEEEEE10hipError_tT0_T1_T2_jT3_P12ihipStream_tbPNSt15iterator_traitsISN_E10value_typeEPNST_ISO_E10value_typeEPSP_NS1_7vsmem_tEENKUlT_SN_SO_SP_E_clIPjSG_PS9_SI_EESM_S12_SN_SO_SP_EUlS12_E_NS1_11comp_targetILNS1_3genE5ELNS1_11target_archE942ELNS1_3gpuE9ELNS1_3repE0EEENS1_48merge_mergepath_partition_config_static_selectorELNS0_4arch9wavefront6targetE0EEEvSO_
	.p2align	8
	.type	_ZN7rocprim17ROCPRIM_400000_NS6detail17trampoline_kernelINS0_14default_configENS1_38merge_sort_block_merge_config_selectorIjN6thrust23THRUST_200600_302600_NS5tupleIffNS6_9null_typeES8_S8_S8_S8_S8_S8_S8_EEEEZZNS1_27merge_sort_block_merge_implIS3_NS6_6detail15normal_iteratorINS6_10device_ptrIjEEEENSD_INSE_IS9_EEEEjNS1_19radix_merge_compareILb0ELb0EjNS0_19identity_decomposerEEEEE10hipError_tT0_T1_T2_jT3_P12ihipStream_tbPNSt15iterator_traitsISN_E10value_typeEPNST_ISO_E10value_typeEPSP_NS1_7vsmem_tEENKUlT_SN_SO_SP_E_clIPjSG_PS9_SI_EESM_S12_SN_SO_SP_EUlS12_E_NS1_11comp_targetILNS1_3genE5ELNS1_11target_archE942ELNS1_3gpuE9ELNS1_3repE0EEENS1_48merge_mergepath_partition_config_static_selectorELNS0_4arch9wavefront6targetE0EEEvSO_,@function
_ZN7rocprim17ROCPRIM_400000_NS6detail17trampoline_kernelINS0_14default_configENS1_38merge_sort_block_merge_config_selectorIjN6thrust23THRUST_200600_302600_NS5tupleIffNS6_9null_typeES8_S8_S8_S8_S8_S8_S8_EEEEZZNS1_27merge_sort_block_merge_implIS3_NS6_6detail15normal_iteratorINS6_10device_ptrIjEEEENSD_INSE_IS9_EEEEjNS1_19radix_merge_compareILb0ELb0EjNS0_19identity_decomposerEEEEE10hipError_tT0_T1_T2_jT3_P12ihipStream_tbPNSt15iterator_traitsISN_E10value_typeEPNST_ISO_E10value_typeEPSP_NS1_7vsmem_tEENKUlT_SN_SO_SP_E_clIPjSG_PS9_SI_EESM_S12_SN_SO_SP_EUlS12_E_NS1_11comp_targetILNS1_3genE5ELNS1_11target_archE942ELNS1_3gpuE9ELNS1_3repE0EEENS1_48merge_mergepath_partition_config_static_selectorELNS0_4arch9wavefront6targetE0EEEvSO_: ; @_ZN7rocprim17ROCPRIM_400000_NS6detail17trampoline_kernelINS0_14default_configENS1_38merge_sort_block_merge_config_selectorIjN6thrust23THRUST_200600_302600_NS5tupleIffNS6_9null_typeES8_S8_S8_S8_S8_S8_S8_EEEEZZNS1_27merge_sort_block_merge_implIS3_NS6_6detail15normal_iteratorINS6_10device_ptrIjEEEENSD_INSE_IS9_EEEEjNS1_19radix_merge_compareILb0ELb0EjNS0_19identity_decomposerEEEEE10hipError_tT0_T1_T2_jT3_P12ihipStream_tbPNSt15iterator_traitsISN_E10value_typeEPNST_ISO_E10value_typeEPSP_NS1_7vsmem_tEENKUlT_SN_SO_SP_E_clIPjSG_PS9_SI_EESM_S12_SN_SO_SP_EUlS12_E_NS1_11comp_targetILNS1_3genE5ELNS1_11target_archE942ELNS1_3gpuE9ELNS1_3repE0EEENS1_48merge_mergepath_partition_config_static_selectorELNS0_4arch9wavefront6targetE0EEEvSO_
; %bb.0:
	.section	.rodata,"a",@progbits
	.p2align	6, 0x0
	.amdhsa_kernel _ZN7rocprim17ROCPRIM_400000_NS6detail17trampoline_kernelINS0_14default_configENS1_38merge_sort_block_merge_config_selectorIjN6thrust23THRUST_200600_302600_NS5tupleIffNS6_9null_typeES8_S8_S8_S8_S8_S8_S8_EEEEZZNS1_27merge_sort_block_merge_implIS3_NS6_6detail15normal_iteratorINS6_10device_ptrIjEEEENSD_INSE_IS9_EEEEjNS1_19radix_merge_compareILb0ELb0EjNS0_19identity_decomposerEEEEE10hipError_tT0_T1_T2_jT3_P12ihipStream_tbPNSt15iterator_traitsISN_E10value_typeEPNST_ISO_E10value_typeEPSP_NS1_7vsmem_tEENKUlT_SN_SO_SP_E_clIPjSG_PS9_SI_EESM_S12_SN_SO_SP_EUlS12_E_NS1_11comp_targetILNS1_3genE5ELNS1_11target_archE942ELNS1_3gpuE9ELNS1_3repE0EEENS1_48merge_mergepath_partition_config_static_selectorELNS0_4arch9wavefront6targetE0EEEvSO_
		.amdhsa_group_segment_fixed_size 0
		.amdhsa_private_segment_fixed_size 0
		.amdhsa_kernarg_size 40
		.amdhsa_user_sgpr_count 2
		.amdhsa_user_sgpr_dispatch_ptr 0
		.amdhsa_user_sgpr_queue_ptr 0
		.amdhsa_user_sgpr_kernarg_segment_ptr 1
		.amdhsa_user_sgpr_dispatch_id 0
		.amdhsa_user_sgpr_kernarg_preload_length 0
		.amdhsa_user_sgpr_kernarg_preload_offset 0
		.amdhsa_user_sgpr_private_segment_size 0
		.amdhsa_wavefront_size32 1
		.amdhsa_uses_dynamic_stack 0
		.amdhsa_enable_private_segment 0
		.amdhsa_system_sgpr_workgroup_id_x 1
		.amdhsa_system_sgpr_workgroup_id_y 0
		.amdhsa_system_sgpr_workgroup_id_z 0
		.amdhsa_system_sgpr_workgroup_info 0
		.amdhsa_system_vgpr_workitem_id 0
		.amdhsa_next_free_vgpr 1
		.amdhsa_next_free_sgpr 1
		.amdhsa_named_barrier_count 0
		.amdhsa_reserve_vcc 0
		.amdhsa_float_round_mode_32 0
		.amdhsa_float_round_mode_16_64 0
		.amdhsa_float_denorm_mode_32 3
		.amdhsa_float_denorm_mode_16_64 3
		.amdhsa_fp16_overflow 0
		.amdhsa_memory_ordered 1
		.amdhsa_forward_progress 1
		.amdhsa_inst_pref_size 0
		.amdhsa_round_robin_scheduling 0
		.amdhsa_exception_fp_ieee_invalid_op 0
		.amdhsa_exception_fp_denorm_src 0
		.amdhsa_exception_fp_ieee_div_zero 0
		.amdhsa_exception_fp_ieee_overflow 0
		.amdhsa_exception_fp_ieee_underflow 0
		.amdhsa_exception_fp_ieee_inexact 0
		.amdhsa_exception_int_div_zero 0
	.end_amdhsa_kernel
	.section	.text._ZN7rocprim17ROCPRIM_400000_NS6detail17trampoline_kernelINS0_14default_configENS1_38merge_sort_block_merge_config_selectorIjN6thrust23THRUST_200600_302600_NS5tupleIffNS6_9null_typeES8_S8_S8_S8_S8_S8_S8_EEEEZZNS1_27merge_sort_block_merge_implIS3_NS6_6detail15normal_iteratorINS6_10device_ptrIjEEEENSD_INSE_IS9_EEEEjNS1_19radix_merge_compareILb0ELb0EjNS0_19identity_decomposerEEEEE10hipError_tT0_T1_T2_jT3_P12ihipStream_tbPNSt15iterator_traitsISN_E10value_typeEPNST_ISO_E10value_typeEPSP_NS1_7vsmem_tEENKUlT_SN_SO_SP_E_clIPjSG_PS9_SI_EESM_S12_SN_SO_SP_EUlS12_E_NS1_11comp_targetILNS1_3genE5ELNS1_11target_archE942ELNS1_3gpuE9ELNS1_3repE0EEENS1_48merge_mergepath_partition_config_static_selectorELNS0_4arch9wavefront6targetE0EEEvSO_,"axG",@progbits,_ZN7rocprim17ROCPRIM_400000_NS6detail17trampoline_kernelINS0_14default_configENS1_38merge_sort_block_merge_config_selectorIjN6thrust23THRUST_200600_302600_NS5tupleIffNS6_9null_typeES8_S8_S8_S8_S8_S8_S8_EEEEZZNS1_27merge_sort_block_merge_implIS3_NS6_6detail15normal_iteratorINS6_10device_ptrIjEEEENSD_INSE_IS9_EEEEjNS1_19radix_merge_compareILb0ELb0EjNS0_19identity_decomposerEEEEE10hipError_tT0_T1_T2_jT3_P12ihipStream_tbPNSt15iterator_traitsISN_E10value_typeEPNST_ISO_E10value_typeEPSP_NS1_7vsmem_tEENKUlT_SN_SO_SP_E_clIPjSG_PS9_SI_EESM_S12_SN_SO_SP_EUlS12_E_NS1_11comp_targetILNS1_3genE5ELNS1_11target_archE942ELNS1_3gpuE9ELNS1_3repE0EEENS1_48merge_mergepath_partition_config_static_selectorELNS0_4arch9wavefront6targetE0EEEvSO_,comdat
.Lfunc_end27:
	.size	_ZN7rocprim17ROCPRIM_400000_NS6detail17trampoline_kernelINS0_14default_configENS1_38merge_sort_block_merge_config_selectorIjN6thrust23THRUST_200600_302600_NS5tupleIffNS6_9null_typeES8_S8_S8_S8_S8_S8_S8_EEEEZZNS1_27merge_sort_block_merge_implIS3_NS6_6detail15normal_iteratorINS6_10device_ptrIjEEEENSD_INSE_IS9_EEEEjNS1_19radix_merge_compareILb0ELb0EjNS0_19identity_decomposerEEEEE10hipError_tT0_T1_T2_jT3_P12ihipStream_tbPNSt15iterator_traitsISN_E10value_typeEPNST_ISO_E10value_typeEPSP_NS1_7vsmem_tEENKUlT_SN_SO_SP_E_clIPjSG_PS9_SI_EESM_S12_SN_SO_SP_EUlS12_E_NS1_11comp_targetILNS1_3genE5ELNS1_11target_archE942ELNS1_3gpuE9ELNS1_3repE0EEENS1_48merge_mergepath_partition_config_static_selectorELNS0_4arch9wavefront6targetE0EEEvSO_, .Lfunc_end27-_ZN7rocprim17ROCPRIM_400000_NS6detail17trampoline_kernelINS0_14default_configENS1_38merge_sort_block_merge_config_selectorIjN6thrust23THRUST_200600_302600_NS5tupleIffNS6_9null_typeES8_S8_S8_S8_S8_S8_S8_EEEEZZNS1_27merge_sort_block_merge_implIS3_NS6_6detail15normal_iteratorINS6_10device_ptrIjEEEENSD_INSE_IS9_EEEEjNS1_19radix_merge_compareILb0ELb0EjNS0_19identity_decomposerEEEEE10hipError_tT0_T1_T2_jT3_P12ihipStream_tbPNSt15iterator_traitsISN_E10value_typeEPNST_ISO_E10value_typeEPSP_NS1_7vsmem_tEENKUlT_SN_SO_SP_E_clIPjSG_PS9_SI_EESM_S12_SN_SO_SP_EUlS12_E_NS1_11comp_targetILNS1_3genE5ELNS1_11target_archE942ELNS1_3gpuE9ELNS1_3repE0EEENS1_48merge_mergepath_partition_config_static_selectorELNS0_4arch9wavefront6targetE0EEEvSO_
                                        ; -- End function
	.set _ZN7rocprim17ROCPRIM_400000_NS6detail17trampoline_kernelINS0_14default_configENS1_38merge_sort_block_merge_config_selectorIjN6thrust23THRUST_200600_302600_NS5tupleIffNS6_9null_typeES8_S8_S8_S8_S8_S8_S8_EEEEZZNS1_27merge_sort_block_merge_implIS3_NS6_6detail15normal_iteratorINS6_10device_ptrIjEEEENSD_INSE_IS9_EEEEjNS1_19radix_merge_compareILb0ELb0EjNS0_19identity_decomposerEEEEE10hipError_tT0_T1_T2_jT3_P12ihipStream_tbPNSt15iterator_traitsISN_E10value_typeEPNST_ISO_E10value_typeEPSP_NS1_7vsmem_tEENKUlT_SN_SO_SP_E_clIPjSG_PS9_SI_EESM_S12_SN_SO_SP_EUlS12_E_NS1_11comp_targetILNS1_3genE5ELNS1_11target_archE942ELNS1_3gpuE9ELNS1_3repE0EEENS1_48merge_mergepath_partition_config_static_selectorELNS0_4arch9wavefront6targetE0EEEvSO_.num_vgpr, 0
	.set _ZN7rocprim17ROCPRIM_400000_NS6detail17trampoline_kernelINS0_14default_configENS1_38merge_sort_block_merge_config_selectorIjN6thrust23THRUST_200600_302600_NS5tupleIffNS6_9null_typeES8_S8_S8_S8_S8_S8_S8_EEEEZZNS1_27merge_sort_block_merge_implIS3_NS6_6detail15normal_iteratorINS6_10device_ptrIjEEEENSD_INSE_IS9_EEEEjNS1_19radix_merge_compareILb0ELb0EjNS0_19identity_decomposerEEEEE10hipError_tT0_T1_T2_jT3_P12ihipStream_tbPNSt15iterator_traitsISN_E10value_typeEPNST_ISO_E10value_typeEPSP_NS1_7vsmem_tEENKUlT_SN_SO_SP_E_clIPjSG_PS9_SI_EESM_S12_SN_SO_SP_EUlS12_E_NS1_11comp_targetILNS1_3genE5ELNS1_11target_archE942ELNS1_3gpuE9ELNS1_3repE0EEENS1_48merge_mergepath_partition_config_static_selectorELNS0_4arch9wavefront6targetE0EEEvSO_.num_agpr, 0
	.set _ZN7rocprim17ROCPRIM_400000_NS6detail17trampoline_kernelINS0_14default_configENS1_38merge_sort_block_merge_config_selectorIjN6thrust23THRUST_200600_302600_NS5tupleIffNS6_9null_typeES8_S8_S8_S8_S8_S8_S8_EEEEZZNS1_27merge_sort_block_merge_implIS3_NS6_6detail15normal_iteratorINS6_10device_ptrIjEEEENSD_INSE_IS9_EEEEjNS1_19radix_merge_compareILb0ELb0EjNS0_19identity_decomposerEEEEE10hipError_tT0_T1_T2_jT3_P12ihipStream_tbPNSt15iterator_traitsISN_E10value_typeEPNST_ISO_E10value_typeEPSP_NS1_7vsmem_tEENKUlT_SN_SO_SP_E_clIPjSG_PS9_SI_EESM_S12_SN_SO_SP_EUlS12_E_NS1_11comp_targetILNS1_3genE5ELNS1_11target_archE942ELNS1_3gpuE9ELNS1_3repE0EEENS1_48merge_mergepath_partition_config_static_selectorELNS0_4arch9wavefront6targetE0EEEvSO_.numbered_sgpr, 0
	.set _ZN7rocprim17ROCPRIM_400000_NS6detail17trampoline_kernelINS0_14default_configENS1_38merge_sort_block_merge_config_selectorIjN6thrust23THRUST_200600_302600_NS5tupleIffNS6_9null_typeES8_S8_S8_S8_S8_S8_S8_EEEEZZNS1_27merge_sort_block_merge_implIS3_NS6_6detail15normal_iteratorINS6_10device_ptrIjEEEENSD_INSE_IS9_EEEEjNS1_19radix_merge_compareILb0ELb0EjNS0_19identity_decomposerEEEEE10hipError_tT0_T1_T2_jT3_P12ihipStream_tbPNSt15iterator_traitsISN_E10value_typeEPNST_ISO_E10value_typeEPSP_NS1_7vsmem_tEENKUlT_SN_SO_SP_E_clIPjSG_PS9_SI_EESM_S12_SN_SO_SP_EUlS12_E_NS1_11comp_targetILNS1_3genE5ELNS1_11target_archE942ELNS1_3gpuE9ELNS1_3repE0EEENS1_48merge_mergepath_partition_config_static_selectorELNS0_4arch9wavefront6targetE0EEEvSO_.num_named_barrier, 0
	.set _ZN7rocprim17ROCPRIM_400000_NS6detail17trampoline_kernelINS0_14default_configENS1_38merge_sort_block_merge_config_selectorIjN6thrust23THRUST_200600_302600_NS5tupleIffNS6_9null_typeES8_S8_S8_S8_S8_S8_S8_EEEEZZNS1_27merge_sort_block_merge_implIS3_NS6_6detail15normal_iteratorINS6_10device_ptrIjEEEENSD_INSE_IS9_EEEEjNS1_19radix_merge_compareILb0ELb0EjNS0_19identity_decomposerEEEEE10hipError_tT0_T1_T2_jT3_P12ihipStream_tbPNSt15iterator_traitsISN_E10value_typeEPNST_ISO_E10value_typeEPSP_NS1_7vsmem_tEENKUlT_SN_SO_SP_E_clIPjSG_PS9_SI_EESM_S12_SN_SO_SP_EUlS12_E_NS1_11comp_targetILNS1_3genE5ELNS1_11target_archE942ELNS1_3gpuE9ELNS1_3repE0EEENS1_48merge_mergepath_partition_config_static_selectorELNS0_4arch9wavefront6targetE0EEEvSO_.private_seg_size, 0
	.set _ZN7rocprim17ROCPRIM_400000_NS6detail17trampoline_kernelINS0_14default_configENS1_38merge_sort_block_merge_config_selectorIjN6thrust23THRUST_200600_302600_NS5tupleIffNS6_9null_typeES8_S8_S8_S8_S8_S8_S8_EEEEZZNS1_27merge_sort_block_merge_implIS3_NS6_6detail15normal_iteratorINS6_10device_ptrIjEEEENSD_INSE_IS9_EEEEjNS1_19radix_merge_compareILb0ELb0EjNS0_19identity_decomposerEEEEE10hipError_tT0_T1_T2_jT3_P12ihipStream_tbPNSt15iterator_traitsISN_E10value_typeEPNST_ISO_E10value_typeEPSP_NS1_7vsmem_tEENKUlT_SN_SO_SP_E_clIPjSG_PS9_SI_EESM_S12_SN_SO_SP_EUlS12_E_NS1_11comp_targetILNS1_3genE5ELNS1_11target_archE942ELNS1_3gpuE9ELNS1_3repE0EEENS1_48merge_mergepath_partition_config_static_selectorELNS0_4arch9wavefront6targetE0EEEvSO_.uses_vcc, 0
	.set _ZN7rocprim17ROCPRIM_400000_NS6detail17trampoline_kernelINS0_14default_configENS1_38merge_sort_block_merge_config_selectorIjN6thrust23THRUST_200600_302600_NS5tupleIffNS6_9null_typeES8_S8_S8_S8_S8_S8_S8_EEEEZZNS1_27merge_sort_block_merge_implIS3_NS6_6detail15normal_iteratorINS6_10device_ptrIjEEEENSD_INSE_IS9_EEEEjNS1_19radix_merge_compareILb0ELb0EjNS0_19identity_decomposerEEEEE10hipError_tT0_T1_T2_jT3_P12ihipStream_tbPNSt15iterator_traitsISN_E10value_typeEPNST_ISO_E10value_typeEPSP_NS1_7vsmem_tEENKUlT_SN_SO_SP_E_clIPjSG_PS9_SI_EESM_S12_SN_SO_SP_EUlS12_E_NS1_11comp_targetILNS1_3genE5ELNS1_11target_archE942ELNS1_3gpuE9ELNS1_3repE0EEENS1_48merge_mergepath_partition_config_static_selectorELNS0_4arch9wavefront6targetE0EEEvSO_.uses_flat_scratch, 0
	.set _ZN7rocprim17ROCPRIM_400000_NS6detail17trampoline_kernelINS0_14default_configENS1_38merge_sort_block_merge_config_selectorIjN6thrust23THRUST_200600_302600_NS5tupleIffNS6_9null_typeES8_S8_S8_S8_S8_S8_S8_EEEEZZNS1_27merge_sort_block_merge_implIS3_NS6_6detail15normal_iteratorINS6_10device_ptrIjEEEENSD_INSE_IS9_EEEEjNS1_19radix_merge_compareILb0ELb0EjNS0_19identity_decomposerEEEEE10hipError_tT0_T1_T2_jT3_P12ihipStream_tbPNSt15iterator_traitsISN_E10value_typeEPNST_ISO_E10value_typeEPSP_NS1_7vsmem_tEENKUlT_SN_SO_SP_E_clIPjSG_PS9_SI_EESM_S12_SN_SO_SP_EUlS12_E_NS1_11comp_targetILNS1_3genE5ELNS1_11target_archE942ELNS1_3gpuE9ELNS1_3repE0EEENS1_48merge_mergepath_partition_config_static_selectorELNS0_4arch9wavefront6targetE0EEEvSO_.has_dyn_sized_stack, 0
	.set _ZN7rocprim17ROCPRIM_400000_NS6detail17trampoline_kernelINS0_14default_configENS1_38merge_sort_block_merge_config_selectorIjN6thrust23THRUST_200600_302600_NS5tupleIffNS6_9null_typeES8_S8_S8_S8_S8_S8_S8_EEEEZZNS1_27merge_sort_block_merge_implIS3_NS6_6detail15normal_iteratorINS6_10device_ptrIjEEEENSD_INSE_IS9_EEEEjNS1_19radix_merge_compareILb0ELb0EjNS0_19identity_decomposerEEEEE10hipError_tT0_T1_T2_jT3_P12ihipStream_tbPNSt15iterator_traitsISN_E10value_typeEPNST_ISO_E10value_typeEPSP_NS1_7vsmem_tEENKUlT_SN_SO_SP_E_clIPjSG_PS9_SI_EESM_S12_SN_SO_SP_EUlS12_E_NS1_11comp_targetILNS1_3genE5ELNS1_11target_archE942ELNS1_3gpuE9ELNS1_3repE0EEENS1_48merge_mergepath_partition_config_static_selectorELNS0_4arch9wavefront6targetE0EEEvSO_.has_recursion, 0
	.set _ZN7rocprim17ROCPRIM_400000_NS6detail17trampoline_kernelINS0_14default_configENS1_38merge_sort_block_merge_config_selectorIjN6thrust23THRUST_200600_302600_NS5tupleIffNS6_9null_typeES8_S8_S8_S8_S8_S8_S8_EEEEZZNS1_27merge_sort_block_merge_implIS3_NS6_6detail15normal_iteratorINS6_10device_ptrIjEEEENSD_INSE_IS9_EEEEjNS1_19radix_merge_compareILb0ELb0EjNS0_19identity_decomposerEEEEE10hipError_tT0_T1_T2_jT3_P12ihipStream_tbPNSt15iterator_traitsISN_E10value_typeEPNST_ISO_E10value_typeEPSP_NS1_7vsmem_tEENKUlT_SN_SO_SP_E_clIPjSG_PS9_SI_EESM_S12_SN_SO_SP_EUlS12_E_NS1_11comp_targetILNS1_3genE5ELNS1_11target_archE942ELNS1_3gpuE9ELNS1_3repE0EEENS1_48merge_mergepath_partition_config_static_selectorELNS0_4arch9wavefront6targetE0EEEvSO_.has_indirect_call, 0
	.section	.AMDGPU.csdata,"",@progbits
; Kernel info:
; codeLenInByte = 0
; TotalNumSgprs: 0
; NumVgprs: 0
; ScratchSize: 0
; MemoryBound: 0
; FloatMode: 240
; IeeeMode: 1
; LDSByteSize: 0 bytes/workgroup (compile time only)
; SGPRBlocks: 0
; VGPRBlocks: 0
; NumSGPRsForWavesPerEU: 1
; NumVGPRsForWavesPerEU: 1
; NamedBarCnt: 0
; Occupancy: 16
; WaveLimiterHint : 0
; COMPUTE_PGM_RSRC2:SCRATCH_EN: 0
; COMPUTE_PGM_RSRC2:USER_SGPR: 2
; COMPUTE_PGM_RSRC2:TRAP_HANDLER: 0
; COMPUTE_PGM_RSRC2:TGID_X_EN: 1
; COMPUTE_PGM_RSRC2:TGID_Y_EN: 0
; COMPUTE_PGM_RSRC2:TGID_Z_EN: 0
; COMPUTE_PGM_RSRC2:TIDIG_COMP_CNT: 0
	.section	.text._ZN7rocprim17ROCPRIM_400000_NS6detail17trampoline_kernelINS0_14default_configENS1_38merge_sort_block_merge_config_selectorIjN6thrust23THRUST_200600_302600_NS5tupleIffNS6_9null_typeES8_S8_S8_S8_S8_S8_S8_EEEEZZNS1_27merge_sort_block_merge_implIS3_NS6_6detail15normal_iteratorINS6_10device_ptrIjEEEENSD_INSE_IS9_EEEEjNS1_19radix_merge_compareILb0ELb0EjNS0_19identity_decomposerEEEEE10hipError_tT0_T1_T2_jT3_P12ihipStream_tbPNSt15iterator_traitsISN_E10value_typeEPNST_ISO_E10value_typeEPSP_NS1_7vsmem_tEENKUlT_SN_SO_SP_E_clIPjSG_PS9_SI_EESM_S12_SN_SO_SP_EUlS12_E_NS1_11comp_targetILNS1_3genE4ELNS1_11target_archE910ELNS1_3gpuE8ELNS1_3repE0EEENS1_48merge_mergepath_partition_config_static_selectorELNS0_4arch9wavefront6targetE0EEEvSO_,"axG",@progbits,_ZN7rocprim17ROCPRIM_400000_NS6detail17trampoline_kernelINS0_14default_configENS1_38merge_sort_block_merge_config_selectorIjN6thrust23THRUST_200600_302600_NS5tupleIffNS6_9null_typeES8_S8_S8_S8_S8_S8_S8_EEEEZZNS1_27merge_sort_block_merge_implIS3_NS6_6detail15normal_iteratorINS6_10device_ptrIjEEEENSD_INSE_IS9_EEEEjNS1_19radix_merge_compareILb0ELb0EjNS0_19identity_decomposerEEEEE10hipError_tT0_T1_T2_jT3_P12ihipStream_tbPNSt15iterator_traitsISN_E10value_typeEPNST_ISO_E10value_typeEPSP_NS1_7vsmem_tEENKUlT_SN_SO_SP_E_clIPjSG_PS9_SI_EESM_S12_SN_SO_SP_EUlS12_E_NS1_11comp_targetILNS1_3genE4ELNS1_11target_archE910ELNS1_3gpuE8ELNS1_3repE0EEENS1_48merge_mergepath_partition_config_static_selectorELNS0_4arch9wavefront6targetE0EEEvSO_,comdat
	.protected	_ZN7rocprim17ROCPRIM_400000_NS6detail17trampoline_kernelINS0_14default_configENS1_38merge_sort_block_merge_config_selectorIjN6thrust23THRUST_200600_302600_NS5tupleIffNS6_9null_typeES8_S8_S8_S8_S8_S8_S8_EEEEZZNS1_27merge_sort_block_merge_implIS3_NS6_6detail15normal_iteratorINS6_10device_ptrIjEEEENSD_INSE_IS9_EEEEjNS1_19radix_merge_compareILb0ELb0EjNS0_19identity_decomposerEEEEE10hipError_tT0_T1_T2_jT3_P12ihipStream_tbPNSt15iterator_traitsISN_E10value_typeEPNST_ISO_E10value_typeEPSP_NS1_7vsmem_tEENKUlT_SN_SO_SP_E_clIPjSG_PS9_SI_EESM_S12_SN_SO_SP_EUlS12_E_NS1_11comp_targetILNS1_3genE4ELNS1_11target_archE910ELNS1_3gpuE8ELNS1_3repE0EEENS1_48merge_mergepath_partition_config_static_selectorELNS0_4arch9wavefront6targetE0EEEvSO_ ; -- Begin function _ZN7rocprim17ROCPRIM_400000_NS6detail17trampoline_kernelINS0_14default_configENS1_38merge_sort_block_merge_config_selectorIjN6thrust23THRUST_200600_302600_NS5tupleIffNS6_9null_typeES8_S8_S8_S8_S8_S8_S8_EEEEZZNS1_27merge_sort_block_merge_implIS3_NS6_6detail15normal_iteratorINS6_10device_ptrIjEEEENSD_INSE_IS9_EEEEjNS1_19radix_merge_compareILb0ELb0EjNS0_19identity_decomposerEEEEE10hipError_tT0_T1_T2_jT3_P12ihipStream_tbPNSt15iterator_traitsISN_E10value_typeEPNST_ISO_E10value_typeEPSP_NS1_7vsmem_tEENKUlT_SN_SO_SP_E_clIPjSG_PS9_SI_EESM_S12_SN_SO_SP_EUlS12_E_NS1_11comp_targetILNS1_3genE4ELNS1_11target_archE910ELNS1_3gpuE8ELNS1_3repE0EEENS1_48merge_mergepath_partition_config_static_selectorELNS0_4arch9wavefront6targetE0EEEvSO_
	.globl	_ZN7rocprim17ROCPRIM_400000_NS6detail17trampoline_kernelINS0_14default_configENS1_38merge_sort_block_merge_config_selectorIjN6thrust23THRUST_200600_302600_NS5tupleIffNS6_9null_typeES8_S8_S8_S8_S8_S8_S8_EEEEZZNS1_27merge_sort_block_merge_implIS3_NS6_6detail15normal_iteratorINS6_10device_ptrIjEEEENSD_INSE_IS9_EEEEjNS1_19radix_merge_compareILb0ELb0EjNS0_19identity_decomposerEEEEE10hipError_tT0_T1_T2_jT3_P12ihipStream_tbPNSt15iterator_traitsISN_E10value_typeEPNST_ISO_E10value_typeEPSP_NS1_7vsmem_tEENKUlT_SN_SO_SP_E_clIPjSG_PS9_SI_EESM_S12_SN_SO_SP_EUlS12_E_NS1_11comp_targetILNS1_3genE4ELNS1_11target_archE910ELNS1_3gpuE8ELNS1_3repE0EEENS1_48merge_mergepath_partition_config_static_selectorELNS0_4arch9wavefront6targetE0EEEvSO_
	.p2align	8
	.type	_ZN7rocprim17ROCPRIM_400000_NS6detail17trampoline_kernelINS0_14default_configENS1_38merge_sort_block_merge_config_selectorIjN6thrust23THRUST_200600_302600_NS5tupleIffNS6_9null_typeES8_S8_S8_S8_S8_S8_S8_EEEEZZNS1_27merge_sort_block_merge_implIS3_NS6_6detail15normal_iteratorINS6_10device_ptrIjEEEENSD_INSE_IS9_EEEEjNS1_19radix_merge_compareILb0ELb0EjNS0_19identity_decomposerEEEEE10hipError_tT0_T1_T2_jT3_P12ihipStream_tbPNSt15iterator_traitsISN_E10value_typeEPNST_ISO_E10value_typeEPSP_NS1_7vsmem_tEENKUlT_SN_SO_SP_E_clIPjSG_PS9_SI_EESM_S12_SN_SO_SP_EUlS12_E_NS1_11comp_targetILNS1_3genE4ELNS1_11target_archE910ELNS1_3gpuE8ELNS1_3repE0EEENS1_48merge_mergepath_partition_config_static_selectorELNS0_4arch9wavefront6targetE0EEEvSO_,@function
_ZN7rocprim17ROCPRIM_400000_NS6detail17trampoline_kernelINS0_14default_configENS1_38merge_sort_block_merge_config_selectorIjN6thrust23THRUST_200600_302600_NS5tupleIffNS6_9null_typeES8_S8_S8_S8_S8_S8_S8_EEEEZZNS1_27merge_sort_block_merge_implIS3_NS6_6detail15normal_iteratorINS6_10device_ptrIjEEEENSD_INSE_IS9_EEEEjNS1_19radix_merge_compareILb0ELb0EjNS0_19identity_decomposerEEEEE10hipError_tT0_T1_T2_jT3_P12ihipStream_tbPNSt15iterator_traitsISN_E10value_typeEPNST_ISO_E10value_typeEPSP_NS1_7vsmem_tEENKUlT_SN_SO_SP_E_clIPjSG_PS9_SI_EESM_S12_SN_SO_SP_EUlS12_E_NS1_11comp_targetILNS1_3genE4ELNS1_11target_archE910ELNS1_3gpuE8ELNS1_3repE0EEENS1_48merge_mergepath_partition_config_static_selectorELNS0_4arch9wavefront6targetE0EEEvSO_: ; @_ZN7rocprim17ROCPRIM_400000_NS6detail17trampoline_kernelINS0_14default_configENS1_38merge_sort_block_merge_config_selectorIjN6thrust23THRUST_200600_302600_NS5tupleIffNS6_9null_typeES8_S8_S8_S8_S8_S8_S8_EEEEZZNS1_27merge_sort_block_merge_implIS3_NS6_6detail15normal_iteratorINS6_10device_ptrIjEEEENSD_INSE_IS9_EEEEjNS1_19radix_merge_compareILb0ELb0EjNS0_19identity_decomposerEEEEE10hipError_tT0_T1_T2_jT3_P12ihipStream_tbPNSt15iterator_traitsISN_E10value_typeEPNST_ISO_E10value_typeEPSP_NS1_7vsmem_tEENKUlT_SN_SO_SP_E_clIPjSG_PS9_SI_EESM_S12_SN_SO_SP_EUlS12_E_NS1_11comp_targetILNS1_3genE4ELNS1_11target_archE910ELNS1_3gpuE8ELNS1_3repE0EEENS1_48merge_mergepath_partition_config_static_selectorELNS0_4arch9wavefront6targetE0EEEvSO_
; %bb.0:
	.section	.rodata,"a",@progbits
	.p2align	6, 0x0
	.amdhsa_kernel _ZN7rocprim17ROCPRIM_400000_NS6detail17trampoline_kernelINS0_14default_configENS1_38merge_sort_block_merge_config_selectorIjN6thrust23THRUST_200600_302600_NS5tupleIffNS6_9null_typeES8_S8_S8_S8_S8_S8_S8_EEEEZZNS1_27merge_sort_block_merge_implIS3_NS6_6detail15normal_iteratorINS6_10device_ptrIjEEEENSD_INSE_IS9_EEEEjNS1_19radix_merge_compareILb0ELb0EjNS0_19identity_decomposerEEEEE10hipError_tT0_T1_T2_jT3_P12ihipStream_tbPNSt15iterator_traitsISN_E10value_typeEPNST_ISO_E10value_typeEPSP_NS1_7vsmem_tEENKUlT_SN_SO_SP_E_clIPjSG_PS9_SI_EESM_S12_SN_SO_SP_EUlS12_E_NS1_11comp_targetILNS1_3genE4ELNS1_11target_archE910ELNS1_3gpuE8ELNS1_3repE0EEENS1_48merge_mergepath_partition_config_static_selectorELNS0_4arch9wavefront6targetE0EEEvSO_
		.amdhsa_group_segment_fixed_size 0
		.amdhsa_private_segment_fixed_size 0
		.amdhsa_kernarg_size 40
		.amdhsa_user_sgpr_count 2
		.amdhsa_user_sgpr_dispatch_ptr 0
		.amdhsa_user_sgpr_queue_ptr 0
		.amdhsa_user_sgpr_kernarg_segment_ptr 1
		.amdhsa_user_sgpr_dispatch_id 0
		.amdhsa_user_sgpr_kernarg_preload_length 0
		.amdhsa_user_sgpr_kernarg_preload_offset 0
		.amdhsa_user_sgpr_private_segment_size 0
		.amdhsa_wavefront_size32 1
		.amdhsa_uses_dynamic_stack 0
		.amdhsa_enable_private_segment 0
		.amdhsa_system_sgpr_workgroup_id_x 1
		.amdhsa_system_sgpr_workgroup_id_y 0
		.amdhsa_system_sgpr_workgroup_id_z 0
		.amdhsa_system_sgpr_workgroup_info 0
		.amdhsa_system_vgpr_workitem_id 0
		.amdhsa_next_free_vgpr 1
		.amdhsa_next_free_sgpr 1
		.amdhsa_named_barrier_count 0
		.amdhsa_reserve_vcc 0
		.amdhsa_float_round_mode_32 0
		.amdhsa_float_round_mode_16_64 0
		.amdhsa_float_denorm_mode_32 3
		.amdhsa_float_denorm_mode_16_64 3
		.amdhsa_fp16_overflow 0
		.amdhsa_memory_ordered 1
		.amdhsa_forward_progress 1
		.amdhsa_inst_pref_size 0
		.amdhsa_round_robin_scheduling 0
		.amdhsa_exception_fp_ieee_invalid_op 0
		.amdhsa_exception_fp_denorm_src 0
		.amdhsa_exception_fp_ieee_div_zero 0
		.amdhsa_exception_fp_ieee_overflow 0
		.amdhsa_exception_fp_ieee_underflow 0
		.amdhsa_exception_fp_ieee_inexact 0
		.amdhsa_exception_int_div_zero 0
	.end_amdhsa_kernel
	.section	.text._ZN7rocprim17ROCPRIM_400000_NS6detail17trampoline_kernelINS0_14default_configENS1_38merge_sort_block_merge_config_selectorIjN6thrust23THRUST_200600_302600_NS5tupleIffNS6_9null_typeES8_S8_S8_S8_S8_S8_S8_EEEEZZNS1_27merge_sort_block_merge_implIS3_NS6_6detail15normal_iteratorINS6_10device_ptrIjEEEENSD_INSE_IS9_EEEEjNS1_19radix_merge_compareILb0ELb0EjNS0_19identity_decomposerEEEEE10hipError_tT0_T1_T2_jT3_P12ihipStream_tbPNSt15iterator_traitsISN_E10value_typeEPNST_ISO_E10value_typeEPSP_NS1_7vsmem_tEENKUlT_SN_SO_SP_E_clIPjSG_PS9_SI_EESM_S12_SN_SO_SP_EUlS12_E_NS1_11comp_targetILNS1_3genE4ELNS1_11target_archE910ELNS1_3gpuE8ELNS1_3repE0EEENS1_48merge_mergepath_partition_config_static_selectorELNS0_4arch9wavefront6targetE0EEEvSO_,"axG",@progbits,_ZN7rocprim17ROCPRIM_400000_NS6detail17trampoline_kernelINS0_14default_configENS1_38merge_sort_block_merge_config_selectorIjN6thrust23THRUST_200600_302600_NS5tupleIffNS6_9null_typeES8_S8_S8_S8_S8_S8_S8_EEEEZZNS1_27merge_sort_block_merge_implIS3_NS6_6detail15normal_iteratorINS6_10device_ptrIjEEEENSD_INSE_IS9_EEEEjNS1_19radix_merge_compareILb0ELb0EjNS0_19identity_decomposerEEEEE10hipError_tT0_T1_T2_jT3_P12ihipStream_tbPNSt15iterator_traitsISN_E10value_typeEPNST_ISO_E10value_typeEPSP_NS1_7vsmem_tEENKUlT_SN_SO_SP_E_clIPjSG_PS9_SI_EESM_S12_SN_SO_SP_EUlS12_E_NS1_11comp_targetILNS1_3genE4ELNS1_11target_archE910ELNS1_3gpuE8ELNS1_3repE0EEENS1_48merge_mergepath_partition_config_static_selectorELNS0_4arch9wavefront6targetE0EEEvSO_,comdat
.Lfunc_end28:
	.size	_ZN7rocprim17ROCPRIM_400000_NS6detail17trampoline_kernelINS0_14default_configENS1_38merge_sort_block_merge_config_selectorIjN6thrust23THRUST_200600_302600_NS5tupleIffNS6_9null_typeES8_S8_S8_S8_S8_S8_S8_EEEEZZNS1_27merge_sort_block_merge_implIS3_NS6_6detail15normal_iteratorINS6_10device_ptrIjEEEENSD_INSE_IS9_EEEEjNS1_19radix_merge_compareILb0ELb0EjNS0_19identity_decomposerEEEEE10hipError_tT0_T1_T2_jT3_P12ihipStream_tbPNSt15iterator_traitsISN_E10value_typeEPNST_ISO_E10value_typeEPSP_NS1_7vsmem_tEENKUlT_SN_SO_SP_E_clIPjSG_PS9_SI_EESM_S12_SN_SO_SP_EUlS12_E_NS1_11comp_targetILNS1_3genE4ELNS1_11target_archE910ELNS1_3gpuE8ELNS1_3repE0EEENS1_48merge_mergepath_partition_config_static_selectorELNS0_4arch9wavefront6targetE0EEEvSO_, .Lfunc_end28-_ZN7rocprim17ROCPRIM_400000_NS6detail17trampoline_kernelINS0_14default_configENS1_38merge_sort_block_merge_config_selectorIjN6thrust23THRUST_200600_302600_NS5tupleIffNS6_9null_typeES8_S8_S8_S8_S8_S8_S8_EEEEZZNS1_27merge_sort_block_merge_implIS3_NS6_6detail15normal_iteratorINS6_10device_ptrIjEEEENSD_INSE_IS9_EEEEjNS1_19radix_merge_compareILb0ELb0EjNS0_19identity_decomposerEEEEE10hipError_tT0_T1_T2_jT3_P12ihipStream_tbPNSt15iterator_traitsISN_E10value_typeEPNST_ISO_E10value_typeEPSP_NS1_7vsmem_tEENKUlT_SN_SO_SP_E_clIPjSG_PS9_SI_EESM_S12_SN_SO_SP_EUlS12_E_NS1_11comp_targetILNS1_3genE4ELNS1_11target_archE910ELNS1_3gpuE8ELNS1_3repE0EEENS1_48merge_mergepath_partition_config_static_selectorELNS0_4arch9wavefront6targetE0EEEvSO_
                                        ; -- End function
	.set _ZN7rocprim17ROCPRIM_400000_NS6detail17trampoline_kernelINS0_14default_configENS1_38merge_sort_block_merge_config_selectorIjN6thrust23THRUST_200600_302600_NS5tupleIffNS6_9null_typeES8_S8_S8_S8_S8_S8_S8_EEEEZZNS1_27merge_sort_block_merge_implIS3_NS6_6detail15normal_iteratorINS6_10device_ptrIjEEEENSD_INSE_IS9_EEEEjNS1_19radix_merge_compareILb0ELb0EjNS0_19identity_decomposerEEEEE10hipError_tT0_T1_T2_jT3_P12ihipStream_tbPNSt15iterator_traitsISN_E10value_typeEPNST_ISO_E10value_typeEPSP_NS1_7vsmem_tEENKUlT_SN_SO_SP_E_clIPjSG_PS9_SI_EESM_S12_SN_SO_SP_EUlS12_E_NS1_11comp_targetILNS1_3genE4ELNS1_11target_archE910ELNS1_3gpuE8ELNS1_3repE0EEENS1_48merge_mergepath_partition_config_static_selectorELNS0_4arch9wavefront6targetE0EEEvSO_.num_vgpr, 0
	.set _ZN7rocprim17ROCPRIM_400000_NS6detail17trampoline_kernelINS0_14default_configENS1_38merge_sort_block_merge_config_selectorIjN6thrust23THRUST_200600_302600_NS5tupleIffNS6_9null_typeES8_S8_S8_S8_S8_S8_S8_EEEEZZNS1_27merge_sort_block_merge_implIS3_NS6_6detail15normal_iteratorINS6_10device_ptrIjEEEENSD_INSE_IS9_EEEEjNS1_19radix_merge_compareILb0ELb0EjNS0_19identity_decomposerEEEEE10hipError_tT0_T1_T2_jT3_P12ihipStream_tbPNSt15iterator_traitsISN_E10value_typeEPNST_ISO_E10value_typeEPSP_NS1_7vsmem_tEENKUlT_SN_SO_SP_E_clIPjSG_PS9_SI_EESM_S12_SN_SO_SP_EUlS12_E_NS1_11comp_targetILNS1_3genE4ELNS1_11target_archE910ELNS1_3gpuE8ELNS1_3repE0EEENS1_48merge_mergepath_partition_config_static_selectorELNS0_4arch9wavefront6targetE0EEEvSO_.num_agpr, 0
	.set _ZN7rocprim17ROCPRIM_400000_NS6detail17trampoline_kernelINS0_14default_configENS1_38merge_sort_block_merge_config_selectorIjN6thrust23THRUST_200600_302600_NS5tupleIffNS6_9null_typeES8_S8_S8_S8_S8_S8_S8_EEEEZZNS1_27merge_sort_block_merge_implIS3_NS6_6detail15normal_iteratorINS6_10device_ptrIjEEEENSD_INSE_IS9_EEEEjNS1_19radix_merge_compareILb0ELb0EjNS0_19identity_decomposerEEEEE10hipError_tT0_T1_T2_jT3_P12ihipStream_tbPNSt15iterator_traitsISN_E10value_typeEPNST_ISO_E10value_typeEPSP_NS1_7vsmem_tEENKUlT_SN_SO_SP_E_clIPjSG_PS9_SI_EESM_S12_SN_SO_SP_EUlS12_E_NS1_11comp_targetILNS1_3genE4ELNS1_11target_archE910ELNS1_3gpuE8ELNS1_3repE0EEENS1_48merge_mergepath_partition_config_static_selectorELNS0_4arch9wavefront6targetE0EEEvSO_.numbered_sgpr, 0
	.set _ZN7rocprim17ROCPRIM_400000_NS6detail17trampoline_kernelINS0_14default_configENS1_38merge_sort_block_merge_config_selectorIjN6thrust23THRUST_200600_302600_NS5tupleIffNS6_9null_typeES8_S8_S8_S8_S8_S8_S8_EEEEZZNS1_27merge_sort_block_merge_implIS3_NS6_6detail15normal_iteratorINS6_10device_ptrIjEEEENSD_INSE_IS9_EEEEjNS1_19radix_merge_compareILb0ELb0EjNS0_19identity_decomposerEEEEE10hipError_tT0_T1_T2_jT3_P12ihipStream_tbPNSt15iterator_traitsISN_E10value_typeEPNST_ISO_E10value_typeEPSP_NS1_7vsmem_tEENKUlT_SN_SO_SP_E_clIPjSG_PS9_SI_EESM_S12_SN_SO_SP_EUlS12_E_NS1_11comp_targetILNS1_3genE4ELNS1_11target_archE910ELNS1_3gpuE8ELNS1_3repE0EEENS1_48merge_mergepath_partition_config_static_selectorELNS0_4arch9wavefront6targetE0EEEvSO_.num_named_barrier, 0
	.set _ZN7rocprim17ROCPRIM_400000_NS6detail17trampoline_kernelINS0_14default_configENS1_38merge_sort_block_merge_config_selectorIjN6thrust23THRUST_200600_302600_NS5tupleIffNS6_9null_typeES8_S8_S8_S8_S8_S8_S8_EEEEZZNS1_27merge_sort_block_merge_implIS3_NS6_6detail15normal_iteratorINS6_10device_ptrIjEEEENSD_INSE_IS9_EEEEjNS1_19radix_merge_compareILb0ELb0EjNS0_19identity_decomposerEEEEE10hipError_tT0_T1_T2_jT3_P12ihipStream_tbPNSt15iterator_traitsISN_E10value_typeEPNST_ISO_E10value_typeEPSP_NS1_7vsmem_tEENKUlT_SN_SO_SP_E_clIPjSG_PS9_SI_EESM_S12_SN_SO_SP_EUlS12_E_NS1_11comp_targetILNS1_3genE4ELNS1_11target_archE910ELNS1_3gpuE8ELNS1_3repE0EEENS1_48merge_mergepath_partition_config_static_selectorELNS0_4arch9wavefront6targetE0EEEvSO_.private_seg_size, 0
	.set _ZN7rocprim17ROCPRIM_400000_NS6detail17trampoline_kernelINS0_14default_configENS1_38merge_sort_block_merge_config_selectorIjN6thrust23THRUST_200600_302600_NS5tupleIffNS6_9null_typeES8_S8_S8_S8_S8_S8_S8_EEEEZZNS1_27merge_sort_block_merge_implIS3_NS6_6detail15normal_iteratorINS6_10device_ptrIjEEEENSD_INSE_IS9_EEEEjNS1_19radix_merge_compareILb0ELb0EjNS0_19identity_decomposerEEEEE10hipError_tT0_T1_T2_jT3_P12ihipStream_tbPNSt15iterator_traitsISN_E10value_typeEPNST_ISO_E10value_typeEPSP_NS1_7vsmem_tEENKUlT_SN_SO_SP_E_clIPjSG_PS9_SI_EESM_S12_SN_SO_SP_EUlS12_E_NS1_11comp_targetILNS1_3genE4ELNS1_11target_archE910ELNS1_3gpuE8ELNS1_3repE0EEENS1_48merge_mergepath_partition_config_static_selectorELNS0_4arch9wavefront6targetE0EEEvSO_.uses_vcc, 0
	.set _ZN7rocprim17ROCPRIM_400000_NS6detail17trampoline_kernelINS0_14default_configENS1_38merge_sort_block_merge_config_selectorIjN6thrust23THRUST_200600_302600_NS5tupleIffNS6_9null_typeES8_S8_S8_S8_S8_S8_S8_EEEEZZNS1_27merge_sort_block_merge_implIS3_NS6_6detail15normal_iteratorINS6_10device_ptrIjEEEENSD_INSE_IS9_EEEEjNS1_19radix_merge_compareILb0ELb0EjNS0_19identity_decomposerEEEEE10hipError_tT0_T1_T2_jT3_P12ihipStream_tbPNSt15iterator_traitsISN_E10value_typeEPNST_ISO_E10value_typeEPSP_NS1_7vsmem_tEENKUlT_SN_SO_SP_E_clIPjSG_PS9_SI_EESM_S12_SN_SO_SP_EUlS12_E_NS1_11comp_targetILNS1_3genE4ELNS1_11target_archE910ELNS1_3gpuE8ELNS1_3repE0EEENS1_48merge_mergepath_partition_config_static_selectorELNS0_4arch9wavefront6targetE0EEEvSO_.uses_flat_scratch, 0
	.set _ZN7rocprim17ROCPRIM_400000_NS6detail17trampoline_kernelINS0_14default_configENS1_38merge_sort_block_merge_config_selectorIjN6thrust23THRUST_200600_302600_NS5tupleIffNS6_9null_typeES8_S8_S8_S8_S8_S8_S8_EEEEZZNS1_27merge_sort_block_merge_implIS3_NS6_6detail15normal_iteratorINS6_10device_ptrIjEEEENSD_INSE_IS9_EEEEjNS1_19radix_merge_compareILb0ELb0EjNS0_19identity_decomposerEEEEE10hipError_tT0_T1_T2_jT3_P12ihipStream_tbPNSt15iterator_traitsISN_E10value_typeEPNST_ISO_E10value_typeEPSP_NS1_7vsmem_tEENKUlT_SN_SO_SP_E_clIPjSG_PS9_SI_EESM_S12_SN_SO_SP_EUlS12_E_NS1_11comp_targetILNS1_3genE4ELNS1_11target_archE910ELNS1_3gpuE8ELNS1_3repE0EEENS1_48merge_mergepath_partition_config_static_selectorELNS0_4arch9wavefront6targetE0EEEvSO_.has_dyn_sized_stack, 0
	.set _ZN7rocprim17ROCPRIM_400000_NS6detail17trampoline_kernelINS0_14default_configENS1_38merge_sort_block_merge_config_selectorIjN6thrust23THRUST_200600_302600_NS5tupleIffNS6_9null_typeES8_S8_S8_S8_S8_S8_S8_EEEEZZNS1_27merge_sort_block_merge_implIS3_NS6_6detail15normal_iteratorINS6_10device_ptrIjEEEENSD_INSE_IS9_EEEEjNS1_19radix_merge_compareILb0ELb0EjNS0_19identity_decomposerEEEEE10hipError_tT0_T1_T2_jT3_P12ihipStream_tbPNSt15iterator_traitsISN_E10value_typeEPNST_ISO_E10value_typeEPSP_NS1_7vsmem_tEENKUlT_SN_SO_SP_E_clIPjSG_PS9_SI_EESM_S12_SN_SO_SP_EUlS12_E_NS1_11comp_targetILNS1_3genE4ELNS1_11target_archE910ELNS1_3gpuE8ELNS1_3repE0EEENS1_48merge_mergepath_partition_config_static_selectorELNS0_4arch9wavefront6targetE0EEEvSO_.has_recursion, 0
	.set _ZN7rocprim17ROCPRIM_400000_NS6detail17trampoline_kernelINS0_14default_configENS1_38merge_sort_block_merge_config_selectorIjN6thrust23THRUST_200600_302600_NS5tupleIffNS6_9null_typeES8_S8_S8_S8_S8_S8_S8_EEEEZZNS1_27merge_sort_block_merge_implIS3_NS6_6detail15normal_iteratorINS6_10device_ptrIjEEEENSD_INSE_IS9_EEEEjNS1_19radix_merge_compareILb0ELb0EjNS0_19identity_decomposerEEEEE10hipError_tT0_T1_T2_jT3_P12ihipStream_tbPNSt15iterator_traitsISN_E10value_typeEPNST_ISO_E10value_typeEPSP_NS1_7vsmem_tEENKUlT_SN_SO_SP_E_clIPjSG_PS9_SI_EESM_S12_SN_SO_SP_EUlS12_E_NS1_11comp_targetILNS1_3genE4ELNS1_11target_archE910ELNS1_3gpuE8ELNS1_3repE0EEENS1_48merge_mergepath_partition_config_static_selectorELNS0_4arch9wavefront6targetE0EEEvSO_.has_indirect_call, 0
	.section	.AMDGPU.csdata,"",@progbits
; Kernel info:
; codeLenInByte = 0
; TotalNumSgprs: 0
; NumVgprs: 0
; ScratchSize: 0
; MemoryBound: 0
; FloatMode: 240
; IeeeMode: 1
; LDSByteSize: 0 bytes/workgroup (compile time only)
; SGPRBlocks: 0
; VGPRBlocks: 0
; NumSGPRsForWavesPerEU: 1
; NumVGPRsForWavesPerEU: 1
; NamedBarCnt: 0
; Occupancy: 16
; WaveLimiterHint : 0
; COMPUTE_PGM_RSRC2:SCRATCH_EN: 0
; COMPUTE_PGM_RSRC2:USER_SGPR: 2
; COMPUTE_PGM_RSRC2:TRAP_HANDLER: 0
; COMPUTE_PGM_RSRC2:TGID_X_EN: 1
; COMPUTE_PGM_RSRC2:TGID_Y_EN: 0
; COMPUTE_PGM_RSRC2:TGID_Z_EN: 0
; COMPUTE_PGM_RSRC2:TIDIG_COMP_CNT: 0
	.section	.text._ZN7rocprim17ROCPRIM_400000_NS6detail17trampoline_kernelINS0_14default_configENS1_38merge_sort_block_merge_config_selectorIjN6thrust23THRUST_200600_302600_NS5tupleIffNS6_9null_typeES8_S8_S8_S8_S8_S8_S8_EEEEZZNS1_27merge_sort_block_merge_implIS3_NS6_6detail15normal_iteratorINS6_10device_ptrIjEEEENSD_INSE_IS9_EEEEjNS1_19radix_merge_compareILb0ELb0EjNS0_19identity_decomposerEEEEE10hipError_tT0_T1_T2_jT3_P12ihipStream_tbPNSt15iterator_traitsISN_E10value_typeEPNST_ISO_E10value_typeEPSP_NS1_7vsmem_tEENKUlT_SN_SO_SP_E_clIPjSG_PS9_SI_EESM_S12_SN_SO_SP_EUlS12_E_NS1_11comp_targetILNS1_3genE3ELNS1_11target_archE908ELNS1_3gpuE7ELNS1_3repE0EEENS1_48merge_mergepath_partition_config_static_selectorELNS0_4arch9wavefront6targetE0EEEvSO_,"axG",@progbits,_ZN7rocprim17ROCPRIM_400000_NS6detail17trampoline_kernelINS0_14default_configENS1_38merge_sort_block_merge_config_selectorIjN6thrust23THRUST_200600_302600_NS5tupleIffNS6_9null_typeES8_S8_S8_S8_S8_S8_S8_EEEEZZNS1_27merge_sort_block_merge_implIS3_NS6_6detail15normal_iteratorINS6_10device_ptrIjEEEENSD_INSE_IS9_EEEEjNS1_19radix_merge_compareILb0ELb0EjNS0_19identity_decomposerEEEEE10hipError_tT0_T1_T2_jT3_P12ihipStream_tbPNSt15iterator_traitsISN_E10value_typeEPNST_ISO_E10value_typeEPSP_NS1_7vsmem_tEENKUlT_SN_SO_SP_E_clIPjSG_PS9_SI_EESM_S12_SN_SO_SP_EUlS12_E_NS1_11comp_targetILNS1_3genE3ELNS1_11target_archE908ELNS1_3gpuE7ELNS1_3repE0EEENS1_48merge_mergepath_partition_config_static_selectorELNS0_4arch9wavefront6targetE0EEEvSO_,comdat
	.protected	_ZN7rocprim17ROCPRIM_400000_NS6detail17trampoline_kernelINS0_14default_configENS1_38merge_sort_block_merge_config_selectorIjN6thrust23THRUST_200600_302600_NS5tupleIffNS6_9null_typeES8_S8_S8_S8_S8_S8_S8_EEEEZZNS1_27merge_sort_block_merge_implIS3_NS6_6detail15normal_iteratorINS6_10device_ptrIjEEEENSD_INSE_IS9_EEEEjNS1_19radix_merge_compareILb0ELb0EjNS0_19identity_decomposerEEEEE10hipError_tT0_T1_T2_jT3_P12ihipStream_tbPNSt15iterator_traitsISN_E10value_typeEPNST_ISO_E10value_typeEPSP_NS1_7vsmem_tEENKUlT_SN_SO_SP_E_clIPjSG_PS9_SI_EESM_S12_SN_SO_SP_EUlS12_E_NS1_11comp_targetILNS1_3genE3ELNS1_11target_archE908ELNS1_3gpuE7ELNS1_3repE0EEENS1_48merge_mergepath_partition_config_static_selectorELNS0_4arch9wavefront6targetE0EEEvSO_ ; -- Begin function _ZN7rocprim17ROCPRIM_400000_NS6detail17trampoline_kernelINS0_14default_configENS1_38merge_sort_block_merge_config_selectorIjN6thrust23THRUST_200600_302600_NS5tupleIffNS6_9null_typeES8_S8_S8_S8_S8_S8_S8_EEEEZZNS1_27merge_sort_block_merge_implIS3_NS6_6detail15normal_iteratorINS6_10device_ptrIjEEEENSD_INSE_IS9_EEEEjNS1_19radix_merge_compareILb0ELb0EjNS0_19identity_decomposerEEEEE10hipError_tT0_T1_T2_jT3_P12ihipStream_tbPNSt15iterator_traitsISN_E10value_typeEPNST_ISO_E10value_typeEPSP_NS1_7vsmem_tEENKUlT_SN_SO_SP_E_clIPjSG_PS9_SI_EESM_S12_SN_SO_SP_EUlS12_E_NS1_11comp_targetILNS1_3genE3ELNS1_11target_archE908ELNS1_3gpuE7ELNS1_3repE0EEENS1_48merge_mergepath_partition_config_static_selectorELNS0_4arch9wavefront6targetE0EEEvSO_
	.globl	_ZN7rocprim17ROCPRIM_400000_NS6detail17trampoline_kernelINS0_14default_configENS1_38merge_sort_block_merge_config_selectorIjN6thrust23THRUST_200600_302600_NS5tupleIffNS6_9null_typeES8_S8_S8_S8_S8_S8_S8_EEEEZZNS1_27merge_sort_block_merge_implIS3_NS6_6detail15normal_iteratorINS6_10device_ptrIjEEEENSD_INSE_IS9_EEEEjNS1_19radix_merge_compareILb0ELb0EjNS0_19identity_decomposerEEEEE10hipError_tT0_T1_T2_jT3_P12ihipStream_tbPNSt15iterator_traitsISN_E10value_typeEPNST_ISO_E10value_typeEPSP_NS1_7vsmem_tEENKUlT_SN_SO_SP_E_clIPjSG_PS9_SI_EESM_S12_SN_SO_SP_EUlS12_E_NS1_11comp_targetILNS1_3genE3ELNS1_11target_archE908ELNS1_3gpuE7ELNS1_3repE0EEENS1_48merge_mergepath_partition_config_static_selectorELNS0_4arch9wavefront6targetE0EEEvSO_
	.p2align	8
	.type	_ZN7rocprim17ROCPRIM_400000_NS6detail17trampoline_kernelINS0_14default_configENS1_38merge_sort_block_merge_config_selectorIjN6thrust23THRUST_200600_302600_NS5tupleIffNS6_9null_typeES8_S8_S8_S8_S8_S8_S8_EEEEZZNS1_27merge_sort_block_merge_implIS3_NS6_6detail15normal_iteratorINS6_10device_ptrIjEEEENSD_INSE_IS9_EEEEjNS1_19radix_merge_compareILb0ELb0EjNS0_19identity_decomposerEEEEE10hipError_tT0_T1_T2_jT3_P12ihipStream_tbPNSt15iterator_traitsISN_E10value_typeEPNST_ISO_E10value_typeEPSP_NS1_7vsmem_tEENKUlT_SN_SO_SP_E_clIPjSG_PS9_SI_EESM_S12_SN_SO_SP_EUlS12_E_NS1_11comp_targetILNS1_3genE3ELNS1_11target_archE908ELNS1_3gpuE7ELNS1_3repE0EEENS1_48merge_mergepath_partition_config_static_selectorELNS0_4arch9wavefront6targetE0EEEvSO_,@function
_ZN7rocprim17ROCPRIM_400000_NS6detail17trampoline_kernelINS0_14default_configENS1_38merge_sort_block_merge_config_selectorIjN6thrust23THRUST_200600_302600_NS5tupleIffNS6_9null_typeES8_S8_S8_S8_S8_S8_S8_EEEEZZNS1_27merge_sort_block_merge_implIS3_NS6_6detail15normal_iteratorINS6_10device_ptrIjEEEENSD_INSE_IS9_EEEEjNS1_19radix_merge_compareILb0ELb0EjNS0_19identity_decomposerEEEEE10hipError_tT0_T1_T2_jT3_P12ihipStream_tbPNSt15iterator_traitsISN_E10value_typeEPNST_ISO_E10value_typeEPSP_NS1_7vsmem_tEENKUlT_SN_SO_SP_E_clIPjSG_PS9_SI_EESM_S12_SN_SO_SP_EUlS12_E_NS1_11comp_targetILNS1_3genE3ELNS1_11target_archE908ELNS1_3gpuE7ELNS1_3repE0EEENS1_48merge_mergepath_partition_config_static_selectorELNS0_4arch9wavefront6targetE0EEEvSO_: ; @_ZN7rocprim17ROCPRIM_400000_NS6detail17trampoline_kernelINS0_14default_configENS1_38merge_sort_block_merge_config_selectorIjN6thrust23THRUST_200600_302600_NS5tupleIffNS6_9null_typeES8_S8_S8_S8_S8_S8_S8_EEEEZZNS1_27merge_sort_block_merge_implIS3_NS6_6detail15normal_iteratorINS6_10device_ptrIjEEEENSD_INSE_IS9_EEEEjNS1_19radix_merge_compareILb0ELb0EjNS0_19identity_decomposerEEEEE10hipError_tT0_T1_T2_jT3_P12ihipStream_tbPNSt15iterator_traitsISN_E10value_typeEPNST_ISO_E10value_typeEPSP_NS1_7vsmem_tEENKUlT_SN_SO_SP_E_clIPjSG_PS9_SI_EESM_S12_SN_SO_SP_EUlS12_E_NS1_11comp_targetILNS1_3genE3ELNS1_11target_archE908ELNS1_3gpuE7ELNS1_3repE0EEENS1_48merge_mergepath_partition_config_static_selectorELNS0_4arch9wavefront6targetE0EEEvSO_
; %bb.0:
	.section	.rodata,"a",@progbits
	.p2align	6, 0x0
	.amdhsa_kernel _ZN7rocprim17ROCPRIM_400000_NS6detail17trampoline_kernelINS0_14default_configENS1_38merge_sort_block_merge_config_selectorIjN6thrust23THRUST_200600_302600_NS5tupleIffNS6_9null_typeES8_S8_S8_S8_S8_S8_S8_EEEEZZNS1_27merge_sort_block_merge_implIS3_NS6_6detail15normal_iteratorINS6_10device_ptrIjEEEENSD_INSE_IS9_EEEEjNS1_19radix_merge_compareILb0ELb0EjNS0_19identity_decomposerEEEEE10hipError_tT0_T1_T2_jT3_P12ihipStream_tbPNSt15iterator_traitsISN_E10value_typeEPNST_ISO_E10value_typeEPSP_NS1_7vsmem_tEENKUlT_SN_SO_SP_E_clIPjSG_PS9_SI_EESM_S12_SN_SO_SP_EUlS12_E_NS1_11comp_targetILNS1_3genE3ELNS1_11target_archE908ELNS1_3gpuE7ELNS1_3repE0EEENS1_48merge_mergepath_partition_config_static_selectorELNS0_4arch9wavefront6targetE0EEEvSO_
		.amdhsa_group_segment_fixed_size 0
		.amdhsa_private_segment_fixed_size 0
		.amdhsa_kernarg_size 40
		.amdhsa_user_sgpr_count 2
		.amdhsa_user_sgpr_dispatch_ptr 0
		.amdhsa_user_sgpr_queue_ptr 0
		.amdhsa_user_sgpr_kernarg_segment_ptr 1
		.amdhsa_user_sgpr_dispatch_id 0
		.amdhsa_user_sgpr_kernarg_preload_length 0
		.amdhsa_user_sgpr_kernarg_preload_offset 0
		.amdhsa_user_sgpr_private_segment_size 0
		.amdhsa_wavefront_size32 1
		.amdhsa_uses_dynamic_stack 0
		.amdhsa_enable_private_segment 0
		.amdhsa_system_sgpr_workgroup_id_x 1
		.amdhsa_system_sgpr_workgroup_id_y 0
		.amdhsa_system_sgpr_workgroup_id_z 0
		.amdhsa_system_sgpr_workgroup_info 0
		.amdhsa_system_vgpr_workitem_id 0
		.amdhsa_next_free_vgpr 1
		.amdhsa_next_free_sgpr 1
		.amdhsa_named_barrier_count 0
		.amdhsa_reserve_vcc 0
		.amdhsa_float_round_mode_32 0
		.amdhsa_float_round_mode_16_64 0
		.amdhsa_float_denorm_mode_32 3
		.amdhsa_float_denorm_mode_16_64 3
		.amdhsa_fp16_overflow 0
		.amdhsa_memory_ordered 1
		.amdhsa_forward_progress 1
		.amdhsa_inst_pref_size 0
		.amdhsa_round_robin_scheduling 0
		.amdhsa_exception_fp_ieee_invalid_op 0
		.amdhsa_exception_fp_denorm_src 0
		.amdhsa_exception_fp_ieee_div_zero 0
		.amdhsa_exception_fp_ieee_overflow 0
		.amdhsa_exception_fp_ieee_underflow 0
		.amdhsa_exception_fp_ieee_inexact 0
		.amdhsa_exception_int_div_zero 0
	.end_amdhsa_kernel
	.section	.text._ZN7rocprim17ROCPRIM_400000_NS6detail17trampoline_kernelINS0_14default_configENS1_38merge_sort_block_merge_config_selectorIjN6thrust23THRUST_200600_302600_NS5tupleIffNS6_9null_typeES8_S8_S8_S8_S8_S8_S8_EEEEZZNS1_27merge_sort_block_merge_implIS3_NS6_6detail15normal_iteratorINS6_10device_ptrIjEEEENSD_INSE_IS9_EEEEjNS1_19radix_merge_compareILb0ELb0EjNS0_19identity_decomposerEEEEE10hipError_tT0_T1_T2_jT3_P12ihipStream_tbPNSt15iterator_traitsISN_E10value_typeEPNST_ISO_E10value_typeEPSP_NS1_7vsmem_tEENKUlT_SN_SO_SP_E_clIPjSG_PS9_SI_EESM_S12_SN_SO_SP_EUlS12_E_NS1_11comp_targetILNS1_3genE3ELNS1_11target_archE908ELNS1_3gpuE7ELNS1_3repE0EEENS1_48merge_mergepath_partition_config_static_selectorELNS0_4arch9wavefront6targetE0EEEvSO_,"axG",@progbits,_ZN7rocprim17ROCPRIM_400000_NS6detail17trampoline_kernelINS0_14default_configENS1_38merge_sort_block_merge_config_selectorIjN6thrust23THRUST_200600_302600_NS5tupleIffNS6_9null_typeES8_S8_S8_S8_S8_S8_S8_EEEEZZNS1_27merge_sort_block_merge_implIS3_NS6_6detail15normal_iteratorINS6_10device_ptrIjEEEENSD_INSE_IS9_EEEEjNS1_19radix_merge_compareILb0ELb0EjNS0_19identity_decomposerEEEEE10hipError_tT0_T1_T2_jT3_P12ihipStream_tbPNSt15iterator_traitsISN_E10value_typeEPNST_ISO_E10value_typeEPSP_NS1_7vsmem_tEENKUlT_SN_SO_SP_E_clIPjSG_PS9_SI_EESM_S12_SN_SO_SP_EUlS12_E_NS1_11comp_targetILNS1_3genE3ELNS1_11target_archE908ELNS1_3gpuE7ELNS1_3repE0EEENS1_48merge_mergepath_partition_config_static_selectorELNS0_4arch9wavefront6targetE0EEEvSO_,comdat
.Lfunc_end29:
	.size	_ZN7rocprim17ROCPRIM_400000_NS6detail17trampoline_kernelINS0_14default_configENS1_38merge_sort_block_merge_config_selectorIjN6thrust23THRUST_200600_302600_NS5tupleIffNS6_9null_typeES8_S8_S8_S8_S8_S8_S8_EEEEZZNS1_27merge_sort_block_merge_implIS3_NS6_6detail15normal_iteratorINS6_10device_ptrIjEEEENSD_INSE_IS9_EEEEjNS1_19radix_merge_compareILb0ELb0EjNS0_19identity_decomposerEEEEE10hipError_tT0_T1_T2_jT3_P12ihipStream_tbPNSt15iterator_traitsISN_E10value_typeEPNST_ISO_E10value_typeEPSP_NS1_7vsmem_tEENKUlT_SN_SO_SP_E_clIPjSG_PS9_SI_EESM_S12_SN_SO_SP_EUlS12_E_NS1_11comp_targetILNS1_3genE3ELNS1_11target_archE908ELNS1_3gpuE7ELNS1_3repE0EEENS1_48merge_mergepath_partition_config_static_selectorELNS0_4arch9wavefront6targetE0EEEvSO_, .Lfunc_end29-_ZN7rocprim17ROCPRIM_400000_NS6detail17trampoline_kernelINS0_14default_configENS1_38merge_sort_block_merge_config_selectorIjN6thrust23THRUST_200600_302600_NS5tupleIffNS6_9null_typeES8_S8_S8_S8_S8_S8_S8_EEEEZZNS1_27merge_sort_block_merge_implIS3_NS6_6detail15normal_iteratorINS6_10device_ptrIjEEEENSD_INSE_IS9_EEEEjNS1_19radix_merge_compareILb0ELb0EjNS0_19identity_decomposerEEEEE10hipError_tT0_T1_T2_jT3_P12ihipStream_tbPNSt15iterator_traitsISN_E10value_typeEPNST_ISO_E10value_typeEPSP_NS1_7vsmem_tEENKUlT_SN_SO_SP_E_clIPjSG_PS9_SI_EESM_S12_SN_SO_SP_EUlS12_E_NS1_11comp_targetILNS1_3genE3ELNS1_11target_archE908ELNS1_3gpuE7ELNS1_3repE0EEENS1_48merge_mergepath_partition_config_static_selectorELNS0_4arch9wavefront6targetE0EEEvSO_
                                        ; -- End function
	.set _ZN7rocprim17ROCPRIM_400000_NS6detail17trampoline_kernelINS0_14default_configENS1_38merge_sort_block_merge_config_selectorIjN6thrust23THRUST_200600_302600_NS5tupleIffNS6_9null_typeES8_S8_S8_S8_S8_S8_S8_EEEEZZNS1_27merge_sort_block_merge_implIS3_NS6_6detail15normal_iteratorINS6_10device_ptrIjEEEENSD_INSE_IS9_EEEEjNS1_19radix_merge_compareILb0ELb0EjNS0_19identity_decomposerEEEEE10hipError_tT0_T1_T2_jT3_P12ihipStream_tbPNSt15iterator_traitsISN_E10value_typeEPNST_ISO_E10value_typeEPSP_NS1_7vsmem_tEENKUlT_SN_SO_SP_E_clIPjSG_PS9_SI_EESM_S12_SN_SO_SP_EUlS12_E_NS1_11comp_targetILNS1_3genE3ELNS1_11target_archE908ELNS1_3gpuE7ELNS1_3repE0EEENS1_48merge_mergepath_partition_config_static_selectorELNS0_4arch9wavefront6targetE0EEEvSO_.num_vgpr, 0
	.set _ZN7rocprim17ROCPRIM_400000_NS6detail17trampoline_kernelINS0_14default_configENS1_38merge_sort_block_merge_config_selectorIjN6thrust23THRUST_200600_302600_NS5tupleIffNS6_9null_typeES8_S8_S8_S8_S8_S8_S8_EEEEZZNS1_27merge_sort_block_merge_implIS3_NS6_6detail15normal_iteratorINS6_10device_ptrIjEEEENSD_INSE_IS9_EEEEjNS1_19radix_merge_compareILb0ELb0EjNS0_19identity_decomposerEEEEE10hipError_tT0_T1_T2_jT3_P12ihipStream_tbPNSt15iterator_traitsISN_E10value_typeEPNST_ISO_E10value_typeEPSP_NS1_7vsmem_tEENKUlT_SN_SO_SP_E_clIPjSG_PS9_SI_EESM_S12_SN_SO_SP_EUlS12_E_NS1_11comp_targetILNS1_3genE3ELNS1_11target_archE908ELNS1_3gpuE7ELNS1_3repE0EEENS1_48merge_mergepath_partition_config_static_selectorELNS0_4arch9wavefront6targetE0EEEvSO_.num_agpr, 0
	.set _ZN7rocprim17ROCPRIM_400000_NS6detail17trampoline_kernelINS0_14default_configENS1_38merge_sort_block_merge_config_selectorIjN6thrust23THRUST_200600_302600_NS5tupleIffNS6_9null_typeES8_S8_S8_S8_S8_S8_S8_EEEEZZNS1_27merge_sort_block_merge_implIS3_NS6_6detail15normal_iteratorINS6_10device_ptrIjEEEENSD_INSE_IS9_EEEEjNS1_19radix_merge_compareILb0ELb0EjNS0_19identity_decomposerEEEEE10hipError_tT0_T1_T2_jT3_P12ihipStream_tbPNSt15iterator_traitsISN_E10value_typeEPNST_ISO_E10value_typeEPSP_NS1_7vsmem_tEENKUlT_SN_SO_SP_E_clIPjSG_PS9_SI_EESM_S12_SN_SO_SP_EUlS12_E_NS1_11comp_targetILNS1_3genE3ELNS1_11target_archE908ELNS1_3gpuE7ELNS1_3repE0EEENS1_48merge_mergepath_partition_config_static_selectorELNS0_4arch9wavefront6targetE0EEEvSO_.numbered_sgpr, 0
	.set _ZN7rocprim17ROCPRIM_400000_NS6detail17trampoline_kernelINS0_14default_configENS1_38merge_sort_block_merge_config_selectorIjN6thrust23THRUST_200600_302600_NS5tupleIffNS6_9null_typeES8_S8_S8_S8_S8_S8_S8_EEEEZZNS1_27merge_sort_block_merge_implIS3_NS6_6detail15normal_iteratorINS6_10device_ptrIjEEEENSD_INSE_IS9_EEEEjNS1_19radix_merge_compareILb0ELb0EjNS0_19identity_decomposerEEEEE10hipError_tT0_T1_T2_jT3_P12ihipStream_tbPNSt15iterator_traitsISN_E10value_typeEPNST_ISO_E10value_typeEPSP_NS1_7vsmem_tEENKUlT_SN_SO_SP_E_clIPjSG_PS9_SI_EESM_S12_SN_SO_SP_EUlS12_E_NS1_11comp_targetILNS1_3genE3ELNS1_11target_archE908ELNS1_3gpuE7ELNS1_3repE0EEENS1_48merge_mergepath_partition_config_static_selectorELNS0_4arch9wavefront6targetE0EEEvSO_.num_named_barrier, 0
	.set _ZN7rocprim17ROCPRIM_400000_NS6detail17trampoline_kernelINS0_14default_configENS1_38merge_sort_block_merge_config_selectorIjN6thrust23THRUST_200600_302600_NS5tupleIffNS6_9null_typeES8_S8_S8_S8_S8_S8_S8_EEEEZZNS1_27merge_sort_block_merge_implIS3_NS6_6detail15normal_iteratorINS6_10device_ptrIjEEEENSD_INSE_IS9_EEEEjNS1_19radix_merge_compareILb0ELb0EjNS0_19identity_decomposerEEEEE10hipError_tT0_T1_T2_jT3_P12ihipStream_tbPNSt15iterator_traitsISN_E10value_typeEPNST_ISO_E10value_typeEPSP_NS1_7vsmem_tEENKUlT_SN_SO_SP_E_clIPjSG_PS9_SI_EESM_S12_SN_SO_SP_EUlS12_E_NS1_11comp_targetILNS1_3genE3ELNS1_11target_archE908ELNS1_3gpuE7ELNS1_3repE0EEENS1_48merge_mergepath_partition_config_static_selectorELNS0_4arch9wavefront6targetE0EEEvSO_.private_seg_size, 0
	.set _ZN7rocprim17ROCPRIM_400000_NS6detail17trampoline_kernelINS0_14default_configENS1_38merge_sort_block_merge_config_selectorIjN6thrust23THRUST_200600_302600_NS5tupleIffNS6_9null_typeES8_S8_S8_S8_S8_S8_S8_EEEEZZNS1_27merge_sort_block_merge_implIS3_NS6_6detail15normal_iteratorINS6_10device_ptrIjEEEENSD_INSE_IS9_EEEEjNS1_19radix_merge_compareILb0ELb0EjNS0_19identity_decomposerEEEEE10hipError_tT0_T1_T2_jT3_P12ihipStream_tbPNSt15iterator_traitsISN_E10value_typeEPNST_ISO_E10value_typeEPSP_NS1_7vsmem_tEENKUlT_SN_SO_SP_E_clIPjSG_PS9_SI_EESM_S12_SN_SO_SP_EUlS12_E_NS1_11comp_targetILNS1_3genE3ELNS1_11target_archE908ELNS1_3gpuE7ELNS1_3repE0EEENS1_48merge_mergepath_partition_config_static_selectorELNS0_4arch9wavefront6targetE0EEEvSO_.uses_vcc, 0
	.set _ZN7rocprim17ROCPRIM_400000_NS6detail17trampoline_kernelINS0_14default_configENS1_38merge_sort_block_merge_config_selectorIjN6thrust23THRUST_200600_302600_NS5tupleIffNS6_9null_typeES8_S8_S8_S8_S8_S8_S8_EEEEZZNS1_27merge_sort_block_merge_implIS3_NS6_6detail15normal_iteratorINS6_10device_ptrIjEEEENSD_INSE_IS9_EEEEjNS1_19radix_merge_compareILb0ELb0EjNS0_19identity_decomposerEEEEE10hipError_tT0_T1_T2_jT3_P12ihipStream_tbPNSt15iterator_traitsISN_E10value_typeEPNST_ISO_E10value_typeEPSP_NS1_7vsmem_tEENKUlT_SN_SO_SP_E_clIPjSG_PS9_SI_EESM_S12_SN_SO_SP_EUlS12_E_NS1_11comp_targetILNS1_3genE3ELNS1_11target_archE908ELNS1_3gpuE7ELNS1_3repE0EEENS1_48merge_mergepath_partition_config_static_selectorELNS0_4arch9wavefront6targetE0EEEvSO_.uses_flat_scratch, 0
	.set _ZN7rocprim17ROCPRIM_400000_NS6detail17trampoline_kernelINS0_14default_configENS1_38merge_sort_block_merge_config_selectorIjN6thrust23THRUST_200600_302600_NS5tupleIffNS6_9null_typeES8_S8_S8_S8_S8_S8_S8_EEEEZZNS1_27merge_sort_block_merge_implIS3_NS6_6detail15normal_iteratorINS6_10device_ptrIjEEEENSD_INSE_IS9_EEEEjNS1_19radix_merge_compareILb0ELb0EjNS0_19identity_decomposerEEEEE10hipError_tT0_T1_T2_jT3_P12ihipStream_tbPNSt15iterator_traitsISN_E10value_typeEPNST_ISO_E10value_typeEPSP_NS1_7vsmem_tEENKUlT_SN_SO_SP_E_clIPjSG_PS9_SI_EESM_S12_SN_SO_SP_EUlS12_E_NS1_11comp_targetILNS1_3genE3ELNS1_11target_archE908ELNS1_3gpuE7ELNS1_3repE0EEENS1_48merge_mergepath_partition_config_static_selectorELNS0_4arch9wavefront6targetE0EEEvSO_.has_dyn_sized_stack, 0
	.set _ZN7rocprim17ROCPRIM_400000_NS6detail17trampoline_kernelINS0_14default_configENS1_38merge_sort_block_merge_config_selectorIjN6thrust23THRUST_200600_302600_NS5tupleIffNS6_9null_typeES8_S8_S8_S8_S8_S8_S8_EEEEZZNS1_27merge_sort_block_merge_implIS3_NS6_6detail15normal_iteratorINS6_10device_ptrIjEEEENSD_INSE_IS9_EEEEjNS1_19radix_merge_compareILb0ELb0EjNS0_19identity_decomposerEEEEE10hipError_tT0_T1_T2_jT3_P12ihipStream_tbPNSt15iterator_traitsISN_E10value_typeEPNST_ISO_E10value_typeEPSP_NS1_7vsmem_tEENKUlT_SN_SO_SP_E_clIPjSG_PS9_SI_EESM_S12_SN_SO_SP_EUlS12_E_NS1_11comp_targetILNS1_3genE3ELNS1_11target_archE908ELNS1_3gpuE7ELNS1_3repE0EEENS1_48merge_mergepath_partition_config_static_selectorELNS0_4arch9wavefront6targetE0EEEvSO_.has_recursion, 0
	.set _ZN7rocprim17ROCPRIM_400000_NS6detail17trampoline_kernelINS0_14default_configENS1_38merge_sort_block_merge_config_selectorIjN6thrust23THRUST_200600_302600_NS5tupleIffNS6_9null_typeES8_S8_S8_S8_S8_S8_S8_EEEEZZNS1_27merge_sort_block_merge_implIS3_NS6_6detail15normal_iteratorINS6_10device_ptrIjEEEENSD_INSE_IS9_EEEEjNS1_19radix_merge_compareILb0ELb0EjNS0_19identity_decomposerEEEEE10hipError_tT0_T1_T2_jT3_P12ihipStream_tbPNSt15iterator_traitsISN_E10value_typeEPNST_ISO_E10value_typeEPSP_NS1_7vsmem_tEENKUlT_SN_SO_SP_E_clIPjSG_PS9_SI_EESM_S12_SN_SO_SP_EUlS12_E_NS1_11comp_targetILNS1_3genE3ELNS1_11target_archE908ELNS1_3gpuE7ELNS1_3repE0EEENS1_48merge_mergepath_partition_config_static_selectorELNS0_4arch9wavefront6targetE0EEEvSO_.has_indirect_call, 0
	.section	.AMDGPU.csdata,"",@progbits
; Kernel info:
; codeLenInByte = 0
; TotalNumSgprs: 0
; NumVgprs: 0
; ScratchSize: 0
; MemoryBound: 0
; FloatMode: 240
; IeeeMode: 1
; LDSByteSize: 0 bytes/workgroup (compile time only)
; SGPRBlocks: 0
; VGPRBlocks: 0
; NumSGPRsForWavesPerEU: 1
; NumVGPRsForWavesPerEU: 1
; NamedBarCnt: 0
; Occupancy: 16
; WaveLimiterHint : 0
; COMPUTE_PGM_RSRC2:SCRATCH_EN: 0
; COMPUTE_PGM_RSRC2:USER_SGPR: 2
; COMPUTE_PGM_RSRC2:TRAP_HANDLER: 0
; COMPUTE_PGM_RSRC2:TGID_X_EN: 1
; COMPUTE_PGM_RSRC2:TGID_Y_EN: 0
; COMPUTE_PGM_RSRC2:TGID_Z_EN: 0
; COMPUTE_PGM_RSRC2:TIDIG_COMP_CNT: 0
	.section	.text._ZN7rocprim17ROCPRIM_400000_NS6detail17trampoline_kernelINS0_14default_configENS1_38merge_sort_block_merge_config_selectorIjN6thrust23THRUST_200600_302600_NS5tupleIffNS6_9null_typeES8_S8_S8_S8_S8_S8_S8_EEEEZZNS1_27merge_sort_block_merge_implIS3_NS6_6detail15normal_iteratorINS6_10device_ptrIjEEEENSD_INSE_IS9_EEEEjNS1_19radix_merge_compareILb0ELb0EjNS0_19identity_decomposerEEEEE10hipError_tT0_T1_T2_jT3_P12ihipStream_tbPNSt15iterator_traitsISN_E10value_typeEPNST_ISO_E10value_typeEPSP_NS1_7vsmem_tEENKUlT_SN_SO_SP_E_clIPjSG_PS9_SI_EESM_S12_SN_SO_SP_EUlS12_E_NS1_11comp_targetILNS1_3genE2ELNS1_11target_archE906ELNS1_3gpuE6ELNS1_3repE0EEENS1_48merge_mergepath_partition_config_static_selectorELNS0_4arch9wavefront6targetE0EEEvSO_,"axG",@progbits,_ZN7rocprim17ROCPRIM_400000_NS6detail17trampoline_kernelINS0_14default_configENS1_38merge_sort_block_merge_config_selectorIjN6thrust23THRUST_200600_302600_NS5tupleIffNS6_9null_typeES8_S8_S8_S8_S8_S8_S8_EEEEZZNS1_27merge_sort_block_merge_implIS3_NS6_6detail15normal_iteratorINS6_10device_ptrIjEEEENSD_INSE_IS9_EEEEjNS1_19radix_merge_compareILb0ELb0EjNS0_19identity_decomposerEEEEE10hipError_tT0_T1_T2_jT3_P12ihipStream_tbPNSt15iterator_traitsISN_E10value_typeEPNST_ISO_E10value_typeEPSP_NS1_7vsmem_tEENKUlT_SN_SO_SP_E_clIPjSG_PS9_SI_EESM_S12_SN_SO_SP_EUlS12_E_NS1_11comp_targetILNS1_3genE2ELNS1_11target_archE906ELNS1_3gpuE6ELNS1_3repE0EEENS1_48merge_mergepath_partition_config_static_selectorELNS0_4arch9wavefront6targetE0EEEvSO_,comdat
	.protected	_ZN7rocprim17ROCPRIM_400000_NS6detail17trampoline_kernelINS0_14default_configENS1_38merge_sort_block_merge_config_selectorIjN6thrust23THRUST_200600_302600_NS5tupleIffNS6_9null_typeES8_S8_S8_S8_S8_S8_S8_EEEEZZNS1_27merge_sort_block_merge_implIS3_NS6_6detail15normal_iteratorINS6_10device_ptrIjEEEENSD_INSE_IS9_EEEEjNS1_19radix_merge_compareILb0ELb0EjNS0_19identity_decomposerEEEEE10hipError_tT0_T1_T2_jT3_P12ihipStream_tbPNSt15iterator_traitsISN_E10value_typeEPNST_ISO_E10value_typeEPSP_NS1_7vsmem_tEENKUlT_SN_SO_SP_E_clIPjSG_PS9_SI_EESM_S12_SN_SO_SP_EUlS12_E_NS1_11comp_targetILNS1_3genE2ELNS1_11target_archE906ELNS1_3gpuE6ELNS1_3repE0EEENS1_48merge_mergepath_partition_config_static_selectorELNS0_4arch9wavefront6targetE0EEEvSO_ ; -- Begin function _ZN7rocprim17ROCPRIM_400000_NS6detail17trampoline_kernelINS0_14default_configENS1_38merge_sort_block_merge_config_selectorIjN6thrust23THRUST_200600_302600_NS5tupleIffNS6_9null_typeES8_S8_S8_S8_S8_S8_S8_EEEEZZNS1_27merge_sort_block_merge_implIS3_NS6_6detail15normal_iteratorINS6_10device_ptrIjEEEENSD_INSE_IS9_EEEEjNS1_19radix_merge_compareILb0ELb0EjNS0_19identity_decomposerEEEEE10hipError_tT0_T1_T2_jT3_P12ihipStream_tbPNSt15iterator_traitsISN_E10value_typeEPNST_ISO_E10value_typeEPSP_NS1_7vsmem_tEENKUlT_SN_SO_SP_E_clIPjSG_PS9_SI_EESM_S12_SN_SO_SP_EUlS12_E_NS1_11comp_targetILNS1_3genE2ELNS1_11target_archE906ELNS1_3gpuE6ELNS1_3repE0EEENS1_48merge_mergepath_partition_config_static_selectorELNS0_4arch9wavefront6targetE0EEEvSO_
	.globl	_ZN7rocprim17ROCPRIM_400000_NS6detail17trampoline_kernelINS0_14default_configENS1_38merge_sort_block_merge_config_selectorIjN6thrust23THRUST_200600_302600_NS5tupleIffNS6_9null_typeES8_S8_S8_S8_S8_S8_S8_EEEEZZNS1_27merge_sort_block_merge_implIS3_NS6_6detail15normal_iteratorINS6_10device_ptrIjEEEENSD_INSE_IS9_EEEEjNS1_19radix_merge_compareILb0ELb0EjNS0_19identity_decomposerEEEEE10hipError_tT0_T1_T2_jT3_P12ihipStream_tbPNSt15iterator_traitsISN_E10value_typeEPNST_ISO_E10value_typeEPSP_NS1_7vsmem_tEENKUlT_SN_SO_SP_E_clIPjSG_PS9_SI_EESM_S12_SN_SO_SP_EUlS12_E_NS1_11comp_targetILNS1_3genE2ELNS1_11target_archE906ELNS1_3gpuE6ELNS1_3repE0EEENS1_48merge_mergepath_partition_config_static_selectorELNS0_4arch9wavefront6targetE0EEEvSO_
	.p2align	8
	.type	_ZN7rocprim17ROCPRIM_400000_NS6detail17trampoline_kernelINS0_14default_configENS1_38merge_sort_block_merge_config_selectorIjN6thrust23THRUST_200600_302600_NS5tupleIffNS6_9null_typeES8_S8_S8_S8_S8_S8_S8_EEEEZZNS1_27merge_sort_block_merge_implIS3_NS6_6detail15normal_iteratorINS6_10device_ptrIjEEEENSD_INSE_IS9_EEEEjNS1_19radix_merge_compareILb0ELb0EjNS0_19identity_decomposerEEEEE10hipError_tT0_T1_T2_jT3_P12ihipStream_tbPNSt15iterator_traitsISN_E10value_typeEPNST_ISO_E10value_typeEPSP_NS1_7vsmem_tEENKUlT_SN_SO_SP_E_clIPjSG_PS9_SI_EESM_S12_SN_SO_SP_EUlS12_E_NS1_11comp_targetILNS1_3genE2ELNS1_11target_archE906ELNS1_3gpuE6ELNS1_3repE0EEENS1_48merge_mergepath_partition_config_static_selectorELNS0_4arch9wavefront6targetE0EEEvSO_,@function
_ZN7rocprim17ROCPRIM_400000_NS6detail17trampoline_kernelINS0_14default_configENS1_38merge_sort_block_merge_config_selectorIjN6thrust23THRUST_200600_302600_NS5tupleIffNS6_9null_typeES8_S8_S8_S8_S8_S8_S8_EEEEZZNS1_27merge_sort_block_merge_implIS3_NS6_6detail15normal_iteratorINS6_10device_ptrIjEEEENSD_INSE_IS9_EEEEjNS1_19radix_merge_compareILb0ELb0EjNS0_19identity_decomposerEEEEE10hipError_tT0_T1_T2_jT3_P12ihipStream_tbPNSt15iterator_traitsISN_E10value_typeEPNST_ISO_E10value_typeEPSP_NS1_7vsmem_tEENKUlT_SN_SO_SP_E_clIPjSG_PS9_SI_EESM_S12_SN_SO_SP_EUlS12_E_NS1_11comp_targetILNS1_3genE2ELNS1_11target_archE906ELNS1_3gpuE6ELNS1_3repE0EEENS1_48merge_mergepath_partition_config_static_selectorELNS0_4arch9wavefront6targetE0EEEvSO_: ; @_ZN7rocprim17ROCPRIM_400000_NS6detail17trampoline_kernelINS0_14default_configENS1_38merge_sort_block_merge_config_selectorIjN6thrust23THRUST_200600_302600_NS5tupleIffNS6_9null_typeES8_S8_S8_S8_S8_S8_S8_EEEEZZNS1_27merge_sort_block_merge_implIS3_NS6_6detail15normal_iteratorINS6_10device_ptrIjEEEENSD_INSE_IS9_EEEEjNS1_19radix_merge_compareILb0ELb0EjNS0_19identity_decomposerEEEEE10hipError_tT0_T1_T2_jT3_P12ihipStream_tbPNSt15iterator_traitsISN_E10value_typeEPNST_ISO_E10value_typeEPSP_NS1_7vsmem_tEENKUlT_SN_SO_SP_E_clIPjSG_PS9_SI_EESM_S12_SN_SO_SP_EUlS12_E_NS1_11comp_targetILNS1_3genE2ELNS1_11target_archE906ELNS1_3gpuE6ELNS1_3repE0EEENS1_48merge_mergepath_partition_config_static_selectorELNS0_4arch9wavefront6targetE0EEEvSO_
; %bb.0:
	.section	.rodata,"a",@progbits
	.p2align	6, 0x0
	.amdhsa_kernel _ZN7rocprim17ROCPRIM_400000_NS6detail17trampoline_kernelINS0_14default_configENS1_38merge_sort_block_merge_config_selectorIjN6thrust23THRUST_200600_302600_NS5tupleIffNS6_9null_typeES8_S8_S8_S8_S8_S8_S8_EEEEZZNS1_27merge_sort_block_merge_implIS3_NS6_6detail15normal_iteratorINS6_10device_ptrIjEEEENSD_INSE_IS9_EEEEjNS1_19radix_merge_compareILb0ELb0EjNS0_19identity_decomposerEEEEE10hipError_tT0_T1_T2_jT3_P12ihipStream_tbPNSt15iterator_traitsISN_E10value_typeEPNST_ISO_E10value_typeEPSP_NS1_7vsmem_tEENKUlT_SN_SO_SP_E_clIPjSG_PS9_SI_EESM_S12_SN_SO_SP_EUlS12_E_NS1_11comp_targetILNS1_3genE2ELNS1_11target_archE906ELNS1_3gpuE6ELNS1_3repE0EEENS1_48merge_mergepath_partition_config_static_selectorELNS0_4arch9wavefront6targetE0EEEvSO_
		.amdhsa_group_segment_fixed_size 0
		.amdhsa_private_segment_fixed_size 0
		.amdhsa_kernarg_size 40
		.amdhsa_user_sgpr_count 2
		.amdhsa_user_sgpr_dispatch_ptr 0
		.amdhsa_user_sgpr_queue_ptr 0
		.amdhsa_user_sgpr_kernarg_segment_ptr 1
		.amdhsa_user_sgpr_dispatch_id 0
		.amdhsa_user_sgpr_kernarg_preload_length 0
		.amdhsa_user_sgpr_kernarg_preload_offset 0
		.amdhsa_user_sgpr_private_segment_size 0
		.amdhsa_wavefront_size32 1
		.amdhsa_uses_dynamic_stack 0
		.amdhsa_enable_private_segment 0
		.amdhsa_system_sgpr_workgroup_id_x 1
		.amdhsa_system_sgpr_workgroup_id_y 0
		.amdhsa_system_sgpr_workgroup_id_z 0
		.amdhsa_system_sgpr_workgroup_info 0
		.amdhsa_system_vgpr_workitem_id 0
		.amdhsa_next_free_vgpr 1
		.amdhsa_next_free_sgpr 1
		.amdhsa_named_barrier_count 0
		.amdhsa_reserve_vcc 0
		.amdhsa_float_round_mode_32 0
		.amdhsa_float_round_mode_16_64 0
		.amdhsa_float_denorm_mode_32 3
		.amdhsa_float_denorm_mode_16_64 3
		.amdhsa_fp16_overflow 0
		.amdhsa_memory_ordered 1
		.amdhsa_forward_progress 1
		.amdhsa_inst_pref_size 0
		.amdhsa_round_robin_scheduling 0
		.amdhsa_exception_fp_ieee_invalid_op 0
		.amdhsa_exception_fp_denorm_src 0
		.amdhsa_exception_fp_ieee_div_zero 0
		.amdhsa_exception_fp_ieee_overflow 0
		.amdhsa_exception_fp_ieee_underflow 0
		.amdhsa_exception_fp_ieee_inexact 0
		.amdhsa_exception_int_div_zero 0
	.end_amdhsa_kernel
	.section	.text._ZN7rocprim17ROCPRIM_400000_NS6detail17trampoline_kernelINS0_14default_configENS1_38merge_sort_block_merge_config_selectorIjN6thrust23THRUST_200600_302600_NS5tupleIffNS6_9null_typeES8_S8_S8_S8_S8_S8_S8_EEEEZZNS1_27merge_sort_block_merge_implIS3_NS6_6detail15normal_iteratorINS6_10device_ptrIjEEEENSD_INSE_IS9_EEEEjNS1_19radix_merge_compareILb0ELb0EjNS0_19identity_decomposerEEEEE10hipError_tT0_T1_T2_jT3_P12ihipStream_tbPNSt15iterator_traitsISN_E10value_typeEPNST_ISO_E10value_typeEPSP_NS1_7vsmem_tEENKUlT_SN_SO_SP_E_clIPjSG_PS9_SI_EESM_S12_SN_SO_SP_EUlS12_E_NS1_11comp_targetILNS1_3genE2ELNS1_11target_archE906ELNS1_3gpuE6ELNS1_3repE0EEENS1_48merge_mergepath_partition_config_static_selectorELNS0_4arch9wavefront6targetE0EEEvSO_,"axG",@progbits,_ZN7rocprim17ROCPRIM_400000_NS6detail17trampoline_kernelINS0_14default_configENS1_38merge_sort_block_merge_config_selectorIjN6thrust23THRUST_200600_302600_NS5tupleIffNS6_9null_typeES8_S8_S8_S8_S8_S8_S8_EEEEZZNS1_27merge_sort_block_merge_implIS3_NS6_6detail15normal_iteratorINS6_10device_ptrIjEEEENSD_INSE_IS9_EEEEjNS1_19radix_merge_compareILb0ELb0EjNS0_19identity_decomposerEEEEE10hipError_tT0_T1_T2_jT3_P12ihipStream_tbPNSt15iterator_traitsISN_E10value_typeEPNST_ISO_E10value_typeEPSP_NS1_7vsmem_tEENKUlT_SN_SO_SP_E_clIPjSG_PS9_SI_EESM_S12_SN_SO_SP_EUlS12_E_NS1_11comp_targetILNS1_3genE2ELNS1_11target_archE906ELNS1_3gpuE6ELNS1_3repE0EEENS1_48merge_mergepath_partition_config_static_selectorELNS0_4arch9wavefront6targetE0EEEvSO_,comdat
.Lfunc_end30:
	.size	_ZN7rocprim17ROCPRIM_400000_NS6detail17trampoline_kernelINS0_14default_configENS1_38merge_sort_block_merge_config_selectorIjN6thrust23THRUST_200600_302600_NS5tupleIffNS6_9null_typeES8_S8_S8_S8_S8_S8_S8_EEEEZZNS1_27merge_sort_block_merge_implIS3_NS6_6detail15normal_iteratorINS6_10device_ptrIjEEEENSD_INSE_IS9_EEEEjNS1_19radix_merge_compareILb0ELb0EjNS0_19identity_decomposerEEEEE10hipError_tT0_T1_T2_jT3_P12ihipStream_tbPNSt15iterator_traitsISN_E10value_typeEPNST_ISO_E10value_typeEPSP_NS1_7vsmem_tEENKUlT_SN_SO_SP_E_clIPjSG_PS9_SI_EESM_S12_SN_SO_SP_EUlS12_E_NS1_11comp_targetILNS1_3genE2ELNS1_11target_archE906ELNS1_3gpuE6ELNS1_3repE0EEENS1_48merge_mergepath_partition_config_static_selectorELNS0_4arch9wavefront6targetE0EEEvSO_, .Lfunc_end30-_ZN7rocprim17ROCPRIM_400000_NS6detail17trampoline_kernelINS0_14default_configENS1_38merge_sort_block_merge_config_selectorIjN6thrust23THRUST_200600_302600_NS5tupleIffNS6_9null_typeES8_S8_S8_S8_S8_S8_S8_EEEEZZNS1_27merge_sort_block_merge_implIS3_NS6_6detail15normal_iteratorINS6_10device_ptrIjEEEENSD_INSE_IS9_EEEEjNS1_19radix_merge_compareILb0ELb0EjNS0_19identity_decomposerEEEEE10hipError_tT0_T1_T2_jT3_P12ihipStream_tbPNSt15iterator_traitsISN_E10value_typeEPNST_ISO_E10value_typeEPSP_NS1_7vsmem_tEENKUlT_SN_SO_SP_E_clIPjSG_PS9_SI_EESM_S12_SN_SO_SP_EUlS12_E_NS1_11comp_targetILNS1_3genE2ELNS1_11target_archE906ELNS1_3gpuE6ELNS1_3repE0EEENS1_48merge_mergepath_partition_config_static_selectorELNS0_4arch9wavefront6targetE0EEEvSO_
                                        ; -- End function
	.set _ZN7rocprim17ROCPRIM_400000_NS6detail17trampoline_kernelINS0_14default_configENS1_38merge_sort_block_merge_config_selectorIjN6thrust23THRUST_200600_302600_NS5tupleIffNS6_9null_typeES8_S8_S8_S8_S8_S8_S8_EEEEZZNS1_27merge_sort_block_merge_implIS3_NS6_6detail15normal_iteratorINS6_10device_ptrIjEEEENSD_INSE_IS9_EEEEjNS1_19radix_merge_compareILb0ELb0EjNS0_19identity_decomposerEEEEE10hipError_tT0_T1_T2_jT3_P12ihipStream_tbPNSt15iterator_traitsISN_E10value_typeEPNST_ISO_E10value_typeEPSP_NS1_7vsmem_tEENKUlT_SN_SO_SP_E_clIPjSG_PS9_SI_EESM_S12_SN_SO_SP_EUlS12_E_NS1_11comp_targetILNS1_3genE2ELNS1_11target_archE906ELNS1_3gpuE6ELNS1_3repE0EEENS1_48merge_mergepath_partition_config_static_selectorELNS0_4arch9wavefront6targetE0EEEvSO_.num_vgpr, 0
	.set _ZN7rocprim17ROCPRIM_400000_NS6detail17trampoline_kernelINS0_14default_configENS1_38merge_sort_block_merge_config_selectorIjN6thrust23THRUST_200600_302600_NS5tupleIffNS6_9null_typeES8_S8_S8_S8_S8_S8_S8_EEEEZZNS1_27merge_sort_block_merge_implIS3_NS6_6detail15normal_iteratorINS6_10device_ptrIjEEEENSD_INSE_IS9_EEEEjNS1_19radix_merge_compareILb0ELb0EjNS0_19identity_decomposerEEEEE10hipError_tT0_T1_T2_jT3_P12ihipStream_tbPNSt15iterator_traitsISN_E10value_typeEPNST_ISO_E10value_typeEPSP_NS1_7vsmem_tEENKUlT_SN_SO_SP_E_clIPjSG_PS9_SI_EESM_S12_SN_SO_SP_EUlS12_E_NS1_11comp_targetILNS1_3genE2ELNS1_11target_archE906ELNS1_3gpuE6ELNS1_3repE0EEENS1_48merge_mergepath_partition_config_static_selectorELNS0_4arch9wavefront6targetE0EEEvSO_.num_agpr, 0
	.set _ZN7rocprim17ROCPRIM_400000_NS6detail17trampoline_kernelINS0_14default_configENS1_38merge_sort_block_merge_config_selectorIjN6thrust23THRUST_200600_302600_NS5tupleIffNS6_9null_typeES8_S8_S8_S8_S8_S8_S8_EEEEZZNS1_27merge_sort_block_merge_implIS3_NS6_6detail15normal_iteratorINS6_10device_ptrIjEEEENSD_INSE_IS9_EEEEjNS1_19radix_merge_compareILb0ELb0EjNS0_19identity_decomposerEEEEE10hipError_tT0_T1_T2_jT3_P12ihipStream_tbPNSt15iterator_traitsISN_E10value_typeEPNST_ISO_E10value_typeEPSP_NS1_7vsmem_tEENKUlT_SN_SO_SP_E_clIPjSG_PS9_SI_EESM_S12_SN_SO_SP_EUlS12_E_NS1_11comp_targetILNS1_3genE2ELNS1_11target_archE906ELNS1_3gpuE6ELNS1_3repE0EEENS1_48merge_mergepath_partition_config_static_selectorELNS0_4arch9wavefront6targetE0EEEvSO_.numbered_sgpr, 0
	.set _ZN7rocprim17ROCPRIM_400000_NS6detail17trampoline_kernelINS0_14default_configENS1_38merge_sort_block_merge_config_selectorIjN6thrust23THRUST_200600_302600_NS5tupleIffNS6_9null_typeES8_S8_S8_S8_S8_S8_S8_EEEEZZNS1_27merge_sort_block_merge_implIS3_NS6_6detail15normal_iteratorINS6_10device_ptrIjEEEENSD_INSE_IS9_EEEEjNS1_19radix_merge_compareILb0ELb0EjNS0_19identity_decomposerEEEEE10hipError_tT0_T1_T2_jT3_P12ihipStream_tbPNSt15iterator_traitsISN_E10value_typeEPNST_ISO_E10value_typeEPSP_NS1_7vsmem_tEENKUlT_SN_SO_SP_E_clIPjSG_PS9_SI_EESM_S12_SN_SO_SP_EUlS12_E_NS1_11comp_targetILNS1_3genE2ELNS1_11target_archE906ELNS1_3gpuE6ELNS1_3repE0EEENS1_48merge_mergepath_partition_config_static_selectorELNS0_4arch9wavefront6targetE0EEEvSO_.num_named_barrier, 0
	.set _ZN7rocprim17ROCPRIM_400000_NS6detail17trampoline_kernelINS0_14default_configENS1_38merge_sort_block_merge_config_selectorIjN6thrust23THRUST_200600_302600_NS5tupleIffNS6_9null_typeES8_S8_S8_S8_S8_S8_S8_EEEEZZNS1_27merge_sort_block_merge_implIS3_NS6_6detail15normal_iteratorINS6_10device_ptrIjEEEENSD_INSE_IS9_EEEEjNS1_19radix_merge_compareILb0ELb0EjNS0_19identity_decomposerEEEEE10hipError_tT0_T1_T2_jT3_P12ihipStream_tbPNSt15iterator_traitsISN_E10value_typeEPNST_ISO_E10value_typeEPSP_NS1_7vsmem_tEENKUlT_SN_SO_SP_E_clIPjSG_PS9_SI_EESM_S12_SN_SO_SP_EUlS12_E_NS1_11comp_targetILNS1_3genE2ELNS1_11target_archE906ELNS1_3gpuE6ELNS1_3repE0EEENS1_48merge_mergepath_partition_config_static_selectorELNS0_4arch9wavefront6targetE0EEEvSO_.private_seg_size, 0
	.set _ZN7rocprim17ROCPRIM_400000_NS6detail17trampoline_kernelINS0_14default_configENS1_38merge_sort_block_merge_config_selectorIjN6thrust23THRUST_200600_302600_NS5tupleIffNS6_9null_typeES8_S8_S8_S8_S8_S8_S8_EEEEZZNS1_27merge_sort_block_merge_implIS3_NS6_6detail15normal_iteratorINS6_10device_ptrIjEEEENSD_INSE_IS9_EEEEjNS1_19radix_merge_compareILb0ELb0EjNS0_19identity_decomposerEEEEE10hipError_tT0_T1_T2_jT3_P12ihipStream_tbPNSt15iterator_traitsISN_E10value_typeEPNST_ISO_E10value_typeEPSP_NS1_7vsmem_tEENKUlT_SN_SO_SP_E_clIPjSG_PS9_SI_EESM_S12_SN_SO_SP_EUlS12_E_NS1_11comp_targetILNS1_3genE2ELNS1_11target_archE906ELNS1_3gpuE6ELNS1_3repE0EEENS1_48merge_mergepath_partition_config_static_selectorELNS0_4arch9wavefront6targetE0EEEvSO_.uses_vcc, 0
	.set _ZN7rocprim17ROCPRIM_400000_NS6detail17trampoline_kernelINS0_14default_configENS1_38merge_sort_block_merge_config_selectorIjN6thrust23THRUST_200600_302600_NS5tupleIffNS6_9null_typeES8_S8_S8_S8_S8_S8_S8_EEEEZZNS1_27merge_sort_block_merge_implIS3_NS6_6detail15normal_iteratorINS6_10device_ptrIjEEEENSD_INSE_IS9_EEEEjNS1_19radix_merge_compareILb0ELb0EjNS0_19identity_decomposerEEEEE10hipError_tT0_T1_T2_jT3_P12ihipStream_tbPNSt15iterator_traitsISN_E10value_typeEPNST_ISO_E10value_typeEPSP_NS1_7vsmem_tEENKUlT_SN_SO_SP_E_clIPjSG_PS9_SI_EESM_S12_SN_SO_SP_EUlS12_E_NS1_11comp_targetILNS1_3genE2ELNS1_11target_archE906ELNS1_3gpuE6ELNS1_3repE0EEENS1_48merge_mergepath_partition_config_static_selectorELNS0_4arch9wavefront6targetE0EEEvSO_.uses_flat_scratch, 0
	.set _ZN7rocprim17ROCPRIM_400000_NS6detail17trampoline_kernelINS0_14default_configENS1_38merge_sort_block_merge_config_selectorIjN6thrust23THRUST_200600_302600_NS5tupleIffNS6_9null_typeES8_S8_S8_S8_S8_S8_S8_EEEEZZNS1_27merge_sort_block_merge_implIS3_NS6_6detail15normal_iteratorINS6_10device_ptrIjEEEENSD_INSE_IS9_EEEEjNS1_19radix_merge_compareILb0ELb0EjNS0_19identity_decomposerEEEEE10hipError_tT0_T1_T2_jT3_P12ihipStream_tbPNSt15iterator_traitsISN_E10value_typeEPNST_ISO_E10value_typeEPSP_NS1_7vsmem_tEENKUlT_SN_SO_SP_E_clIPjSG_PS9_SI_EESM_S12_SN_SO_SP_EUlS12_E_NS1_11comp_targetILNS1_3genE2ELNS1_11target_archE906ELNS1_3gpuE6ELNS1_3repE0EEENS1_48merge_mergepath_partition_config_static_selectorELNS0_4arch9wavefront6targetE0EEEvSO_.has_dyn_sized_stack, 0
	.set _ZN7rocprim17ROCPRIM_400000_NS6detail17trampoline_kernelINS0_14default_configENS1_38merge_sort_block_merge_config_selectorIjN6thrust23THRUST_200600_302600_NS5tupleIffNS6_9null_typeES8_S8_S8_S8_S8_S8_S8_EEEEZZNS1_27merge_sort_block_merge_implIS3_NS6_6detail15normal_iteratorINS6_10device_ptrIjEEEENSD_INSE_IS9_EEEEjNS1_19radix_merge_compareILb0ELb0EjNS0_19identity_decomposerEEEEE10hipError_tT0_T1_T2_jT3_P12ihipStream_tbPNSt15iterator_traitsISN_E10value_typeEPNST_ISO_E10value_typeEPSP_NS1_7vsmem_tEENKUlT_SN_SO_SP_E_clIPjSG_PS9_SI_EESM_S12_SN_SO_SP_EUlS12_E_NS1_11comp_targetILNS1_3genE2ELNS1_11target_archE906ELNS1_3gpuE6ELNS1_3repE0EEENS1_48merge_mergepath_partition_config_static_selectorELNS0_4arch9wavefront6targetE0EEEvSO_.has_recursion, 0
	.set _ZN7rocprim17ROCPRIM_400000_NS6detail17trampoline_kernelINS0_14default_configENS1_38merge_sort_block_merge_config_selectorIjN6thrust23THRUST_200600_302600_NS5tupleIffNS6_9null_typeES8_S8_S8_S8_S8_S8_S8_EEEEZZNS1_27merge_sort_block_merge_implIS3_NS6_6detail15normal_iteratorINS6_10device_ptrIjEEEENSD_INSE_IS9_EEEEjNS1_19radix_merge_compareILb0ELb0EjNS0_19identity_decomposerEEEEE10hipError_tT0_T1_T2_jT3_P12ihipStream_tbPNSt15iterator_traitsISN_E10value_typeEPNST_ISO_E10value_typeEPSP_NS1_7vsmem_tEENKUlT_SN_SO_SP_E_clIPjSG_PS9_SI_EESM_S12_SN_SO_SP_EUlS12_E_NS1_11comp_targetILNS1_3genE2ELNS1_11target_archE906ELNS1_3gpuE6ELNS1_3repE0EEENS1_48merge_mergepath_partition_config_static_selectorELNS0_4arch9wavefront6targetE0EEEvSO_.has_indirect_call, 0
	.section	.AMDGPU.csdata,"",@progbits
; Kernel info:
; codeLenInByte = 0
; TotalNumSgprs: 0
; NumVgprs: 0
; ScratchSize: 0
; MemoryBound: 0
; FloatMode: 240
; IeeeMode: 1
; LDSByteSize: 0 bytes/workgroup (compile time only)
; SGPRBlocks: 0
; VGPRBlocks: 0
; NumSGPRsForWavesPerEU: 1
; NumVGPRsForWavesPerEU: 1
; NamedBarCnt: 0
; Occupancy: 16
; WaveLimiterHint : 0
; COMPUTE_PGM_RSRC2:SCRATCH_EN: 0
; COMPUTE_PGM_RSRC2:USER_SGPR: 2
; COMPUTE_PGM_RSRC2:TRAP_HANDLER: 0
; COMPUTE_PGM_RSRC2:TGID_X_EN: 1
; COMPUTE_PGM_RSRC2:TGID_Y_EN: 0
; COMPUTE_PGM_RSRC2:TGID_Z_EN: 0
; COMPUTE_PGM_RSRC2:TIDIG_COMP_CNT: 0
	.section	.text._ZN7rocprim17ROCPRIM_400000_NS6detail17trampoline_kernelINS0_14default_configENS1_38merge_sort_block_merge_config_selectorIjN6thrust23THRUST_200600_302600_NS5tupleIffNS6_9null_typeES8_S8_S8_S8_S8_S8_S8_EEEEZZNS1_27merge_sort_block_merge_implIS3_NS6_6detail15normal_iteratorINS6_10device_ptrIjEEEENSD_INSE_IS9_EEEEjNS1_19radix_merge_compareILb0ELb0EjNS0_19identity_decomposerEEEEE10hipError_tT0_T1_T2_jT3_P12ihipStream_tbPNSt15iterator_traitsISN_E10value_typeEPNST_ISO_E10value_typeEPSP_NS1_7vsmem_tEENKUlT_SN_SO_SP_E_clIPjSG_PS9_SI_EESM_S12_SN_SO_SP_EUlS12_E_NS1_11comp_targetILNS1_3genE9ELNS1_11target_archE1100ELNS1_3gpuE3ELNS1_3repE0EEENS1_48merge_mergepath_partition_config_static_selectorELNS0_4arch9wavefront6targetE0EEEvSO_,"axG",@progbits,_ZN7rocprim17ROCPRIM_400000_NS6detail17trampoline_kernelINS0_14default_configENS1_38merge_sort_block_merge_config_selectorIjN6thrust23THRUST_200600_302600_NS5tupleIffNS6_9null_typeES8_S8_S8_S8_S8_S8_S8_EEEEZZNS1_27merge_sort_block_merge_implIS3_NS6_6detail15normal_iteratorINS6_10device_ptrIjEEEENSD_INSE_IS9_EEEEjNS1_19radix_merge_compareILb0ELb0EjNS0_19identity_decomposerEEEEE10hipError_tT0_T1_T2_jT3_P12ihipStream_tbPNSt15iterator_traitsISN_E10value_typeEPNST_ISO_E10value_typeEPSP_NS1_7vsmem_tEENKUlT_SN_SO_SP_E_clIPjSG_PS9_SI_EESM_S12_SN_SO_SP_EUlS12_E_NS1_11comp_targetILNS1_3genE9ELNS1_11target_archE1100ELNS1_3gpuE3ELNS1_3repE0EEENS1_48merge_mergepath_partition_config_static_selectorELNS0_4arch9wavefront6targetE0EEEvSO_,comdat
	.protected	_ZN7rocprim17ROCPRIM_400000_NS6detail17trampoline_kernelINS0_14default_configENS1_38merge_sort_block_merge_config_selectorIjN6thrust23THRUST_200600_302600_NS5tupleIffNS6_9null_typeES8_S8_S8_S8_S8_S8_S8_EEEEZZNS1_27merge_sort_block_merge_implIS3_NS6_6detail15normal_iteratorINS6_10device_ptrIjEEEENSD_INSE_IS9_EEEEjNS1_19radix_merge_compareILb0ELb0EjNS0_19identity_decomposerEEEEE10hipError_tT0_T1_T2_jT3_P12ihipStream_tbPNSt15iterator_traitsISN_E10value_typeEPNST_ISO_E10value_typeEPSP_NS1_7vsmem_tEENKUlT_SN_SO_SP_E_clIPjSG_PS9_SI_EESM_S12_SN_SO_SP_EUlS12_E_NS1_11comp_targetILNS1_3genE9ELNS1_11target_archE1100ELNS1_3gpuE3ELNS1_3repE0EEENS1_48merge_mergepath_partition_config_static_selectorELNS0_4arch9wavefront6targetE0EEEvSO_ ; -- Begin function _ZN7rocprim17ROCPRIM_400000_NS6detail17trampoline_kernelINS0_14default_configENS1_38merge_sort_block_merge_config_selectorIjN6thrust23THRUST_200600_302600_NS5tupleIffNS6_9null_typeES8_S8_S8_S8_S8_S8_S8_EEEEZZNS1_27merge_sort_block_merge_implIS3_NS6_6detail15normal_iteratorINS6_10device_ptrIjEEEENSD_INSE_IS9_EEEEjNS1_19radix_merge_compareILb0ELb0EjNS0_19identity_decomposerEEEEE10hipError_tT0_T1_T2_jT3_P12ihipStream_tbPNSt15iterator_traitsISN_E10value_typeEPNST_ISO_E10value_typeEPSP_NS1_7vsmem_tEENKUlT_SN_SO_SP_E_clIPjSG_PS9_SI_EESM_S12_SN_SO_SP_EUlS12_E_NS1_11comp_targetILNS1_3genE9ELNS1_11target_archE1100ELNS1_3gpuE3ELNS1_3repE0EEENS1_48merge_mergepath_partition_config_static_selectorELNS0_4arch9wavefront6targetE0EEEvSO_
	.globl	_ZN7rocprim17ROCPRIM_400000_NS6detail17trampoline_kernelINS0_14default_configENS1_38merge_sort_block_merge_config_selectorIjN6thrust23THRUST_200600_302600_NS5tupleIffNS6_9null_typeES8_S8_S8_S8_S8_S8_S8_EEEEZZNS1_27merge_sort_block_merge_implIS3_NS6_6detail15normal_iteratorINS6_10device_ptrIjEEEENSD_INSE_IS9_EEEEjNS1_19radix_merge_compareILb0ELb0EjNS0_19identity_decomposerEEEEE10hipError_tT0_T1_T2_jT3_P12ihipStream_tbPNSt15iterator_traitsISN_E10value_typeEPNST_ISO_E10value_typeEPSP_NS1_7vsmem_tEENKUlT_SN_SO_SP_E_clIPjSG_PS9_SI_EESM_S12_SN_SO_SP_EUlS12_E_NS1_11comp_targetILNS1_3genE9ELNS1_11target_archE1100ELNS1_3gpuE3ELNS1_3repE0EEENS1_48merge_mergepath_partition_config_static_selectorELNS0_4arch9wavefront6targetE0EEEvSO_
	.p2align	8
	.type	_ZN7rocprim17ROCPRIM_400000_NS6detail17trampoline_kernelINS0_14default_configENS1_38merge_sort_block_merge_config_selectorIjN6thrust23THRUST_200600_302600_NS5tupleIffNS6_9null_typeES8_S8_S8_S8_S8_S8_S8_EEEEZZNS1_27merge_sort_block_merge_implIS3_NS6_6detail15normal_iteratorINS6_10device_ptrIjEEEENSD_INSE_IS9_EEEEjNS1_19radix_merge_compareILb0ELb0EjNS0_19identity_decomposerEEEEE10hipError_tT0_T1_T2_jT3_P12ihipStream_tbPNSt15iterator_traitsISN_E10value_typeEPNST_ISO_E10value_typeEPSP_NS1_7vsmem_tEENKUlT_SN_SO_SP_E_clIPjSG_PS9_SI_EESM_S12_SN_SO_SP_EUlS12_E_NS1_11comp_targetILNS1_3genE9ELNS1_11target_archE1100ELNS1_3gpuE3ELNS1_3repE0EEENS1_48merge_mergepath_partition_config_static_selectorELNS0_4arch9wavefront6targetE0EEEvSO_,@function
_ZN7rocprim17ROCPRIM_400000_NS6detail17trampoline_kernelINS0_14default_configENS1_38merge_sort_block_merge_config_selectorIjN6thrust23THRUST_200600_302600_NS5tupleIffNS6_9null_typeES8_S8_S8_S8_S8_S8_S8_EEEEZZNS1_27merge_sort_block_merge_implIS3_NS6_6detail15normal_iteratorINS6_10device_ptrIjEEEENSD_INSE_IS9_EEEEjNS1_19radix_merge_compareILb0ELb0EjNS0_19identity_decomposerEEEEE10hipError_tT0_T1_T2_jT3_P12ihipStream_tbPNSt15iterator_traitsISN_E10value_typeEPNST_ISO_E10value_typeEPSP_NS1_7vsmem_tEENKUlT_SN_SO_SP_E_clIPjSG_PS9_SI_EESM_S12_SN_SO_SP_EUlS12_E_NS1_11comp_targetILNS1_3genE9ELNS1_11target_archE1100ELNS1_3gpuE3ELNS1_3repE0EEENS1_48merge_mergepath_partition_config_static_selectorELNS0_4arch9wavefront6targetE0EEEvSO_: ; @_ZN7rocprim17ROCPRIM_400000_NS6detail17trampoline_kernelINS0_14default_configENS1_38merge_sort_block_merge_config_selectorIjN6thrust23THRUST_200600_302600_NS5tupleIffNS6_9null_typeES8_S8_S8_S8_S8_S8_S8_EEEEZZNS1_27merge_sort_block_merge_implIS3_NS6_6detail15normal_iteratorINS6_10device_ptrIjEEEENSD_INSE_IS9_EEEEjNS1_19radix_merge_compareILb0ELb0EjNS0_19identity_decomposerEEEEE10hipError_tT0_T1_T2_jT3_P12ihipStream_tbPNSt15iterator_traitsISN_E10value_typeEPNST_ISO_E10value_typeEPSP_NS1_7vsmem_tEENKUlT_SN_SO_SP_E_clIPjSG_PS9_SI_EESM_S12_SN_SO_SP_EUlS12_E_NS1_11comp_targetILNS1_3genE9ELNS1_11target_archE1100ELNS1_3gpuE3ELNS1_3repE0EEENS1_48merge_mergepath_partition_config_static_selectorELNS0_4arch9wavefront6targetE0EEEvSO_
; %bb.0:
	.section	.rodata,"a",@progbits
	.p2align	6, 0x0
	.amdhsa_kernel _ZN7rocprim17ROCPRIM_400000_NS6detail17trampoline_kernelINS0_14default_configENS1_38merge_sort_block_merge_config_selectorIjN6thrust23THRUST_200600_302600_NS5tupleIffNS6_9null_typeES8_S8_S8_S8_S8_S8_S8_EEEEZZNS1_27merge_sort_block_merge_implIS3_NS6_6detail15normal_iteratorINS6_10device_ptrIjEEEENSD_INSE_IS9_EEEEjNS1_19radix_merge_compareILb0ELb0EjNS0_19identity_decomposerEEEEE10hipError_tT0_T1_T2_jT3_P12ihipStream_tbPNSt15iterator_traitsISN_E10value_typeEPNST_ISO_E10value_typeEPSP_NS1_7vsmem_tEENKUlT_SN_SO_SP_E_clIPjSG_PS9_SI_EESM_S12_SN_SO_SP_EUlS12_E_NS1_11comp_targetILNS1_3genE9ELNS1_11target_archE1100ELNS1_3gpuE3ELNS1_3repE0EEENS1_48merge_mergepath_partition_config_static_selectorELNS0_4arch9wavefront6targetE0EEEvSO_
		.amdhsa_group_segment_fixed_size 0
		.amdhsa_private_segment_fixed_size 0
		.amdhsa_kernarg_size 40
		.amdhsa_user_sgpr_count 2
		.amdhsa_user_sgpr_dispatch_ptr 0
		.amdhsa_user_sgpr_queue_ptr 0
		.amdhsa_user_sgpr_kernarg_segment_ptr 1
		.amdhsa_user_sgpr_dispatch_id 0
		.amdhsa_user_sgpr_kernarg_preload_length 0
		.amdhsa_user_sgpr_kernarg_preload_offset 0
		.amdhsa_user_sgpr_private_segment_size 0
		.amdhsa_wavefront_size32 1
		.amdhsa_uses_dynamic_stack 0
		.amdhsa_enable_private_segment 0
		.amdhsa_system_sgpr_workgroup_id_x 1
		.amdhsa_system_sgpr_workgroup_id_y 0
		.amdhsa_system_sgpr_workgroup_id_z 0
		.amdhsa_system_sgpr_workgroup_info 0
		.amdhsa_system_vgpr_workitem_id 0
		.amdhsa_next_free_vgpr 1
		.amdhsa_next_free_sgpr 1
		.amdhsa_named_barrier_count 0
		.amdhsa_reserve_vcc 0
		.amdhsa_float_round_mode_32 0
		.amdhsa_float_round_mode_16_64 0
		.amdhsa_float_denorm_mode_32 3
		.amdhsa_float_denorm_mode_16_64 3
		.amdhsa_fp16_overflow 0
		.amdhsa_memory_ordered 1
		.amdhsa_forward_progress 1
		.amdhsa_inst_pref_size 0
		.amdhsa_round_robin_scheduling 0
		.amdhsa_exception_fp_ieee_invalid_op 0
		.amdhsa_exception_fp_denorm_src 0
		.amdhsa_exception_fp_ieee_div_zero 0
		.amdhsa_exception_fp_ieee_overflow 0
		.amdhsa_exception_fp_ieee_underflow 0
		.amdhsa_exception_fp_ieee_inexact 0
		.amdhsa_exception_int_div_zero 0
	.end_amdhsa_kernel
	.section	.text._ZN7rocprim17ROCPRIM_400000_NS6detail17trampoline_kernelINS0_14default_configENS1_38merge_sort_block_merge_config_selectorIjN6thrust23THRUST_200600_302600_NS5tupleIffNS6_9null_typeES8_S8_S8_S8_S8_S8_S8_EEEEZZNS1_27merge_sort_block_merge_implIS3_NS6_6detail15normal_iteratorINS6_10device_ptrIjEEEENSD_INSE_IS9_EEEEjNS1_19radix_merge_compareILb0ELb0EjNS0_19identity_decomposerEEEEE10hipError_tT0_T1_T2_jT3_P12ihipStream_tbPNSt15iterator_traitsISN_E10value_typeEPNST_ISO_E10value_typeEPSP_NS1_7vsmem_tEENKUlT_SN_SO_SP_E_clIPjSG_PS9_SI_EESM_S12_SN_SO_SP_EUlS12_E_NS1_11comp_targetILNS1_3genE9ELNS1_11target_archE1100ELNS1_3gpuE3ELNS1_3repE0EEENS1_48merge_mergepath_partition_config_static_selectorELNS0_4arch9wavefront6targetE0EEEvSO_,"axG",@progbits,_ZN7rocprim17ROCPRIM_400000_NS6detail17trampoline_kernelINS0_14default_configENS1_38merge_sort_block_merge_config_selectorIjN6thrust23THRUST_200600_302600_NS5tupleIffNS6_9null_typeES8_S8_S8_S8_S8_S8_S8_EEEEZZNS1_27merge_sort_block_merge_implIS3_NS6_6detail15normal_iteratorINS6_10device_ptrIjEEEENSD_INSE_IS9_EEEEjNS1_19radix_merge_compareILb0ELb0EjNS0_19identity_decomposerEEEEE10hipError_tT0_T1_T2_jT3_P12ihipStream_tbPNSt15iterator_traitsISN_E10value_typeEPNST_ISO_E10value_typeEPSP_NS1_7vsmem_tEENKUlT_SN_SO_SP_E_clIPjSG_PS9_SI_EESM_S12_SN_SO_SP_EUlS12_E_NS1_11comp_targetILNS1_3genE9ELNS1_11target_archE1100ELNS1_3gpuE3ELNS1_3repE0EEENS1_48merge_mergepath_partition_config_static_selectorELNS0_4arch9wavefront6targetE0EEEvSO_,comdat
.Lfunc_end31:
	.size	_ZN7rocprim17ROCPRIM_400000_NS6detail17trampoline_kernelINS0_14default_configENS1_38merge_sort_block_merge_config_selectorIjN6thrust23THRUST_200600_302600_NS5tupleIffNS6_9null_typeES8_S8_S8_S8_S8_S8_S8_EEEEZZNS1_27merge_sort_block_merge_implIS3_NS6_6detail15normal_iteratorINS6_10device_ptrIjEEEENSD_INSE_IS9_EEEEjNS1_19radix_merge_compareILb0ELb0EjNS0_19identity_decomposerEEEEE10hipError_tT0_T1_T2_jT3_P12ihipStream_tbPNSt15iterator_traitsISN_E10value_typeEPNST_ISO_E10value_typeEPSP_NS1_7vsmem_tEENKUlT_SN_SO_SP_E_clIPjSG_PS9_SI_EESM_S12_SN_SO_SP_EUlS12_E_NS1_11comp_targetILNS1_3genE9ELNS1_11target_archE1100ELNS1_3gpuE3ELNS1_3repE0EEENS1_48merge_mergepath_partition_config_static_selectorELNS0_4arch9wavefront6targetE0EEEvSO_, .Lfunc_end31-_ZN7rocprim17ROCPRIM_400000_NS6detail17trampoline_kernelINS0_14default_configENS1_38merge_sort_block_merge_config_selectorIjN6thrust23THRUST_200600_302600_NS5tupleIffNS6_9null_typeES8_S8_S8_S8_S8_S8_S8_EEEEZZNS1_27merge_sort_block_merge_implIS3_NS6_6detail15normal_iteratorINS6_10device_ptrIjEEEENSD_INSE_IS9_EEEEjNS1_19radix_merge_compareILb0ELb0EjNS0_19identity_decomposerEEEEE10hipError_tT0_T1_T2_jT3_P12ihipStream_tbPNSt15iterator_traitsISN_E10value_typeEPNST_ISO_E10value_typeEPSP_NS1_7vsmem_tEENKUlT_SN_SO_SP_E_clIPjSG_PS9_SI_EESM_S12_SN_SO_SP_EUlS12_E_NS1_11comp_targetILNS1_3genE9ELNS1_11target_archE1100ELNS1_3gpuE3ELNS1_3repE0EEENS1_48merge_mergepath_partition_config_static_selectorELNS0_4arch9wavefront6targetE0EEEvSO_
                                        ; -- End function
	.set _ZN7rocprim17ROCPRIM_400000_NS6detail17trampoline_kernelINS0_14default_configENS1_38merge_sort_block_merge_config_selectorIjN6thrust23THRUST_200600_302600_NS5tupleIffNS6_9null_typeES8_S8_S8_S8_S8_S8_S8_EEEEZZNS1_27merge_sort_block_merge_implIS3_NS6_6detail15normal_iteratorINS6_10device_ptrIjEEEENSD_INSE_IS9_EEEEjNS1_19radix_merge_compareILb0ELb0EjNS0_19identity_decomposerEEEEE10hipError_tT0_T1_T2_jT3_P12ihipStream_tbPNSt15iterator_traitsISN_E10value_typeEPNST_ISO_E10value_typeEPSP_NS1_7vsmem_tEENKUlT_SN_SO_SP_E_clIPjSG_PS9_SI_EESM_S12_SN_SO_SP_EUlS12_E_NS1_11comp_targetILNS1_3genE9ELNS1_11target_archE1100ELNS1_3gpuE3ELNS1_3repE0EEENS1_48merge_mergepath_partition_config_static_selectorELNS0_4arch9wavefront6targetE0EEEvSO_.num_vgpr, 0
	.set _ZN7rocprim17ROCPRIM_400000_NS6detail17trampoline_kernelINS0_14default_configENS1_38merge_sort_block_merge_config_selectorIjN6thrust23THRUST_200600_302600_NS5tupleIffNS6_9null_typeES8_S8_S8_S8_S8_S8_S8_EEEEZZNS1_27merge_sort_block_merge_implIS3_NS6_6detail15normal_iteratorINS6_10device_ptrIjEEEENSD_INSE_IS9_EEEEjNS1_19radix_merge_compareILb0ELb0EjNS0_19identity_decomposerEEEEE10hipError_tT0_T1_T2_jT3_P12ihipStream_tbPNSt15iterator_traitsISN_E10value_typeEPNST_ISO_E10value_typeEPSP_NS1_7vsmem_tEENKUlT_SN_SO_SP_E_clIPjSG_PS9_SI_EESM_S12_SN_SO_SP_EUlS12_E_NS1_11comp_targetILNS1_3genE9ELNS1_11target_archE1100ELNS1_3gpuE3ELNS1_3repE0EEENS1_48merge_mergepath_partition_config_static_selectorELNS0_4arch9wavefront6targetE0EEEvSO_.num_agpr, 0
	.set _ZN7rocprim17ROCPRIM_400000_NS6detail17trampoline_kernelINS0_14default_configENS1_38merge_sort_block_merge_config_selectorIjN6thrust23THRUST_200600_302600_NS5tupleIffNS6_9null_typeES8_S8_S8_S8_S8_S8_S8_EEEEZZNS1_27merge_sort_block_merge_implIS3_NS6_6detail15normal_iteratorINS6_10device_ptrIjEEEENSD_INSE_IS9_EEEEjNS1_19radix_merge_compareILb0ELb0EjNS0_19identity_decomposerEEEEE10hipError_tT0_T1_T2_jT3_P12ihipStream_tbPNSt15iterator_traitsISN_E10value_typeEPNST_ISO_E10value_typeEPSP_NS1_7vsmem_tEENKUlT_SN_SO_SP_E_clIPjSG_PS9_SI_EESM_S12_SN_SO_SP_EUlS12_E_NS1_11comp_targetILNS1_3genE9ELNS1_11target_archE1100ELNS1_3gpuE3ELNS1_3repE0EEENS1_48merge_mergepath_partition_config_static_selectorELNS0_4arch9wavefront6targetE0EEEvSO_.numbered_sgpr, 0
	.set _ZN7rocprim17ROCPRIM_400000_NS6detail17trampoline_kernelINS0_14default_configENS1_38merge_sort_block_merge_config_selectorIjN6thrust23THRUST_200600_302600_NS5tupleIffNS6_9null_typeES8_S8_S8_S8_S8_S8_S8_EEEEZZNS1_27merge_sort_block_merge_implIS3_NS6_6detail15normal_iteratorINS6_10device_ptrIjEEEENSD_INSE_IS9_EEEEjNS1_19radix_merge_compareILb0ELb0EjNS0_19identity_decomposerEEEEE10hipError_tT0_T1_T2_jT3_P12ihipStream_tbPNSt15iterator_traitsISN_E10value_typeEPNST_ISO_E10value_typeEPSP_NS1_7vsmem_tEENKUlT_SN_SO_SP_E_clIPjSG_PS9_SI_EESM_S12_SN_SO_SP_EUlS12_E_NS1_11comp_targetILNS1_3genE9ELNS1_11target_archE1100ELNS1_3gpuE3ELNS1_3repE0EEENS1_48merge_mergepath_partition_config_static_selectorELNS0_4arch9wavefront6targetE0EEEvSO_.num_named_barrier, 0
	.set _ZN7rocprim17ROCPRIM_400000_NS6detail17trampoline_kernelINS0_14default_configENS1_38merge_sort_block_merge_config_selectorIjN6thrust23THRUST_200600_302600_NS5tupleIffNS6_9null_typeES8_S8_S8_S8_S8_S8_S8_EEEEZZNS1_27merge_sort_block_merge_implIS3_NS6_6detail15normal_iteratorINS6_10device_ptrIjEEEENSD_INSE_IS9_EEEEjNS1_19radix_merge_compareILb0ELb0EjNS0_19identity_decomposerEEEEE10hipError_tT0_T1_T2_jT3_P12ihipStream_tbPNSt15iterator_traitsISN_E10value_typeEPNST_ISO_E10value_typeEPSP_NS1_7vsmem_tEENKUlT_SN_SO_SP_E_clIPjSG_PS9_SI_EESM_S12_SN_SO_SP_EUlS12_E_NS1_11comp_targetILNS1_3genE9ELNS1_11target_archE1100ELNS1_3gpuE3ELNS1_3repE0EEENS1_48merge_mergepath_partition_config_static_selectorELNS0_4arch9wavefront6targetE0EEEvSO_.private_seg_size, 0
	.set _ZN7rocprim17ROCPRIM_400000_NS6detail17trampoline_kernelINS0_14default_configENS1_38merge_sort_block_merge_config_selectorIjN6thrust23THRUST_200600_302600_NS5tupleIffNS6_9null_typeES8_S8_S8_S8_S8_S8_S8_EEEEZZNS1_27merge_sort_block_merge_implIS3_NS6_6detail15normal_iteratorINS6_10device_ptrIjEEEENSD_INSE_IS9_EEEEjNS1_19radix_merge_compareILb0ELb0EjNS0_19identity_decomposerEEEEE10hipError_tT0_T1_T2_jT3_P12ihipStream_tbPNSt15iterator_traitsISN_E10value_typeEPNST_ISO_E10value_typeEPSP_NS1_7vsmem_tEENKUlT_SN_SO_SP_E_clIPjSG_PS9_SI_EESM_S12_SN_SO_SP_EUlS12_E_NS1_11comp_targetILNS1_3genE9ELNS1_11target_archE1100ELNS1_3gpuE3ELNS1_3repE0EEENS1_48merge_mergepath_partition_config_static_selectorELNS0_4arch9wavefront6targetE0EEEvSO_.uses_vcc, 0
	.set _ZN7rocprim17ROCPRIM_400000_NS6detail17trampoline_kernelINS0_14default_configENS1_38merge_sort_block_merge_config_selectorIjN6thrust23THRUST_200600_302600_NS5tupleIffNS6_9null_typeES8_S8_S8_S8_S8_S8_S8_EEEEZZNS1_27merge_sort_block_merge_implIS3_NS6_6detail15normal_iteratorINS6_10device_ptrIjEEEENSD_INSE_IS9_EEEEjNS1_19radix_merge_compareILb0ELb0EjNS0_19identity_decomposerEEEEE10hipError_tT0_T1_T2_jT3_P12ihipStream_tbPNSt15iterator_traitsISN_E10value_typeEPNST_ISO_E10value_typeEPSP_NS1_7vsmem_tEENKUlT_SN_SO_SP_E_clIPjSG_PS9_SI_EESM_S12_SN_SO_SP_EUlS12_E_NS1_11comp_targetILNS1_3genE9ELNS1_11target_archE1100ELNS1_3gpuE3ELNS1_3repE0EEENS1_48merge_mergepath_partition_config_static_selectorELNS0_4arch9wavefront6targetE0EEEvSO_.uses_flat_scratch, 0
	.set _ZN7rocprim17ROCPRIM_400000_NS6detail17trampoline_kernelINS0_14default_configENS1_38merge_sort_block_merge_config_selectorIjN6thrust23THRUST_200600_302600_NS5tupleIffNS6_9null_typeES8_S8_S8_S8_S8_S8_S8_EEEEZZNS1_27merge_sort_block_merge_implIS3_NS6_6detail15normal_iteratorINS6_10device_ptrIjEEEENSD_INSE_IS9_EEEEjNS1_19radix_merge_compareILb0ELb0EjNS0_19identity_decomposerEEEEE10hipError_tT0_T1_T2_jT3_P12ihipStream_tbPNSt15iterator_traitsISN_E10value_typeEPNST_ISO_E10value_typeEPSP_NS1_7vsmem_tEENKUlT_SN_SO_SP_E_clIPjSG_PS9_SI_EESM_S12_SN_SO_SP_EUlS12_E_NS1_11comp_targetILNS1_3genE9ELNS1_11target_archE1100ELNS1_3gpuE3ELNS1_3repE0EEENS1_48merge_mergepath_partition_config_static_selectorELNS0_4arch9wavefront6targetE0EEEvSO_.has_dyn_sized_stack, 0
	.set _ZN7rocprim17ROCPRIM_400000_NS6detail17trampoline_kernelINS0_14default_configENS1_38merge_sort_block_merge_config_selectorIjN6thrust23THRUST_200600_302600_NS5tupleIffNS6_9null_typeES8_S8_S8_S8_S8_S8_S8_EEEEZZNS1_27merge_sort_block_merge_implIS3_NS6_6detail15normal_iteratorINS6_10device_ptrIjEEEENSD_INSE_IS9_EEEEjNS1_19radix_merge_compareILb0ELb0EjNS0_19identity_decomposerEEEEE10hipError_tT0_T1_T2_jT3_P12ihipStream_tbPNSt15iterator_traitsISN_E10value_typeEPNST_ISO_E10value_typeEPSP_NS1_7vsmem_tEENKUlT_SN_SO_SP_E_clIPjSG_PS9_SI_EESM_S12_SN_SO_SP_EUlS12_E_NS1_11comp_targetILNS1_3genE9ELNS1_11target_archE1100ELNS1_3gpuE3ELNS1_3repE0EEENS1_48merge_mergepath_partition_config_static_selectorELNS0_4arch9wavefront6targetE0EEEvSO_.has_recursion, 0
	.set _ZN7rocprim17ROCPRIM_400000_NS6detail17trampoline_kernelINS0_14default_configENS1_38merge_sort_block_merge_config_selectorIjN6thrust23THRUST_200600_302600_NS5tupleIffNS6_9null_typeES8_S8_S8_S8_S8_S8_S8_EEEEZZNS1_27merge_sort_block_merge_implIS3_NS6_6detail15normal_iteratorINS6_10device_ptrIjEEEENSD_INSE_IS9_EEEEjNS1_19radix_merge_compareILb0ELb0EjNS0_19identity_decomposerEEEEE10hipError_tT0_T1_T2_jT3_P12ihipStream_tbPNSt15iterator_traitsISN_E10value_typeEPNST_ISO_E10value_typeEPSP_NS1_7vsmem_tEENKUlT_SN_SO_SP_E_clIPjSG_PS9_SI_EESM_S12_SN_SO_SP_EUlS12_E_NS1_11comp_targetILNS1_3genE9ELNS1_11target_archE1100ELNS1_3gpuE3ELNS1_3repE0EEENS1_48merge_mergepath_partition_config_static_selectorELNS0_4arch9wavefront6targetE0EEEvSO_.has_indirect_call, 0
	.section	.AMDGPU.csdata,"",@progbits
; Kernel info:
; codeLenInByte = 0
; TotalNumSgprs: 0
; NumVgprs: 0
; ScratchSize: 0
; MemoryBound: 0
; FloatMode: 240
; IeeeMode: 1
; LDSByteSize: 0 bytes/workgroup (compile time only)
; SGPRBlocks: 0
; VGPRBlocks: 0
; NumSGPRsForWavesPerEU: 1
; NumVGPRsForWavesPerEU: 1
; NamedBarCnt: 0
; Occupancy: 16
; WaveLimiterHint : 0
; COMPUTE_PGM_RSRC2:SCRATCH_EN: 0
; COMPUTE_PGM_RSRC2:USER_SGPR: 2
; COMPUTE_PGM_RSRC2:TRAP_HANDLER: 0
; COMPUTE_PGM_RSRC2:TGID_X_EN: 1
; COMPUTE_PGM_RSRC2:TGID_Y_EN: 0
; COMPUTE_PGM_RSRC2:TGID_Z_EN: 0
; COMPUTE_PGM_RSRC2:TIDIG_COMP_CNT: 0
	.section	.text._ZN7rocprim17ROCPRIM_400000_NS6detail17trampoline_kernelINS0_14default_configENS1_38merge_sort_block_merge_config_selectorIjN6thrust23THRUST_200600_302600_NS5tupleIffNS6_9null_typeES8_S8_S8_S8_S8_S8_S8_EEEEZZNS1_27merge_sort_block_merge_implIS3_NS6_6detail15normal_iteratorINS6_10device_ptrIjEEEENSD_INSE_IS9_EEEEjNS1_19radix_merge_compareILb0ELb0EjNS0_19identity_decomposerEEEEE10hipError_tT0_T1_T2_jT3_P12ihipStream_tbPNSt15iterator_traitsISN_E10value_typeEPNST_ISO_E10value_typeEPSP_NS1_7vsmem_tEENKUlT_SN_SO_SP_E_clIPjSG_PS9_SI_EESM_S12_SN_SO_SP_EUlS12_E_NS1_11comp_targetILNS1_3genE8ELNS1_11target_archE1030ELNS1_3gpuE2ELNS1_3repE0EEENS1_48merge_mergepath_partition_config_static_selectorELNS0_4arch9wavefront6targetE0EEEvSO_,"axG",@progbits,_ZN7rocprim17ROCPRIM_400000_NS6detail17trampoline_kernelINS0_14default_configENS1_38merge_sort_block_merge_config_selectorIjN6thrust23THRUST_200600_302600_NS5tupleIffNS6_9null_typeES8_S8_S8_S8_S8_S8_S8_EEEEZZNS1_27merge_sort_block_merge_implIS3_NS6_6detail15normal_iteratorINS6_10device_ptrIjEEEENSD_INSE_IS9_EEEEjNS1_19radix_merge_compareILb0ELb0EjNS0_19identity_decomposerEEEEE10hipError_tT0_T1_T2_jT3_P12ihipStream_tbPNSt15iterator_traitsISN_E10value_typeEPNST_ISO_E10value_typeEPSP_NS1_7vsmem_tEENKUlT_SN_SO_SP_E_clIPjSG_PS9_SI_EESM_S12_SN_SO_SP_EUlS12_E_NS1_11comp_targetILNS1_3genE8ELNS1_11target_archE1030ELNS1_3gpuE2ELNS1_3repE0EEENS1_48merge_mergepath_partition_config_static_selectorELNS0_4arch9wavefront6targetE0EEEvSO_,comdat
	.protected	_ZN7rocprim17ROCPRIM_400000_NS6detail17trampoline_kernelINS0_14default_configENS1_38merge_sort_block_merge_config_selectorIjN6thrust23THRUST_200600_302600_NS5tupleIffNS6_9null_typeES8_S8_S8_S8_S8_S8_S8_EEEEZZNS1_27merge_sort_block_merge_implIS3_NS6_6detail15normal_iteratorINS6_10device_ptrIjEEEENSD_INSE_IS9_EEEEjNS1_19radix_merge_compareILb0ELb0EjNS0_19identity_decomposerEEEEE10hipError_tT0_T1_T2_jT3_P12ihipStream_tbPNSt15iterator_traitsISN_E10value_typeEPNST_ISO_E10value_typeEPSP_NS1_7vsmem_tEENKUlT_SN_SO_SP_E_clIPjSG_PS9_SI_EESM_S12_SN_SO_SP_EUlS12_E_NS1_11comp_targetILNS1_3genE8ELNS1_11target_archE1030ELNS1_3gpuE2ELNS1_3repE0EEENS1_48merge_mergepath_partition_config_static_selectorELNS0_4arch9wavefront6targetE0EEEvSO_ ; -- Begin function _ZN7rocprim17ROCPRIM_400000_NS6detail17trampoline_kernelINS0_14default_configENS1_38merge_sort_block_merge_config_selectorIjN6thrust23THRUST_200600_302600_NS5tupleIffNS6_9null_typeES8_S8_S8_S8_S8_S8_S8_EEEEZZNS1_27merge_sort_block_merge_implIS3_NS6_6detail15normal_iteratorINS6_10device_ptrIjEEEENSD_INSE_IS9_EEEEjNS1_19radix_merge_compareILb0ELb0EjNS0_19identity_decomposerEEEEE10hipError_tT0_T1_T2_jT3_P12ihipStream_tbPNSt15iterator_traitsISN_E10value_typeEPNST_ISO_E10value_typeEPSP_NS1_7vsmem_tEENKUlT_SN_SO_SP_E_clIPjSG_PS9_SI_EESM_S12_SN_SO_SP_EUlS12_E_NS1_11comp_targetILNS1_3genE8ELNS1_11target_archE1030ELNS1_3gpuE2ELNS1_3repE0EEENS1_48merge_mergepath_partition_config_static_selectorELNS0_4arch9wavefront6targetE0EEEvSO_
	.globl	_ZN7rocprim17ROCPRIM_400000_NS6detail17trampoline_kernelINS0_14default_configENS1_38merge_sort_block_merge_config_selectorIjN6thrust23THRUST_200600_302600_NS5tupleIffNS6_9null_typeES8_S8_S8_S8_S8_S8_S8_EEEEZZNS1_27merge_sort_block_merge_implIS3_NS6_6detail15normal_iteratorINS6_10device_ptrIjEEEENSD_INSE_IS9_EEEEjNS1_19radix_merge_compareILb0ELb0EjNS0_19identity_decomposerEEEEE10hipError_tT0_T1_T2_jT3_P12ihipStream_tbPNSt15iterator_traitsISN_E10value_typeEPNST_ISO_E10value_typeEPSP_NS1_7vsmem_tEENKUlT_SN_SO_SP_E_clIPjSG_PS9_SI_EESM_S12_SN_SO_SP_EUlS12_E_NS1_11comp_targetILNS1_3genE8ELNS1_11target_archE1030ELNS1_3gpuE2ELNS1_3repE0EEENS1_48merge_mergepath_partition_config_static_selectorELNS0_4arch9wavefront6targetE0EEEvSO_
	.p2align	8
	.type	_ZN7rocprim17ROCPRIM_400000_NS6detail17trampoline_kernelINS0_14default_configENS1_38merge_sort_block_merge_config_selectorIjN6thrust23THRUST_200600_302600_NS5tupleIffNS6_9null_typeES8_S8_S8_S8_S8_S8_S8_EEEEZZNS1_27merge_sort_block_merge_implIS3_NS6_6detail15normal_iteratorINS6_10device_ptrIjEEEENSD_INSE_IS9_EEEEjNS1_19radix_merge_compareILb0ELb0EjNS0_19identity_decomposerEEEEE10hipError_tT0_T1_T2_jT3_P12ihipStream_tbPNSt15iterator_traitsISN_E10value_typeEPNST_ISO_E10value_typeEPSP_NS1_7vsmem_tEENKUlT_SN_SO_SP_E_clIPjSG_PS9_SI_EESM_S12_SN_SO_SP_EUlS12_E_NS1_11comp_targetILNS1_3genE8ELNS1_11target_archE1030ELNS1_3gpuE2ELNS1_3repE0EEENS1_48merge_mergepath_partition_config_static_selectorELNS0_4arch9wavefront6targetE0EEEvSO_,@function
_ZN7rocprim17ROCPRIM_400000_NS6detail17trampoline_kernelINS0_14default_configENS1_38merge_sort_block_merge_config_selectorIjN6thrust23THRUST_200600_302600_NS5tupleIffNS6_9null_typeES8_S8_S8_S8_S8_S8_S8_EEEEZZNS1_27merge_sort_block_merge_implIS3_NS6_6detail15normal_iteratorINS6_10device_ptrIjEEEENSD_INSE_IS9_EEEEjNS1_19radix_merge_compareILb0ELb0EjNS0_19identity_decomposerEEEEE10hipError_tT0_T1_T2_jT3_P12ihipStream_tbPNSt15iterator_traitsISN_E10value_typeEPNST_ISO_E10value_typeEPSP_NS1_7vsmem_tEENKUlT_SN_SO_SP_E_clIPjSG_PS9_SI_EESM_S12_SN_SO_SP_EUlS12_E_NS1_11comp_targetILNS1_3genE8ELNS1_11target_archE1030ELNS1_3gpuE2ELNS1_3repE0EEENS1_48merge_mergepath_partition_config_static_selectorELNS0_4arch9wavefront6targetE0EEEvSO_: ; @_ZN7rocprim17ROCPRIM_400000_NS6detail17trampoline_kernelINS0_14default_configENS1_38merge_sort_block_merge_config_selectorIjN6thrust23THRUST_200600_302600_NS5tupleIffNS6_9null_typeES8_S8_S8_S8_S8_S8_S8_EEEEZZNS1_27merge_sort_block_merge_implIS3_NS6_6detail15normal_iteratorINS6_10device_ptrIjEEEENSD_INSE_IS9_EEEEjNS1_19radix_merge_compareILb0ELb0EjNS0_19identity_decomposerEEEEE10hipError_tT0_T1_T2_jT3_P12ihipStream_tbPNSt15iterator_traitsISN_E10value_typeEPNST_ISO_E10value_typeEPSP_NS1_7vsmem_tEENKUlT_SN_SO_SP_E_clIPjSG_PS9_SI_EESM_S12_SN_SO_SP_EUlS12_E_NS1_11comp_targetILNS1_3genE8ELNS1_11target_archE1030ELNS1_3gpuE2ELNS1_3repE0EEENS1_48merge_mergepath_partition_config_static_selectorELNS0_4arch9wavefront6targetE0EEEvSO_
; %bb.0:
	.section	.rodata,"a",@progbits
	.p2align	6, 0x0
	.amdhsa_kernel _ZN7rocprim17ROCPRIM_400000_NS6detail17trampoline_kernelINS0_14default_configENS1_38merge_sort_block_merge_config_selectorIjN6thrust23THRUST_200600_302600_NS5tupleIffNS6_9null_typeES8_S8_S8_S8_S8_S8_S8_EEEEZZNS1_27merge_sort_block_merge_implIS3_NS6_6detail15normal_iteratorINS6_10device_ptrIjEEEENSD_INSE_IS9_EEEEjNS1_19radix_merge_compareILb0ELb0EjNS0_19identity_decomposerEEEEE10hipError_tT0_T1_T2_jT3_P12ihipStream_tbPNSt15iterator_traitsISN_E10value_typeEPNST_ISO_E10value_typeEPSP_NS1_7vsmem_tEENKUlT_SN_SO_SP_E_clIPjSG_PS9_SI_EESM_S12_SN_SO_SP_EUlS12_E_NS1_11comp_targetILNS1_3genE8ELNS1_11target_archE1030ELNS1_3gpuE2ELNS1_3repE0EEENS1_48merge_mergepath_partition_config_static_selectorELNS0_4arch9wavefront6targetE0EEEvSO_
		.amdhsa_group_segment_fixed_size 0
		.amdhsa_private_segment_fixed_size 0
		.amdhsa_kernarg_size 40
		.amdhsa_user_sgpr_count 2
		.amdhsa_user_sgpr_dispatch_ptr 0
		.amdhsa_user_sgpr_queue_ptr 0
		.amdhsa_user_sgpr_kernarg_segment_ptr 1
		.amdhsa_user_sgpr_dispatch_id 0
		.amdhsa_user_sgpr_kernarg_preload_length 0
		.amdhsa_user_sgpr_kernarg_preload_offset 0
		.amdhsa_user_sgpr_private_segment_size 0
		.amdhsa_wavefront_size32 1
		.amdhsa_uses_dynamic_stack 0
		.amdhsa_enable_private_segment 0
		.amdhsa_system_sgpr_workgroup_id_x 1
		.amdhsa_system_sgpr_workgroup_id_y 0
		.amdhsa_system_sgpr_workgroup_id_z 0
		.amdhsa_system_sgpr_workgroup_info 0
		.amdhsa_system_vgpr_workitem_id 0
		.amdhsa_next_free_vgpr 1
		.amdhsa_next_free_sgpr 1
		.amdhsa_named_barrier_count 0
		.amdhsa_reserve_vcc 0
		.amdhsa_float_round_mode_32 0
		.amdhsa_float_round_mode_16_64 0
		.amdhsa_float_denorm_mode_32 3
		.amdhsa_float_denorm_mode_16_64 3
		.amdhsa_fp16_overflow 0
		.amdhsa_memory_ordered 1
		.amdhsa_forward_progress 1
		.amdhsa_inst_pref_size 0
		.amdhsa_round_robin_scheduling 0
		.amdhsa_exception_fp_ieee_invalid_op 0
		.amdhsa_exception_fp_denorm_src 0
		.amdhsa_exception_fp_ieee_div_zero 0
		.amdhsa_exception_fp_ieee_overflow 0
		.amdhsa_exception_fp_ieee_underflow 0
		.amdhsa_exception_fp_ieee_inexact 0
		.amdhsa_exception_int_div_zero 0
	.end_amdhsa_kernel
	.section	.text._ZN7rocprim17ROCPRIM_400000_NS6detail17trampoline_kernelINS0_14default_configENS1_38merge_sort_block_merge_config_selectorIjN6thrust23THRUST_200600_302600_NS5tupleIffNS6_9null_typeES8_S8_S8_S8_S8_S8_S8_EEEEZZNS1_27merge_sort_block_merge_implIS3_NS6_6detail15normal_iteratorINS6_10device_ptrIjEEEENSD_INSE_IS9_EEEEjNS1_19radix_merge_compareILb0ELb0EjNS0_19identity_decomposerEEEEE10hipError_tT0_T1_T2_jT3_P12ihipStream_tbPNSt15iterator_traitsISN_E10value_typeEPNST_ISO_E10value_typeEPSP_NS1_7vsmem_tEENKUlT_SN_SO_SP_E_clIPjSG_PS9_SI_EESM_S12_SN_SO_SP_EUlS12_E_NS1_11comp_targetILNS1_3genE8ELNS1_11target_archE1030ELNS1_3gpuE2ELNS1_3repE0EEENS1_48merge_mergepath_partition_config_static_selectorELNS0_4arch9wavefront6targetE0EEEvSO_,"axG",@progbits,_ZN7rocprim17ROCPRIM_400000_NS6detail17trampoline_kernelINS0_14default_configENS1_38merge_sort_block_merge_config_selectorIjN6thrust23THRUST_200600_302600_NS5tupleIffNS6_9null_typeES8_S8_S8_S8_S8_S8_S8_EEEEZZNS1_27merge_sort_block_merge_implIS3_NS6_6detail15normal_iteratorINS6_10device_ptrIjEEEENSD_INSE_IS9_EEEEjNS1_19radix_merge_compareILb0ELb0EjNS0_19identity_decomposerEEEEE10hipError_tT0_T1_T2_jT3_P12ihipStream_tbPNSt15iterator_traitsISN_E10value_typeEPNST_ISO_E10value_typeEPSP_NS1_7vsmem_tEENKUlT_SN_SO_SP_E_clIPjSG_PS9_SI_EESM_S12_SN_SO_SP_EUlS12_E_NS1_11comp_targetILNS1_3genE8ELNS1_11target_archE1030ELNS1_3gpuE2ELNS1_3repE0EEENS1_48merge_mergepath_partition_config_static_selectorELNS0_4arch9wavefront6targetE0EEEvSO_,comdat
.Lfunc_end32:
	.size	_ZN7rocprim17ROCPRIM_400000_NS6detail17trampoline_kernelINS0_14default_configENS1_38merge_sort_block_merge_config_selectorIjN6thrust23THRUST_200600_302600_NS5tupleIffNS6_9null_typeES8_S8_S8_S8_S8_S8_S8_EEEEZZNS1_27merge_sort_block_merge_implIS3_NS6_6detail15normal_iteratorINS6_10device_ptrIjEEEENSD_INSE_IS9_EEEEjNS1_19radix_merge_compareILb0ELb0EjNS0_19identity_decomposerEEEEE10hipError_tT0_T1_T2_jT3_P12ihipStream_tbPNSt15iterator_traitsISN_E10value_typeEPNST_ISO_E10value_typeEPSP_NS1_7vsmem_tEENKUlT_SN_SO_SP_E_clIPjSG_PS9_SI_EESM_S12_SN_SO_SP_EUlS12_E_NS1_11comp_targetILNS1_3genE8ELNS1_11target_archE1030ELNS1_3gpuE2ELNS1_3repE0EEENS1_48merge_mergepath_partition_config_static_selectorELNS0_4arch9wavefront6targetE0EEEvSO_, .Lfunc_end32-_ZN7rocprim17ROCPRIM_400000_NS6detail17trampoline_kernelINS0_14default_configENS1_38merge_sort_block_merge_config_selectorIjN6thrust23THRUST_200600_302600_NS5tupleIffNS6_9null_typeES8_S8_S8_S8_S8_S8_S8_EEEEZZNS1_27merge_sort_block_merge_implIS3_NS6_6detail15normal_iteratorINS6_10device_ptrIjEEEENSD_INSE_IS9_EEEEjNS1_19radix_merge_compareILb0ELb0EjNS0_19identity_decomposerEEEEE10hipError_tT0_T1_T2_jT3_P12ihipStream_tbPNSt15iterator_traitsISN_E10value_typeEPNST_ISO_E10value_typeEPSP_NS1_7vsmem_tEENKUlT_SN_SO_SP_E_clIPjSG_PS9_SI_EESM_S12_SN_SO_SP_EUlS12_E_NS1_11comp_targetILNS1_3genE8ELNS1_11target_archE1030ELNS1_3gpuE2ELNS1_3repE0EEENS1_48merge_mergepath_partition_config_static_selectorELNS0_4arch9wavefront6targetE0EEEvSO_
                                        ; -- End function
	.set _ZN7rocprim17ROCPRIM_400000_NS6detail17trampoline_kernelINS0_14default_configENS1_38merge_sort_block_merge_config_selectorIjN6thrust23THRUST_200600_302600_NS5tupleIffNS6_9null_typeES8_S8_S8_S8_S8_S8_S8_EEEEZZNS1_27merge_sort_block_merge_implIS3_NS6_6detail15normal_iteratorINS6_10device_ptrIjEEEENSD_INSE_IS9_EEEEjNS1_19radix_merge_compareILb0ELb0EjNS0_19identity_decomposerEEEEE10hipError_tT0_T1_T2_jT3_P12ihipStream_tbPNSt15iterator_traitsISN_E10value_typeEPNST_ISO_E10value_typeEPSP_NS1_7vsmem_tEENKUlT_SN_SO_SP_E_clIPjSG_PS9_SI_EESM_S12_SN_SO_SP_EUlS12_E_NS1_11comp_targetILNS1_3genE8ELNS1_11target_archE1030ELNS1_3gpuE2ELNS1_3repE0EEENS1_48merge_mergepath_partition_config_static_selectorELNS0_4arch9wavefront6targetE0EEEvSO_.num_vgpr, 0
	.set _ZN7rocprim17ROCPRIM_400000_NS6detail17trampoline_kernelINS0_14default_configENS1_38merge_sort_block_merge_config_selectorIjN6thrust23THRUST_200600_302600_NS5tupleIffNS6_9null_typeES8_S8_S8_S8_S8_S8_S8_EEEEZZNS1_27merge_sort_block_merge_implIS3_NS6_6detail15normal_iteratorINS6_10device_ptrIjEEEENSD_INSE_IS9_EEEEjNS1_19radix_merge_compareILb0ELb0EjNS0_19identity_decomposerEEEEE10hipError_tT0_T1_T2_jT3_P12ihipStream_tbPNSt15iterator_traitsISN_E10value_typeEPNST_ISO_E10value_typeEPSP_NS1_7vsmem_tEENKUlT_SN_SO_SP_E_clIPjSG_PS9_SI_EESM_S12_SN_SO_SP_EUlS12_E_NS1_11comp_targetILNS1_3genE8ELNS1_11target_archE1030ELNS1_3gpuE2ELNS1_3repE0EEENS1_48merge_mergepath_partition_config_static_selectorELNS0_4arch9wavefront6targetE0EEEvSO_.num_agpr, 0
	.set _ZN7rocprim17ROCPRIM_400000_NS6detail17trampoline_kernelINS0_14default_configENS1_38merge_sort_block_merge_config_selectorIjN6thrust23THRUST_200600_302600_NS5tupleIffNS6_9null_typeES8_S8_S8_S8_S8_S8_S8_EEEEZZNS1_27merge_sort_block_merge_implIS3_NS6_6detail15normal_iteratorINS6_10device_ptrIjEEEENSD_INSE_IS9_EEEEjNS1_19radix_merge_compareILb0ELb0EjNS0_19identity_decomposerEEEEE10hipError_tT0_T1_T2_jT3_P12ihipStream_tbPNSt15iterator_traitsISN_E10value_typeEPNST_ISO_E10value_typeEPSP_NS1_7vsmem_tEENKUlT_SN_SO_SP_E_clIPjSG_PS9_SI_EESM_S12_SN_SO_SP_EUlS12_E_NS1_11comp_targetILNS1_3genE8ELNS1_11target_archE1030ELNS1_3gpuE2ELNS1_3repE0EEENS1_48merge_mergepath_partition_config_static_selectorELNS0_4arch9wavefront6targetE0EEEvSO_.numbered_sgpr, 0
	.set _ZN7rocprim17ROCPRIM_400000_NS6detail17trampoline_kernelINS0_14default_configENS1_38merge_sort_block_merge_config_selectorIjN6thrust23THRUST_200600_302600_NS5tupleIffNS6_9null_typeES8_S8_S8_S8_S8_S8_S8_EEEEZZNS1_27merge_sort_block_merge_implIS3_NS6_6detail15normal_iteratorINS6_10device_ptrIjEEEENSD_INSE_IS9_EEEEjNS1_19radix_merge_compareILb0ELb0EjNS0_19identity_decomposerEEEEE10hipError_tT0_T1_T2_jT3_P12ihipStream_tbPNSt15iterator_traitsISN_E10value_typeEPNST_ISO_E10value_typeEPSP_NS1_7vsmem_tEENKUlT_SN_SO_SP_E_clIPjSG_PS9_SI_EESM_S12_SN_SO_SP_EUlS12_E_NS1_11comp_targetILNS1_3genE8ELNS1_11target_archE1030ELNS1_3gpuE2ELNS1_3repE0EEENS1_48merge_mergepath_partition_config_static_selectorELNS0_4arch9wavefront6targetE0EEEvSO_.num_named_barrier, 0
	.set _ZN7rocprim17ROCPRIM_400000_NS6detail17trampoline_kernelINS0_14default_configENS1_38merge_sort_block_merge_config_selectorIjN6thrust23THRUST_200600_302600_NS5tupleIffNS6_9null_typeES8_S8_S8_S8_S8_S8_S8_EEEEZZNS1_27merge_sort_block_merge_implIS3_NS6_6detail15normal_iteratorINS6_10device_ptrIjEEEENSD_INSE_IS9_EEEEjNS1_19radix_merge_compareILb0ELb0EjNS0_19identity_decomposerEEEEE10hipError_tT0_T1_T2_jT3_P12ihipStream_tbPNSt15iterator_traitsISN_E10value_typeEPNST_ISO_E10value_typeEPSP_NS1_7vsmem_tEENKUlT_SN_SO_SP_E_clIPjSG_PS9_SI_EESM_S12_SN_SO_SP_EUlS12_E_NS1_11comp_targetILNS1_3genE8ELNS1_11target_archE1030ELNS1_3gpuE2ELNS1_3repE0EEENS1_48merge_mergepath_partition_config_static_selectorELNS0_4arch9wavefront6targetE0EEEvSO_.private_seg_size, 0
	.set _ZN7rocprim17ROCPRIM_400000_NS6detail17trampoline_kernelINS0_14default_configENS1_38merge_sort_block_merge_config_selectorIjN6thrust23THRUST_200600_302600_NS5tupleIffNS6_9null_typeES8_S8_S8_S8_S8_S8_S8_EEEEZZNS1_27merge_sort_block_merge_implIS3_NS6_6detail15normal_iteratorINS6_10device_ptrIjEEEENSD_INSE_IS9_EEEEjNS1_19radix_merge_compareILb0ELb0EjNS0_19identity_decomposerEEEEE10hipError_tT0_T1_T2_jT3_P12ihipStream_tbPNSt15iterator_traitsISN_E10value_typeEPNST_ISO_E10value_typeEPSP_NS1_7vsmem_tEENKUlT_SN_SO_SP_E_clIPjSG_PS9_SI_EESM_S12_SN_SO_SP_EUlS12_E_NS1_11comp_targetILNS1_3genE8ELNS1_11target_archE1030ELNS1_3gpuE2ELNS1_3repE0EEENS1_48merge_mergepath_partition_config_static_selectorELNS0_4arch9wavefront6targetE0EEEvSO_.uses_vcc, 0
	.set _ZN7rocprim17ROCPRIM_400000_NS6detail17trampoline_kernelINS0_14default_configENS1_38merge_sort_block_merge_config_selectorIjN6thrust23THRUST_200600_302600_NS5tupleIffNS6_9null_typeES8_S8_S8_S8_S8_S8_S8_EEEEZZNS1_27merge_sort_block_merge_implIS3_NS6_6detail15normal_iteratorINS6_10device_ptrIjEEEENSD_INSE_IS9_EEEEjNS1_19radix_merge_compareILb0ELb0EjNS0_19identity_decomposerEEEEE10hipError_tT0_T1_T2_jT3_P12ihipStream_tbPNSt15iterator_traitsISN_E10value_typeEPNST_ISO_E10value_typeEPSP_NS1_7vsmem_tEENKUlT_SN_SO_SP_E_clIPjSG_PS9_SI_EESM_S12_SN_SO_SP_EUlS12_E_NS1_11comp_targetILNS1_3genE8ELNS1_11target_archE1030ELNS1_3gpuE2ELNS1_3repE0EEENS1_48merge_mergepath_partition_config_static_selectorELNS0_4arch9wavefront6targetE0EEEvSO_.uses_flat_scratch, 0
	.set _ZN7rocprim17ROCPRIM_400000_NS6detail17trampoline_kernelINS0_14default_configENS1_38merge_sort_block_merge_config_selectorIjN6thrust23THRUST_200600_302600_NS5tupleIffNS6_9null_typeES8_S8_S8_S8_S8_S8_S8_EEEEZZNS1_27merge_sort_block_merge_implIS3_NS6_6detail15normal_iteratorINS6_10device_ptrIjEEEENSD_INSE_IS9_EEEEjNS1_19radix_merge_compareILb0ELb0EjNS0_19identity_decomposerEEEEE10hipError_tT0_T1_T2_jT3_P12ihipStream_tbPNSt15iterator_traitsISN_E10value_typeEPNST_ISO_E10value_typeEPSP_NS1_7vsmem_tEENKUlT_SN_SO_SP_E_clIPjSG_PS9_SI_EESM_S12_SN_SO_SP_EUlS12_E_NS1_11comp_targetILNS1_3genE8ELNS1_11target_archE1030ELNS1_3gpuE2ELNS1_3repE0EEENS1_48merge_mergepath_partition_config_static_selectorELNS0_4arch9wavefront6targetE0EEEvSO_.has_dyn_sized_stack, 0
	.set _ZN7rocprim17ROCPRIM_400000_NS6detail17trampoline_kernelINS0_14default_configENS1_38merge_sort_block_merge_config_selectorIjN6thrust23THRUST_200600_302600_NS5tupleIffNS6_9null_typeES8_S8_S8_S8_S8_S8_S8_EEEEZZNS1_27merge_sort_block_merge_implIS3_NS6_6detail15normal_iteratorINS6_10device_ptrIjEEEENSD_INSE_IS9_EEEEjNS1_19radix_merge_compareILb0ELb0EjNS0_19identity_decomposerEEEEE10hipError_tT0_T1_T2_jT3_P12ihipStream_tbPNSt15iterator_traitsISN_E10value_typeEPNST_ISO_E10value_typeEPSP_NS1_7vsmem_tEENKUlT_SN_SO_SP_E_clIPjSG_PS9_SI_EESM_S12_SN_SO_SP_EUlS12_E_NS1_11comp_targetILNS1_3genE8ELNS1_11target_archE1030ELNS1_3gpuE2ELNS1_3repE0EEENS1_48merge_mergepath_partition_config_static_selectorELNS0_4arch9wavefront6targetE0EEEvSO_.has_recursion, 0
	.set _ZN7rocprim17ROCPRIM_400000_NS6detail17trampoline_kernelINS0_14default_configENS1_38merge_sort_block_merge_config_selectorIjN6thrust23THRUST_200600_302600_NS5tupleIffNS6_9null_typeES8_S8_S8_S8_S8_S8_S8_EEEEZZNS1_27merge_sort_block_merge_implIS3_NS6_6detail15normal_iteratorINS6_10device_ptrIjEEEENSD_INSE_IS9_EEEEjNS1_19radix_merge_compareILb0ELb0EjNS0_19identity_decomposerEEEEE10hipError_tT0_T1_T2_jT3_P12ihipStream_tbPNSt15iterator_traitsISN_E10value_typeEPNST_ISO_E10value_typeEPSP_NS1_7vsmem_tEENKUlT_SN_SO_SP_E_clIPjSG_PS9_SI_EESM_S12_SN_SO_SP_EUlS12_E_NS1_11comp_targetILNS1_3genE8ELNS1_11target_archE1030ELNS1_3gpuE2ELNS1_3repE0EEENS1_48merge_mergepath_partition_config_static_selectorELNS0_4arch9wavefront6targetE0EEEvSO_.has_indirect_call, 0
	.section	.AMDGPU.csdata,"",@progbits
; Kernel info:
; codeLenInByte = 0
; TotalNumSgprs: 0
; NumVgprs: 0
; ScratchSize: 0
; MemoryBound: 0
; FloatMode: 240
; IeeeMode: 1
; LDSByteSize: 0 bytes/workgroup (compile time only)
; SGPRBlocks: 0
; VGPRBlocks: 0
; NumSGPRsForWavesPerEU: 1
; NumVGPRsForWavesPerEU: 1
; NamedBarCnt: 0
; Occupancy: 16
; WaveLimiterHint : 0
; COMPUTE_PGM_RSRC2:SCRATCH_EN: 0
; COMPUTE_PGM_RSRC2:USER_SGPR: 2
; COMPUTE_PGM_RSRC2:TRAP_HANDLER: 0
; COMPUTE_PGM_RSRC2:TGID_X_EN: 1
; COMPUTE_PGM_RSRC2:TGID_Y_EN: 0
; COMPUTE_PGM_RSRC2:TGID_Z_EN: 0
; COMPUTE_PGM_RSRC2:TIDIG_COMP_CNT: 0
	.section	.text._ZN7rocprim17ROCPRIM_400000_NS6detail17trampoline_kernelINS0_14default_configENS1_38merge_sort_block_merge_config_selectorIjN6thrust23THRUST_200600_302600_NS5tupleIffNS6_9null_typeES8_S8_S8_S8_S8_S8_S8_EEEEZZNS1_27merge_sort_block_merge_implIS3_NS6_6detail15normal_iteratorINS6_10device_ptrIjEEEENSD_INSE_IS9_EEEEjNS1_19radix_merge_compareILb0ELb0EjNS0_19identity_decomposerEEEEE10hipError_tT0_T1_T2_jT3_P12ihipStream_tbPNSt15iterator_traitsISN_E10value_typeEPNST_ISO_E10value_typeEPSP_NS1_7vsmem_tEENKUlT_SN_SO_SP_E_clIPjSG_PS9_SI_EESM_S12_SN_SO_SP_EUlS12_E0_NS1_11comp_targetILNS1_3genE0ELNS1_11target_archE4294967295ELNS1_3gpuE0ELNS1_3repE0EEENS1_38merge_mergepath_config_static_selectorELNS0_4arch9wavefront6targetE0EEEvSO_,"axG",@progbits,_ZN7rocprim17ROCPRIM_400000_NS6detail17trampoline_kernelINS0_14default_configENS1_38merge_sort_block_merge_config_selectorIjN6thrust23THRUST_200600_302600_NS5tupleIffNS6_9null_typeES8_S8_S8_S8_S8_S8_S8_EEEEZZNS1_27merge_sort_block_merge_implIS3_NS6_6detail15normal_iteratorINS6_10device_ptrIjEEEENSD_INSE_IS9_EEEEjNS1_19radix_merge_compareILb0ELb0EjNS0_19identity_decomposerEEEEE10hipError_tT0_T1_T2_jT3_P12ihipStream_tbPNSt15iterator_traitsISN_E10value_typeEPNST_ISO_E10value_typeEPSP_NS1_7vsmem_tEENKUlT_SN_SO_SP_E_clIPjSG_PS9_SI_EESM_S12_SN_SO_SP_EUlS12_E0_NS1_11comp_targetILNS1_3genE0ELNS1_11target_archE4294967295ELNS1_3gpuE0ELNS1_3repE0EEENS1_38merge_mergepath_config_static_selectorELNS0_4arch9wavefront6targetE0EEEvSO_,comdat
	.protected	_ZN7rocprim17ROCPRIM_400000_NS6detail17trampoline_kernelINS0_14default_configENS1_38merge_sort_block_merge_config_selectorIjN6thrust23THRUST_200600_302600_NS5tupleIffNS6_9null_typeES8_S8_S8_S8_S8_S8_S8_EEEEZZNS1_27merge_sort_block_merge_implIS3_NS6_6detail15normal_iteratorINS6_10device_ptrIjEEEENSD_INSE_IS9_EEEEjNS1_19radix_merge_compareILb0ELb0EjNS0_19identity_decomposerEEEEE10hipError_tT0_T1_T2_jT3_P12ihipStream_tbPNSt15iterator_traitsISN_E10value_typeEPNST_ISO_E10value_typeEPSP_NS1_7vsmem_tEENKUlT_SN_SO_SP_E_clIPjSG_PS9_SI_EESM_S12_SN_SO_SP_EUlS12_E0_NS1_11comp_targetILNS1_3genE0ELNS1_11target_archE4294967295ELNS1_3gpuE0ELNS1_3repE0EEENS1_38merge_mergepath_config_static_selectorELNS0_4arch9wavefront6targetE0EEEvSO_ ; -- Begin function _ZN7rocprim17ROCPRIM_400000_NS6detail17trampoline_kernelINS0_14default_configENS1_38merge_sort_block_merge_config_selectorIjN6thrust23THRUST_200600_302600_NS5tupleIffNS6_9null_typeES8_S8_S8_S8_S8_S8_S8_EEEEZZNS1_27merge_sort_block_merge_implIS3_NS6_6detail15normal_iteratorINS6_10device_ptrIjEEEENSD_INSE_IS9_EEEEjNS1_19radix_merge_compareILb0ELb0EjNS0_19identity_decomposerEEEEE10hipError_tT0_T1_T2_jT3_P12ihipStream_tbPNSt15iterator_traitsISN_E10value_typeEPNST_ISO_E10value_typeEPSP_NS1_7vsmem_tEENKUlT_SN_SO_SP_E_clIPjSG_PS9_SI_EESM_S12_SN_SO_SP_EUlS12_E0_NS1_11comp_targetILNS1_3genE0ELNS1_11target_archE4294967295ELNS1_3gpuE0ELNS1_3repE0EEENS1_38merge_mergepath_config_static_selectorELNS0_4arch9wavefront6targetE0EEEvSO_
	.globl	_ZN7rocprim17ROCPRIM_400000_NS6detail17trampoline_kernelINS0_14default_configENS1_38merge_sort_block_merge_config_selectorIjN6thrust23THRUST_200600_302600_NS5tupleIffNS6_9null_typeES8_S8_S8_S8_S8_S8_S8_EEEEZZNS1_27merge_sort_block_merge_implIS3_NS6_6detail15normal_iteratorINS6_10device_ptrIjEEEENSD_INSE_IS9_EEEEjNS1_19radix_merge_compareILb0ELb0EjNS0_19identity_decomposerEEEEE10hipError_tT0_T1_T2_jT3_P12ihipStream_tbPNSt15iterator_traitsISN_E10value_typeEPNST_ISO_E10value_typeEPSP_NS1_7vsmem_tEENKUlT_SN_SO_SP_E_clIPjSG_PS9_SI_EESM_S12_SN_SO_SP_EUlS12_E0_NS1_11comp_targetILNS1_3genE0ELNS1_11target_archE4294967295ELNS1_3gpuE0ELNS1_3repE0EEENS1_38merge_mergepath_config_static_selectorELNS0_4arch9wavefront6targetE0EEEvSO_
	.p2align	8
	.type	_ZN7rocprim17ROCPRIM_400000_NS6detail17trampoline_kernelINS0_14default_configENS1_38merge_sort_block_merge_config_selectorIjN6thrust23THRUST_200600_302600_NS5tupleIffNS6_9null_typeES8_S8_S8_S8_S8_S8_S8_EEEEZZNS1_27merge_sort_block_merge_implIS3_NS6_6detail15normal_iteratorINS6_10device_ptrIjEEEENSD_INSE_IS9_EEEEjNS1_19radix_merge_compareILb0ELb0EjNS0_19identity_decomposerEEEEE10hipError_tT0_T1_T2_jT3_P12ihipStream_tbPNSt15iterator_traitsISN_E10value_typeEPNST_ISO_E10value_typeEPSP_NS1_7vsmem_tEENKUlT_SN_SO_SP_E_clIPjSG_PS9_SI_EESM_S12_SN_SO_SP_EUlS12_E0_NS1_11comp_targetILNS1_3genE0ELNS1_11target_archE4294967295ELNS1_3gpuE0ELNS1_3repE0EEENS1_38merge_mergepath_config_static_selectorELNS0_4arch9wavefront6targetE0EEEvSO_,@function
_ZN7rocprim17ROCPRIM_400000_NS6detail17trampoline_kernelINS0_14default_configENS1_38merge_sort_block_merge_config_selectorIjN6thrust23THRUST_200600_302600_NS5tupleIffNS6_9null_typeES8_S8_S8_S8_S8_S8_S8_EEEEZZNS1_27merge_sort_block_merge_implIS3_NS6_6detail15normal_iteratorINS6_10device_ptrIjEEEENSD_INSE_IS9_EEEEjNS1_19radix_merge_compareILb0ELb0EjNS0_19identity_decomposerEEEEE10hipError_tT0_T1_T2_jT3_P12ihipStream_tbPNSt15iterator_traitsISN_E10value_typeEPNST_ISO_E10value_typeEPSP_NS1_7vsmem_tEENKUlT_SN_SO_SP_E_clIPjSG_PS9_SI_EESM_S12_SN_SO_SP_EUlS12_E0_NS1_11comp_targetILNS1_3genE0ELNS1_11target_archE4294967295ELNS1_3gpuE0ELNS1_3repE0EEENS1_38merge_mergepath_config_static_selectorELNS0_4arch9wavefront6targetE0EEEvSO_: ; @_ZN7rocprim17ROCPRIM_400000_NS6detail17trampoline_kernelINS0_14default_configENS1_38merge_sort_block_merge_config_selectorIjN6thrust23THRUST_200600_302600_NS5tupleIffNS6_9null_typeES8_S8_S8_S8_S8_S8_S8_EEEEZZNS1_27merge_sort_block_merge_implIS3_NS6_6detail15normal_iteratorINS6_10device_ptrIjEEEENSD_INSE_IS9_EEEEjNS1_19radix_merge_compareILb0ELb0EjNS0_19identity_decomposerEEEEE10hipError_tT0_T1_T2_jT3_P12ihipStream_tbPNSt15iterator_traitsISN_E10value_typeEPNST_ISO_E10value_typeEPSP_NS1_7vsmem_tEENKUlT_SN_SO_SP_E_clIPjSG_PS9_SI_EESM_S12_SN_SO_SP_EUlS12_E0_NS1_11comp_targetILNS1_3genE0ELNS1_11target_archE4294967295ELNS1_3gpuE0ELNS1_3repE0EEENS1_38merge_mergepath_config_static_selectorELNS0_4arch9wavefront6targetE0EEEvSO_
; %bb.0:
	s_clause 0x1
	s_load_b32 s4, s[0:1], 0x30
	s_load_b64 s[16:17], s[0:1], 0x40
	s_bfe_u32 s2, ttmp6, 0x40010
	s_and_b32 s3, ttmp7, 0xffff
	s_add_co_i32 s2, s2, 1
	s_bfe_u32 s6, ttmp6, 0x4000c
	s_mul_i32 s2, s3, s2
	s_bfe_u32 s5, ttmp6, 0x40004
	s_add_co_i32 s6, s6, 1
	s_bfe_u32 s7, ttmp6, 0x40014
	s_add_co_i32 s5, s5, s2
	s_and_b32 s2, ttmp6, 15
	s_mul_i32 s6, ttmp9, s6
	s_lshr_b32 s8, ttmp7, 16
	s_add_co_i32 s7, s7, 1
	s_add_co_i32 s2, s2, s6
	s_mul_i32 s6, s8, s7
	s_bfe_u32 s7, ttmp6, 0x40008
	s_getreg_b32 s9, hwreg(HW_REG_IB_STS2, 6, 4)
	s_add_co_i32 s7, s7, s6
	s_cmp_eq_u32 s9, 0
	s_cselect_b32 s6, s8, s7
	s_cselect_b32 s3, s3, s5
	s_wait_kmcnt 0x0
	s_mul_i32 s6, s17, s6
	s_cselect_b32 s13, ttmp9, s2
	s_add_co_i32 s2, s6, s3
	s_mov_b32 s3, 0
	s_mul_i32 s2, s2, s16
	s_delay_alu instid0(SALU_CYCLE_1) | instskip(NEXT) | instid1(SALU_CYCLE_1)
	s_add_co_i32 s18, s2, s13
	s_cmp_ge_u32 s18, s4
	s_cbranch_scc1 .LBB33_38
; %bb.1:
	v_mov_b32_e32 v3, 0
	s_add_nc_u64 s[22:23], s[0:1], 64
	s_mov_b32 s19, s3
                                        ; implicit-def: $vgpr4
	global_load_b32 v1, v3, s[22:23] offset:14
	s_clause 0x1
	s_load_b256 s[4:11], s[0:1], 0x10
	s_load_b64 s[14:15], s[0:1], 0x38
	s_wait_kmcnt 0x0
	s_lshr_b32 s21, s10, 10
	s_load_b64 s[0:1], s[0:1], 0x8
	s_cmp_lg_u32 s18, s21
	s_cselect_b32 s20, -1, 0
	s_lshl_b64 s[24:25], s[18:19], 2
	s_lshr_b32 s2, s11, 9
	s_add_nc_u64 s[14:15], s[14:15], s[24:25]
	s_and_b32 s2, s2, 0x7ffffe
	s_load_b64 s[24:25], s[14:15], 0x0
	s_sub_co_i32 s2, 0, s2
	s_lshl_b32 s12, s18, 10
	s_wait_xcnt 0x0
	s_and_b32 s14, s18, s2
	s_or_b32 s2, s18, s2
	s_lshl_b32 s17, s14, 11
	s_lshl_b32 s14, s14, 10
	s_add_co_i32 s17, s17, s11
	s_sub_co_i32 s19, s12, s14
	s_sub_co_i32 s14, s17, s14
	s_add_co_i32 s17, s17, s19
	s_min_u32 s19, s10, s14
	s_add_co_i32 s11, s14, s11
	s_mov_b32 s15, s3
	s_wait_kmcnt 0x0
	s_sub_co_i32 s14, s17, s24
	s_sub_co_i32 s17, s17, s25
	s_min_u32 s14, s10, s14
	s_addk_co_i32 s17, 0x400
	s_cmp_eq_u32 s2, -1
	s_mov_b32 s2, s24
	s_cselect_b32 s11, s11, s17
	s_cselect_b32 s17, s19, s25
	s_lshl_b64 s[26:27], s[2:3], 2
	s_lshl_b64 s[28:29], s[14:15], 2
	s_min_u32 s19, s11, s10
	s_sub_co_i32 s11, s17, s24
	s_cmp_lt_u32 s13, s16
	s_mov_b32 s17, s3
	s_cselect_b32 s16, 12, 18
	s_cmp_eq_u32 s18, s21
	s_add_nc_u64 s[16:17], s[22:23], s[16:17]
	s_mov_b32 s18, s3
	s_load_u16 s13, s[16:17], 0x0
	s_wait_xcnt 0x0
	s_add_nc_u64 s[16:17], s[0:1], s[26:27]
	s_add_nc_u64 s[0:1], s[0:1], s[28:29]
	s_wait_loadcnt 0x0
	v_lshrrev_b32_e32 v2, 16, v1
	v_and_b32_e32 v1, 0xffff, v1
	s_delay_alu instid0(VALU_DEP_1) | instskip(SKIP_1) | instid1(VALU_DEP_1)
	v_mul_lo_u32 v1, v1, v2
	s_wait_kmcnt 0x0
	v_mul_lo_u32 v5, v1, s13
	v_lshlrev_b32_e32 v2, 2, v0
	s_mov_b32 s13, -1
                                        ; implicit-def: $vgpr1
	s_delay_alu instid0(VALU_DEP_2)
	v_add_nc_u32_e32 v8, v5, v0
	s_cbranch_scc0 .LBB33_7
; %bb.2:
	s_and_not1_b32 vcc_lo, exec_lo, s13
	s_sub_co_i32 s13, s19, s14
	s_cbranch_vccz .LBB33_8
.LBB33_3:
	v_mov_b32_e32 v3, 0
	s_wait_xcnt 0x0
	s_and_saveexec_b32 s19, s18
	s_cbranch_execz .LBB33_5
.LBB33_4:
	v_mov_b32_e32 v5, 0
	s_delay_alu instid0(VALU_DEP_1) | instskip(SKIP_1) | instid1(VALU_DEP_1)
	v_lshl_add_u64 v[6:7], v[4:5], 2, s[16:17]
	v_sub_co_u32 v4, vcc_lo, v4, s11
	v_lshl_add_u64 v[4:5], v[4:5], 2, s[0:1]
	s_delay_alu instid0(VALU_DEP_1)
	v_dual_cndmask_b32 v5, v5, v7 :: v_dual_cndmask_b32 v4, v4, v6
	global_load_b32 v3, v[4:5], off
.LBB33_5:
	s_wait_xcnt 0x0
	s_or_b32 exec_lo, exec_lo, s19
	s_lshl_b64 s[0:1], s[2:3], 3
	v_lshlrev_b32_e32 v4, 3, v0
	s_add_nc_u64 s[2:3], s[6:7], s[0:1]
	s_lshl_b64 s[0:1], s[14:15], 3
	s_and_not1_b32 vcc_lo, exec_lo, s20
	s_add_nc_u64 s[6:7], s[6:7], s[0:1]
	s_wait_loadcnt 0x0
	ds_store_2addr_stride64_b32 v2, v1, v3 offset1:8
	s_cbranch_vccnz .LBB33_11
; %bb.6:
	v_sub_co_u32 v10, vcc_lo, v0, s11
	v_mov_b32_e32 v5, 0
	v_sub_co_u32 v12, s0, v8, s11
	s_add_co_i32 s14, s13, s11
	v_add_nc_u64_e32 v[6:7], s[2:3], v[4:5]
	v_mov_b32_e32 v11, v5
	s_delay_alu instid0(VALU_DEP_1) | instskip(NEXT) | instid1(VALU_DEP_1)
	v_lshl_add_u64 v[10:11], v[10:11], 3, s[6:7]
	v_dual_cndmask_b32 v17, v11, v7, vcc_lo :: v_dual_mov_b32 v9, v5
	s_delay_alu instid0(VALU_DEP_2) | instskip(NEXT) | instid1(VALU_DEP_2)
	v_dual_mov_b32 v13, v5 :: v_dual_cndmask_b32 v16, v10, v6
	v_lshl_add_u64 v[14:15], v[8:9], 3, s[2:3]
	s_delay_alu instid0(VALU_DEP_2) | instskip(NEXT) | instid1(VALU_DEP_1)
	v_lshl_add_u64 v[12:13], v[12:13], 3, s[6:7]
	v_dual_cndmask_b32 v13, v13, v15, s0 :: v_dual_cndmask_b32 v12, v12, v14, s0
	global_load_b64 v[6:7], v[16:17], off
	global_load_b64 v[10:11], v[12:13], off
	s_cbranch_execz .LBB33_12
	s_branch .LBB33_17
.LBB33_7:
	s_delay_alu instid0(VALU_DEP_2) | instskip(SKIP_4) | instid1(VALU_DEP_2)
	v_add_nc_u64_e32 v[6:7], s[16:17], v[2:3]
	v_sub_co_u32 v10, vcc_lo, v0, s11
	v_mov_b32_e32 v11, v3
	s_mov_b32 s18, -1
	v_add_nc_u32_e32 v4, v5, v0
	v_lshl_add_u64 v[10:11], v[10:11], 2, s[0:1]
	s_delay_alu instid0(VALU_DEP_1)
	v_dual_cndmask_b32 v7, v11, v7 :: v_dual_cndmask_b32 v6, v10, v6
	global_load_b32 v1, v[6:7], off
	s_sub_co_i32 s13, s19, s14
	s_cbranch_execnz .LBB33_3
.LBB33_8:
	s_wait_loadcnt 0x0
	v_mov_b32_e32 v1, 0
	s_add_co_i32 s18, s13, s11
	s_mov_b32 s19, exec_lo
	v_cmpx_gt_u32_e64 s18, v0
	s_cbranch_execz .LBB33_10
; %bb.9:
	v_sub_co_u32 v6, vcc_lo, v0, s11
	v_mov_b32_e32 v3, 0
	s_delay_alu instid0(VALU_DEP_1) | instskip(SKIP_1) | instid1(VALU_DEP_1)
	v_add_nc_u64_e32 v[4:5], s[16:17], v[2:3]
	v_mov_b32_e32 v7, v3
	v_lshl_add_u64 v[6:7], v[6:7], 2, s[0:1]
	s_delay_alu instid0(VALU_DEP_1)
	v_dual_cndmask_b32 v5, v7, v5 :: v_dual_cndmask_b32 v4, v6, v4
	global_load_b32 v1, v[4:5], off
.LBB33_10:
	s_wait_xcnt 0x0
	s_or_b32 exec_lo, exec_lo, s19
	v_cmp_gt_u32_e64 s18, s18, v8
	v_dual_mov_b32 v4, v8 :: v_dual_mov_b32 v3, 0
	s_and_saveexec_b32 s19, s18
	s_cbranch_execnz .LBB33_4
	s_branch .LBB33_5
.LBB33_11:
                                        ; implicit-def: $vgpr11
                                        ; implicit-def: $vgpr6_vgpr7
                                        ; implicit-def: $sgpr14
.LBB33_12:
	s_wait_loadcnt 0x1
	v_mov_b64_e32 v[6:7], 0
	s_add_co_i32 s14, s13, s11
	s_mov_b32 s0, exec_lo
	s_wait_xcnt 0x0
	v_cmpx_gt_u32_e64 s14, v0
	s_cbranch_execz .LBB33_14
; %bb.13:
	s_wait_loadcnt 0x0
	v_sub_co_u32 v10, vcc_lo, v0, s11
	v_mov_b32_e32 v5, 0
	s_delay_alu instid0(VALU_DEP_1) | instskip(SKIP_1) | instid1(VALU_DEP_1)
	v_add_nc_u64_e32 v[6:7], s[2:3], v[4:5]
	v_mov_b32_e32 v11, v5
	v_lshl_add_u64 v[10:11], v[10:11], 3, s[6:7]
	s_delay_alu instid0(VALU_DEP_1)
	v_dual_cndmask_b32 v7, v11, v7 :: v_dual_cndmask_b32 v6, v10, v6
	global_load_b64 v[6:7], v[6:7], off
.LBB33_14:
	s_wait_xcnt 0x0
	s_or_b32 exec_lo, exec_lo, s0
	s_wait_loadcnt 0x0
	v_dual_mov_b32 v11, 0 :: v_dual_mov_b32 v10, 0
	s_mov_b32 s0, exec_lo
	v_cmpx_gt_u32_e64 s14, v8
	s_cbranch_execz .LBB33_16
; %bb.15:
	v_mov_b32_e32 v9, 0
	s_delay_alu instid0(VALU_DEP_1) | instskip(SKIP_1) | instid1(VALU_DEP_1)
	v_lshl_add_u64 v[10:11], v[8:9], 3, s[2:3]
	v_sub_co_u32 v8, vcc_lo, v8, s11
	v_lshl_add_u64 v[8:9], v[8:9], 3, s[6:7]
	s_delay_alu instid0(VALU_DEP_1)
	v_dual_cndmask_b32 v9, v9, v11 :: v_dual_cndmask_b32 v8, v8, v10
	global_load_b64 v[10:11], v[8:9], off
.LBB33_16:
	s_wait_xcnt 0x0
	s_or_b32 exec_lo, exec_lo, s0
.LBB33_17:
	v_lshlrev_b32_e32 v5, 1, v0
	s_mov_b32 s0, exec_lo
	s_wait_loadcnt_dscnt 0x0
	s_barrier_signal -1
	s_barrier_wait -1
	v_min_u32_e32 v9, s14, v5
	s_delay_alu instid0(VALU_DEP_1) | instskip(SKIP_1) | instid1(VALU_DEP_1)
	v_sub_nc_u32_e64 v8, v9, s13 clamp
	v_min_u32_e32 v12, s11, v9
	v_cmpx_lt_u32_e64 v8, v12
	s_cbranch_execz .LBB33_21
; %bb.18:
	v_lshlrev_b32_e32 v13, 2, v9
	s_mov_b32 s1, 0
	s_delay_alu instid0(VALU_DEP_1)
	v_lshl_add_u32 v13, s11, 2, v13
.LBB33_19:                              ; =>This Inner Loop Header: Depth=1
	v_add_nc_u32_e32 v14, v12, v8
	s_delay_alu instid0(VALU_DEP_1) | instskip(NEXT) | instid1(VALU_DEP_1)
	v_lshrrev_b32_e32 v14, 1, v14
	v_not_b32_e32 v15, v14
	v_dual_lshlrev_b32 v16, 2, v14 :: v_dual_add_nc_u32 v17, 1, v14
	s_delay_alu instid0(VALU_DEP_2)
	v_lshl_add_u32 v15, v15, 2, v13
	ds_load_b32 v16, v16
	ds_load_b32 v15, v15
	s_wait_dscnt 0x0
	v_cmp_gt_u32_e32 vcc_lo, v16, v15
	v_dual_cndmask_b32 v12, v12, v14, vcc_lo :: v_dual_cndmask_b32 v8, v17, v8, vcc_lo
	s_delay_alu instid0(VALU_DEP_1) | instskip(SKIP_1) | instid1(SALU_CYCLE_1)
	v_cmp_ge_u32_e32 vcc_lo, v8, v12
	s_or_b32 s1, vcc_lo, s1
	s_and_not1_b32 exec_lo, exec_lo, s1
	s_cbranch_execnz .LBB33_19
; %bb.20:
	s_or_b32 exec_lo, exec_lo, s1
.LBB33_21:
	s_delay_alu instid0(SALU_CYCLE_1) | instskip(SKIP_2) | instid1(VALU_DEP_2)
	s_or_b32 exec_lo, exec_lo, s0
	v_dual_sub_nc_u32 v9, v9, v8 :: v_dual_mov_b32 v13, 0
	v_cmp_ge_u32_e32 vcc_lo, s11, v8
	v_dual_mov_b32 v12, 0 :: v_dual_add_nc_u32 v9, s11, v9
	s_delay_alu instid0(VALU_DEP_1) | instskip(SKIP_1) | instid1(SALU_CYCLE_1)
	v_cmp_ge_u32_e64 s0, s14, v9
	s_or_b32 s0, vcc_lo, s0
	s_and_saveexec_b32 s3, s0
	s_cbranch_execz .LBB33_27
; %bb.22:
	v_cmp_gt_u32_e32 vcc_lo, s11, v8
                                        ; implicit-def: $vgpr1
	s_and_saveexec_b32 s0, vcc_lo
; %bb.23:
	v_lshlrev_b32_e32 v1, 2, v8
	ds_load_b32 v1, v1
; %bb.24:
	s_or_b32 exec_lo, exec_lo, s0
	v_cmp_le_u32_e64 s0, s14, v9
	s_mov_b32 s2, exec_lo
                                        ; implicit-def: $vgpr3
	v_cmpx_gt_u32_e64 s14, v9
; %bb.25:
	v_lshlrev_b32_e32 v3, 2, v9
	ds_load_b32 v3, v3
; %bb.26:
	s_or_b32 exec_lo, exec_lo, s2
	s_wait_dscnt 0x0
	v_cmp_le_u32_e64 s1, v1, v3
	s_and_b32 s1, vcc_lo, s1
	s_delay_alu instid0(SALU_CYCLE_1) | instskip(SKIP_1) | instid1(VALU_DEP_1)
	s_or_b32 vcc_lo, s0, s1
	v_dual_mov_b32 v13, s11 :: v_dual_cndmask_b32 v12, v9, v8
	v_dual_cndmask_b32 v13, s14, v13 :: v_dual_add_nc_u32 v14, 1, v12
	s_delay_alu instid0(VALU_DEP_1) | instskip(SKIP_1) | instid1(VALU_DEP_2)
	v_add_min_u32_e64 v13, v13, -1, v14
	v_dual_cndmask_b32 v8, v8, v14 :: v_dual_cndmask_b32 v9, v14, v9
	v_lshlrev_b32_e32 v13, 2, v13
	s_delay_alu instid0(VALU_DEP_2) | instskip(NEXT) | instid1(VALU_DEP_3)
	v_cmp_gt_u32_e64 s0, s11, v8
	v_cmp_le_u32_e64 s2, s14, v9
	ds_load_b32 v13, v13
	s_wait_dscnt 0x0
	v_cndmask_b32_e32 v15, v13, v3, vcc_lo
	v_cndmask_b32_e32 v16, v1, v13, vcc_lo
	;; [unrolled: 1-line block ×3, first 2 shown]
	s_delay_alu instid0(VALU_DEP_2) | instskip(SKIP_1) | instid1(SALU_CYCLE_1)
	v_cmp_le_u32_e64 s1, v16, v15
	s_and_b32 s0, s0, s1
	s_or_b32 vcc_lo, s2, s0
	v_cndmask_b32_e32 v13, v9, v8, vcc_lo
	v_cndmask_b32_e32 v3, v15, v16, vcc_lo
.LBB33_27:
	s_or_b32 exec_lo, exec_lo, s3
	v_lshl_add_u32 v14, v0, 2, v2
	s_barrier_signal -1
	s_barrier_wait -1
	ds_store_2addr_stride64_b64 v14, v[6:7], v[10:11] offset1:8
	v_dual_lshlrev_b32 v6, 3, v12 :: v_dual_lshlrev_b32 v8, 3, v13
	v_dual_lshrrev_b32 v10, 4, v0 :: v_dual_lshrrev_b32 v11, 5, v0
	s_wait_dscnt 0x0
	s_barrier_signal -1
	s_barrier_wait -1
	ds_load_b64 v[6:7], v6
	ds_load_b64 v[8:9], v8
	v_lshl_add_u32 v15, v10, 2, v14
	v_or_b32_e32 v12, 0x200, v0
	s_mov_b32 s13, 0
	s_wait_dscnt 0x0
	s_barrier_signal -1
	s_barrier_wait -1
	s_barrier_signal -1
	s_barrier_wait -1
	v_add_nc_u32_e32 v5, v10, v5
	ds_store_2addr_b32 v15, v1, v3 offset1:1
	v_dual_lshrrev_b32 v1, 5, v12 :: v_dual_mov_b32 v3, 0
	v_add_nc_u32_e32 v10, v11, v0
	s_lshl_b64 s[0:1], s[12:13], 2
	v_lshl_add_u32 v11, v11, 2, v2
	s_add_nc_u64 s[0:1], s[4:5], s[0:1]
	v_lshl_add_u32 v13, v1, 2, v2
	v_add_nc_u64_e32 v[2:3], s[0:1], v[2:3]
	v_lshl_add_u32 v5, v5, 2, v15
	v_lshl_add_u32 v1, v1, 3, v14
	s_and_b32 vcc_lo, exec_lo, s20
	s_mov_b32 s0, -1
	s_wait_dscnt 0x0
	s_cbranch_vccz .LBB33_29
; %bb.28:
	s_barrier_signal -1
	s_barrier_wait -1
	ds_load_b32 v14, v11
	ds_load_b32 v15, v13 offset:2048
	v_lshl_add_u32 v16, v10, 2, v11
	s_lshl_b64 s[0:1], s[12:13], 3
	s_wait_dscnt 0x1
	global_store_b32 v[2:3], v14, off
	s_wait_dscnt 0x0
	global_store_b32 v[2:3], v15, off offset:2048
	s_wait_storecnt 0x0
	s_barrier_signal -1
	s_barrier_wait -1
	ds_store_2addr_b64 v5, v[6:7], v[8:9] offset1:1
	s_wait_dscnt 0x0
	s_barrier_signal -1
	s_barrier_wait -1
	s_wait_xcnt 0x0
	ds_load_b64 v[14:15], v16
	ds_load_b64 v[16:17], v1 offset:4096
	s_add_nc_u64 s[2:3], s[8:9], s[0:1]
	s_mov_b32 s0, s13
	s_wait_dscnt 0x1
	global_store_b64 v0, v[14:15], s[2:3] scale_offset
	s_wait_dscnt 0x0
	global_store_b64 v0, v[16:17], s[2:3] offset:4096 scale_offset
.LBB33_29:
	s_and_not1_b32 vcc_lo, exec_lo, s0
	s_cbranch_vccnz .LBB33_38
; %bb.30:
	s_barrier_signal -1
	s_barrier_wait -1
	s_wait_storecnt 0x0
	ds_load_b32 v13, v13 offset:2048
	s_sub_co_i32 s0, s10, s12
	s_delay_alu instid0(SALU_CYCLE_1)
	v_cmp_gt_u32_e32 vcc_lo, s0, v0
	s_wait_xcnt 0x0
	s_and_saveexec_b32 s1, vcc_lo
	s_cbranch_execz .LBB33_32
; %bb.31:
	ds_load_b32 v0, v11
	s_wait_dscnt 0x0
	global_store_b32 v[2:3], v0, off
.LBB33_32:
	s_wait_xcnt 0x0
	s_or_b32 exec_lo, exec_lo, s1
	v_cmp_gt_u32_e64 s0, s0, v12
	s_and_saveexec_b32 s1, s0
	s_cbranch_execz .LBB33_34
; %bb.33:
	s_wait_dscnt 0x0
	global_store_b32 v[2:3], v13, off offset:2048
.LBB33_34:
	s_wait_xcnt 0x0
	s_or_b32 exec_lo, exec_lo, s1
	s_wait_storecnt_dscnt 0x0
	s_barrier_signal -1
	s_barrier_wait -1
	ds_store_2addr_b64 v5, v[6:7], v[8:9] offset1:1
	s_wait_dscnt 0x0
	s_barrier_signal -1
	s_barrier_wait -1
	ds_load_b64 v[0:1], v1 offset:4096
	v_mov_b32_e32 v5, 0
	s_lshl_b64 s[2:3], s[12:13], 3
	s_delay_alu instid0(SALU_CYCLE_1)
	s_add_nc_u64 s[2:3], s[8:9], s[2:3]
	s_delay_alu instid0(VALU_DEP_1) | instid1(SALU_CYCLE_1)
	v_add_nc_u64_e32 v[2:3], s[2:3], v[4:5]
	s_and_saveexec_b32 s1, vcc_lo
	s_cbranch_execz .LBB33_36
; %bb.35:
	v_lshl_add_u32 v4, v10, 2, v11
	ds_load_b64 v[4:5], v4
	s_wait_dscnt 0x0
	global_store_b64 v[2:3], v[4:5], off
.LBB33_36:
	s_wait_xcnt 0x0
	s_or_b32 exec_lo, exec_lo, s1
	s_and_saveexec_b32 s1, s0
	s_cbranch_execz .LBB33_38
; %bb.37:
	s_wait_dscnt 0x0
	global_store_b64 v[2:3], v[0:1], off offset:4096
.LBB33_38:
	s_endpgm
	.section	.rodata,"a",@progbits
	.p2align	6, 0x0
	.amdhsa_kernel _ZN7rocprim17ROCPRIM_400000_NS6detail17trampoline_kernelINS0_14default_configENS1_38merge_sort_block_merge_config_selectorIjN6thrust23THRUST_200600_302600_NS5tupleIffNS6_9null_typeES8_S8_S8_S8_S8_S8_S8_EEEEZZNS1_27merge_sort_block_merge_implIS3_NS6_6detail15normal_iteratorINS6_10device_ptrIjEEEENSD_INSE_IS9_EEEEjNS1_19radix_merge_compareILb0ELb0EjNS0_19identity_decomposerEEEEE10hipError_tT0_T1_T2_jT3_P12ihipStream_tbPNSt15iterator_traitsISN_E10value_typeEPNST_ISO_E10value_typeEPSP_NS1_7vsmem_tEENKUlT_SN_SO_SP_E_clIPjSG_PS9_SI_EESM_S12_SN_SO_SP_EUlS12_E0_NS1_11comp_targetILNS1_3genE0ELNS1_11target_archE4294967295ELNS1_3gpuE0ELNS1_3repE0EEENS1_38merge_mergepath_config_static_selectorELNS0_4arch9wavefront6targetE0EEEvSO_
		.amdhsa_group_segment_fixed_size 8448
		.amdhsa_private_segment_fixed_size 0
		.amdhsa_kernarg_size 320
		.amdhsa_user_sgpr_count 2
		.amdhsa_user_sgpr_dispatch_ptr 0
		.amdhsa_user_sgpr_queue_ptr 0
		.amdhsa_user_sgpr_kernarg_segment_ptr 1
		.amdhsa_user_sgpr_dispatch_id 0
		.amdhsa_user_sgpr_kernarg_preload_length 0
		.amdhsa_user_sgpr_kernarg_preload_offset 0
		.amdhsa_user_sgpr_private_segment_size 0
		.amdhsa_wavefront_size32 1
		.amdhsa_uses_dynamic_stack 0
		.amdhsa_enable_private_segment 0
		.amdhsa_system_sgpr_workgroup_id_x 1
		.amdhsa_system_sgpr_workgroup_id_y 1
		.amdhsa_system_sgpr_workgroup_id_z 1
		.amdhsa_system_sgpr_workgroup_info 0
		.amdhsa_system_vgpr_workitem_id 0
		.amdhsa_next_free_vgpr 18
		.amdhsa_next_free_sgpr 30
		.amdhsa_named_barrier_count 0
		.amdhsa_reserve_vcc 1
		.amdhsa_float_round_mode_32 0
		.amdhsa_float_round_mode_16_64 0
		.amdhsa_float_denorm_mode_32 3
		.amdhsa_float_denorm_mode_16_64 3
		.amdhsa_fp16_overflow 0
		.amdhsa_memory_ordered 1
		.amdhsa_forward_progress 1
		.amdhsa_inst_pref_size 17
		.amdhsa_round_robin_scheduling 0
		.amdhsa_exception_fp_ieee_invalid_op 0
		.amdhsa_exception_fp_denorm_src 0
		.amdhsa_exception_fp_ieee_div_zero 0
		.amdhsa_exception_fp_ieee_overflow 0
		.amdhsa_exception_fp_ieee_underflow 0
		.amdhsa_exception_fp_ieee_inexact 0
		.amdhsa_exception_int_div_zero 0
	.end_amdhsa_kernel
	.section	.text._ZN7rocprim17ROCPRIM_400000_NS6detail17trampoline_kernelINS0_14default_configENS1_38merge_sort_block_merge_config_selectorIjN6thrust23THRUST_200600_302600_NS5tupleIffNS6_9null_typeES8_S8_S8_S8_S8_S8_S8_EEEEZZNS1_27merge_sort_block_merge_implIS3_NS6_6detail15normal_iteratorINS6_10device_ptrIjEEEENSD_INSE_IS9_EEEEjNS1_19radix_merge_compareILb0ELb0EjNS0_19identity_decomposerEEEEE10hipError_tT0_T1_T2_jT3_P12ihipStream_tbPNSt15iterator_traitsISN_E10value_typeEPNST_ISO_E10value_typeEPSP_NS1_7vsmem_tEENKUlT_SN_SO_SP_E_clIPjSG_PS9_SI_EESM_S12_SN_SO_SP_EUlS12_E0_NS1_11comp_targetILNS1_3genE0ELNS1_11target_archE4294967295ELNS1_3gpuE0ELNS1_3repE0EEENS1_38merge_mergepath_config_static_selectorELNS0_4arch9wavefront6targetE0EEEvSO_,"axG",@progbits,_ZN7rocprim17ROCPRIM_400000_NS6detail17trampoline_kernelINS0_14default_configENS1_38merge_sort_block_merge_config_selectorIjN6thrust23THRUST_200600_302600_NS5tupleIffNS6_9null_typeES8_S8_S8_S8_S8_S8_S8_EEEEZZNS1_27merge_sort_block_merge_implIS3_NS6_6detail15normal_iteratorINS6_10device_ptrIjEEEENSD_INSE_IS9_EEEEjNS1_19radix_merge_compareILb0ELb0EjNS0_19identity_decomposerEEEEE10hipError_tT0_T1_T2_jT3_P12ihipStream_tbPNSt15iterator_traitsISN_E10value_typeEPNST_ISO_E10value_typeEPSP_NS1_7vsmem_tEENKUlT_SN_SO_SP_E_clIPjSG_PS9_SI_EESM_S12_SN_SO_SP_EUlS12_E0_NS1_11comp_targetILNS1_3genE0ELNS1_11target_archE4294967295ELNS1_3gpuE0ELNS1_3repE0EEENS1_38merge_mergepath_config_static_selectorELNS0_4arch9wavefront6targetE0EEEvSO_,comdat
.Lfunc_end33:
	.size	_ZN7rocprim17ROCPRIM_400000_NS6detail17trampoline_kernelINS0_14default_configENS1_38merge_sort_block_merge_config_selectorIjN6thrust23THRUST_200600_302600_NS5tupleIffNS6_9null_typeES8_S8_S8_S8_S8_S8_S8_EEEEZZNS1_27merge_sort_block_merge_implIS3_NS6_6detail15normal_iteratorINS6_10device_ptrIjEEEENSD_INSE_IS9_EEEEjNS1_19radix_merge_compareILb0ELb0EjNS0_19identity_decomposerEEEEE10hipError_tT0_T1_T2_jT3_P12ihipStream_tbPNSt15iterator_traitsISN_E10value_typeEPNST_ISO_E10value_typeEPSP_NS1_7vsmem_tEENKUlT_SN_SO_SP_E_clIPjSG_PS9_SI_EESM_S12_SN_SO_SP_EUlS12_E0_NS1_11comp_targetILNS1_3genE0ELNS1_11target_archE4294967295ELNS1_3gpuE0ELNS1_3repE0EEENS1_38merge_mergepath_config_static_selectorELNS0_4arch9wavefront6targetE0EEEvSO_, .Lfunc_end33-_ZN7rocprim17ROCPRIM_400000_NS6detail17trampoline_kernelINS0_14default_configENS1_38merge_sort_block_merge_config_selectorIjN6thrust23THRUST_200600_302600_NS5tupleIffNS6_9null_typeES8_S8_S8_S8_S8_S8_S8_EEEEZZNS1_27merge_sort_block_merge_implIS3_NS6_6detail15normal_iteratorINS6_10device_ptrIjEEEENSD_INSE_IS9_EEEEjNS1_19radix_merge_compareILb0ELb0EjNS0_19identity_decomposerEEEEE10hipError_tT0_T1_T2_jT3_P12ihipStream_tbPNSt15iterator_traitsISN_E10value_typeEPNST_ISO_E10value_typeEPSP_NS1_7vsmem_tEENKUlT_SN_SO_SP_E_clIPjSG_PS9_SI_EESM_S12_SN_SO_SP_EUlS12_E0_NS1_11comp_targetILNS1_3genE0ELNS1_11target_archE4294967295ELNS1_3gpuE0ELNS1_3repE0EEENS1_38merge_mergepath_config_static_selectorELNS0_4arch9wavefront6targetE0EEEvSO_
                                        ; -- End function
	.set _ZN7rocprim17ROCPRIM_400000_NS6detail17trampoline_kernelINS0_14default_configENS1_38merge_sort_block_merge_config_selectorIjN6thrust23THRUST_200600_302600_NS5tupleIffNS6_9null_typeES8_S8_S8_S8_S8_S8_S8_EEEEZZNS1_27merge_sort_block_merge_implIS3_NS6_6detail15normal_iteratorINS6_10device_ptrIjEEEENSD_INSE_IS9_EEEEjNS1_19radix_merge_compareILb0ELb0EjNS0_19identity_decomposerEEEEE10hipError_tT0_T1_T2_jT3_P12ihipStream_tbPNSt15iterator_traitsISN_E10value_typeEPNST_ISO_E10value_typeEPSP_NS1_7vsmem_tEENKUlT_SN_SO_SP_E_clIPjSG_PS9_SI_EESM_S12_SN_SO_SP_EUlS12_E0_NS1_11comp_targetILNS1_3genE0ELNS1_11target_archE4294967295ELNS1_3gpuE0ELNS1_3repE0EEENS1_38merge_mergepath_config_static_selectorELNS0_4arch9wavefront6targetE0EEEvSO_.num_vgpr, 18
	.set _ZN7rocprim17ROCPRIM_400000_NS6detail17trampoline_kernelINS0_14default_configENS1_38merge_sort_block_merge_config_selectorIjN6thrust23THRUST_200600_302600_NS5tupleIffNS6_9null_typeES8_S8_S8_S8_S8_S8_S8_EEEEZZNS1_27merge_sort_block_merge_implIS3_NS6_6detail15normal_iteratorINS6_10device_ptrIjEEEENSD_INSE_IS9_EEEEjNS1_19radix_merge_compareILb0ELb0EjNS0_19identity_decomposerEEEEE10hipError_tT0_T1_T2_jT3_P12ihipStream_tbPNSt15iterator_traitsISN_E10value_typeEPNST_ISO_E10value_typeEPSP_NS1_7vsmem_tEENKUlT_SN_SO_SP_E_clIPjSG_PS9_SI_EESM_S12_SN_SO_SP_EUlS12_E0_NS1_11comp_targetILNS1_3genE0ELNS1_11target_archE4294967295ELNS1_3gpuE0ELNS1_3repE0EEENS1_38merge_mergepath_config_static_selectorELNS0_4arch9wavefront6targetE0EEEvSO_.num_agpr, 0
	.set _ZN7rocprim17ROCPRIM_400000_NS6detail17trampoline_kernelINS0_14default_configENS1_38merge_sort_block_merge_config_selectorIjN6thrust23THRUST_200600_302600_NS5tupleIffNS6_9null_typeES8_S8_S8_S8_S8_S8_S8_EEEEZZNS1_27merge_sort_block_merge_implIS3_NS6_6detail15normal_iteratorINS6_10device_ptrIjEEEENSD_INSE_IS9_EEEEjNS1_19radix_merge_compareILb0ELb0EjNS0_19identity_decomposerEEEEE10hipError_tT0_T1_T2_jT3_P12ihipStream_tbPNSt15iterator_traitsISN_E10value_typeEPNST_ISO_E10value_typeEPSP_NS1_7vsmem_tEENKUlT_SN_SO_SP_E_clIPjSG_PS9_SI_EESM_S12_SN_SO_SP_EUlS12_E0_NS1_11comp_targetILNS1_3genE0ELNS1_11target_archE4294967295ELNS1_3gpuE0ELNS1_3repE0EEENS1_38merge_mergepath_config_static_selectorELNS0_4arch9wavefront6targetE0EEEvSO_.numbered_sgpr, 30
	.set _ZN7rocprim17ROCPRIM_400000_NS6detail17trampoline_kernelINS0_14default_configENS1_38merge_sort_block_merge_config_selectorIjN6thrust23THRUST_200600_302600_NS5tupleIffNS6_9null_typeES8_S8_S8_S8_S8_S8_S8_EEEEZZNS1_27merge_sort_block_merge_implIS3_NS6_6detail15normal_iteratorINS6_10device_ptrIjEEEENSD_INSE_IS9_EEEEjNS1_19radix_merge_compareILb0ELb0EjNS0_19identity_decomposerEEEEE10hipError_tT0_T1_T2_jT3_P12ihipStream_tbPNSt15iterator_traitsISN_E10value_typeEPNST_ISO_E10value_typeEPSP_NS1_7vsmem_tEENKUlT_SN_SO_SP_E_clIPjSG_PS9_SI_EESM_S12_SN_SO_SP_EUlS12_E0_NS1_11comp_targetILNS1_3genE0ELNS1_11target_archE4294967295ELNS1_3gpuE0ELNS1_3repE0EEENS1_38merge_mergepath_config_static_selectorELNS0_4arch9wavefront6targetE0EEEvSO_.num_named_barrier, 0
	.set _ZN7rocprim17ROCPRIM_400000_NS6detail17trampoline_kernelINS0_14default_configENS1_38merge_sort_block_merge_config_selectorIjN6thrust23THRUST_200600_302600_NS5tupleIffNS6_9null_typeES8_S8_S8_S8_S8_S8_S8_EEEEZZNS1_27merge_sort_block_merge_implIS3_NS6_6detail15normal_iteratorINS6_10device_ptrIjEEEENSD_INSE_IS9_EEEEjNS1_19radix_merge_compareILb0ELb0EjNS0_19identity_decomposerEEEEE10hipError_tT0_T1_T2_jT3_P12ihipStream_tbPNSt15iterator_traitsISN_E10value_typeEPNST_ISO_E10value_typeEPSP_NS1_7vsmem_tEENKUlT_SN_SO_SP_E_clIPjSG_PS9_SI_EESM_S12_SN_SO_SP_EUlS12_E0_NS1_11comp_targetILNS1_3genE0ELNS1_11target_archE4294967295ELNS1_3gpuE0ELNS1_3repE0EEENS1_38merge_mergepath_config_static_selectorELNS0_4arch9wavefront6targetE0EEEvSO_.private_seg_size, 0
	.set _ZN7rocprim17ROCPRIM_400000_NS6detail17trampoline_kernelINS0_14default_configENS1_38merge_sort_block_merge_config_selectorIjN6thrust23THRUST_200600_302600_NS5tupleIffNS6_9null_typeES8_S8_S8_S8_S8_S8_S8_EEEEZZNS1_27merge_sort_block_merge_implIS3_NS6_6detail15normal_iteratorINS6_10device_ptrIjEEEENSD_INSE_IS9_EEEEjNS1_19radix_merge_compareILb0ELb0EjNS0_19identity_decomposerEEEEE10hipError_tT0_T1_T2_jT3_P12ihipStream_tbPNSt15iterator_traitsISN_E10value_typeEPNST_ISO_E10value_typeEPSP_NS1_7vsmem_tEENKUlT_SN_SO_SP_E_clIPjSG_PS9_SI_EESM_S12_SN_SO_SP_EUlS12_E0_NS1_11comp_targetILNS1_3genE0ELNS1_11target_archE4294967295ELNS1_3gpuE0ELNS1_3repE0EEENS1_38merge_mergepath_config_static_selectorELNS0_4arch9wavefront6targetE0EEEvSO_.uses_vcc, 1
	.set _ZN7rocprim17ROCPRIM_400000_NS6detail17trampoline_kernelINS0_14default_configENS1_38merge_sort_block_merge_config_selectorIjN6thrust23THRUST_200600_302600_NS5tupleIffNS6_9null_typeES8_S8_S8_S8_S8_S8_S8_EEEEZZNS1_27merge_sort_block_merge_implIS3_NS6_6detail15normal_iteratorINS6_10device_ptrIjEEEENSD_INSE_IS9_EEEEjNS1_19radix_merge_compareILb0ELb0EjNS0_19identity_decomposerEEEEE10hipError_tT0_T1_T2_jT3_P12ihipStream_tbPNSt15iterator_traitsISN_E10value_typeEPNST_ISO_E10value_typeEPSP_NS1_7vsmem_tEENKUlT_SN_SO_SP_E_clIPjSG_PS9_SI_EESM_S12_SN_SO_SP_EUlS12_E0_NS1_11comp_targetILNS1_3genE0ELNS1_11target_archE4294967295ELNS1_3gpuE0ELNS1_3repE0EEENS1_38merge_mergepath_config_static_selectorELNS0_4arch9wavefront6targetE0EEEvSO_.uses_flat_scratch, 0
	.set _ZN7rocprim17ROCPRIM_400000_NS6detail17trampoline_kernelINS0_14default_configENS1_38merge_sort_block_merge_config_selectorIjN6thrust23THRUST_200600_302600_NS5tupleIffNS6_9null_typeES8_S8_S8_S8_S8_S8_S8_EEEEZZNS1_27merge_sort_block_merge_implIS3_NS6_6detail15normal_iteratorINS6_10device_ptrIjEEEENSD_INSE_IS9_EEEEjNS1_19radix_merge_compareILb0ELb0EjNS0_19identity_decomposerEEEEE10hipError_tT0_T1_T2_jT3_P12ihipStream_tbPNSt15iterator_traitsISN_E10value_typeEPNST_ISO_E10value_typeEPSP_NS1_7vsmem_tEENKUlT_SN_SO_SP_E_clIPjSG_PS9_SI_EESM_S12_SN_SO_SP_EUlS12_E0_NS1_11comp_targetILNS1_3genE0ELNS1_11target_archE4294967295ELNS1_3gpuE0ELNS1_3repE0EEENS1_38merge_mergepath_config_static_selectorELNS0_4arch9wavefront6targetE0EEEvSO_.has_dyn_sized_stack, 0
	.set _ZN7rocprim17ROCPRIM_400000_NS6detail17trampoline_kernelINS0_14default_configENS1_38merge_sort_block_merge_config_selectorIjN6thrust23THRUST_200600_302600_NS5tupleIffNS6_9null_typeES8_S8_S8_S8_S8_S8_S8_EEEEZZNS1_27merge_sort_block_merge_implIS3_NS6_6detail15normal_iteratorINS6_10device_ptrIjEEEENSD_INSE_IS9_EEEEjNS1_19radix_merge_compareILb0ELb0EjNS0_19identity_decomposerEEEEE10hipError_tT0_T1_T2_jT3_P12ihipStream_tbPNSt15iterator_traitsISN_E10value_typeEPNST_ISO_E10value_typeEPSP_NS1_7vsmem_tEENKUlT_SN_SO_SP_E_clIPjSG_PS9_SI_EESM_S12_SN_SO_SP_EUlS12_E0_NS1_11comp_targetILNS1_3genE0ELNS1_11target_archE4294967295ELNS1_3gpuE0ELNS1_3repE0EEENS1_38merge_mergepath_config_static_selectorELNS0_4arch9wavefront6targetE0EEEvSO_.has_recursion, 0
	.set _ZN7rocprim17ROCPRIM_400000_NS6detail17trampoline_kernelINS0_14default_configENS1_38merge_sort_block_merge_config_selectorIjN6thrust23THRUST_200600_302600_NS5tupleIffNS6_9null_typeES8_S8_S8_S8_S8_S8_S8_EEEEZZNS1_27merge_sort_block_merge_implIS3_NS6_6detail15normal_iteratorINS6_10device_ptrIjEEEENSD_INSE_IS9_EEEEjNS1_19radix_merge_compareILb0ELb0EjNS0_19identity_decomposerEEEEE10hipError_tT0_T1_T2_jT3_P12ihipStream_tbPNSt15iterator_traitsISN_E10value_typeEPNST_ISO_E10value_typeEPSP_NS1_7vsmem_tEENKUlT_SN_SO_SP_E_clIPjSG_PS9_SI_EESM_S12_SN_SO_SP_EUlS12_E0_NS1_11comp_targetILNS1_3genE0ELNS1_11target_archE4294967295ELNS1_3gpuE0ELNS1_3repE0EEENS1_38merge_mergepath_config_static_selectorELNS0_4arch9wavefront6targetE0EEEvSO_.has_indirect_call, 0
	.section	.AMDGPU.csdata,"",@progbits
; Kernel info:
; codeLenInByte = 2176
; TotalNumSgprs: 32
; NumVgprs: 18
; ScratchSize: 0
; MemoryBound: 0
; FloatMode: 240
; IeeeMode: 1
; LDSByteSize: 8448 bytes/workgroup (compile time only)
; SGPRBlocks: 0
; VGPRBlocks: 1
; NumSGPRsForWavesPerEU: 32
; NumVGPRsForWavesPerEU: 18
; NamedBarCnt: 0
; Occupancy: 16
; WaveLimiterHint : 1
; COMPUTE_PGM_RSRC2:SCRATCH_EN: 0
; COMPUTE_PGM_RSRC2:USER_SGPR: 2
; COMPUTE_PGM_RSRC2:TRAP_HANDLER: 0
; COMPUTE_PGM_RSRC2:TGID_X_EN: 1
; COMPUTE_PGM_RSRC2:TGID_Y_EN: 1
; COMPUTE_PGM_RSRC2:TGID_Z_EN: 1
; COMPUTE_PGM_RSRC2:TIDIG_COMP_CNT: 0
	.section	.text._ZN7rocprim17ROCPRIM_400000_NS6detail17trampoline_kernelINS0_14default_configENS1_38merge_sort_block_merge_config_selectorIjN6thrust23THRUST_200600_302600_NS5tupleIffNS6_9null_typeES8_S8_S8_S8_S8_S8_S8_EEEEZZNS1_27merge_sort_block_merge_implIS3_NS6_6detail15normal_iteratorINS6_10device_ptrIjEEEENSD_INSE_IS9_EEEEjNS1_19radix_merge_compareILb0ELb0EjNS0_19identity_decomposerEEEEE10hipError_tT0_T1_T2_jT3_P12ihipStream_tbPNSt15iterator_traitsISN_E10value_typeEPNST_ISO_E10value_typeEPSP_NS1_7vsmem_tEENKUlT_SN_SO_SP_E_clIPjSG_PS9_SI_EESM_S12_SN_SO_SP_EUlS12_E0_NS1_11comp_targetILNS1_3genE10ELNS1_11target_archE1201ELNS1_3gpuE5ELNS1_3repE0EEENS1_38merge_mergepath_config_static_selectorELNS0_4arch9wavefront6targetE0EEEvSO_,"axG",@progbits,_ZN7rocprim17ROCPRIM_400000_NS6detail17trampoline_kernelINS0_14default_configENS1_38merge_sort_block_merge_config_selectorIjN6thrust23THRUST_200600_302600_NS5tupleIffNS6_9null_typeES8_S8_S8_S8_S8_S8_S8_EEEEZZNS1_27merge_sort_block_merge_implIS3_NS6_6detail15normal_iteratorINS6_10device_ptrIjEEEENSD_INSE_IS9_EEEEjNS1_19radix_merge_compareILb0ELb0EjNS0_19identity_decomposerEEEEE10hipError_tT0_T1_T2_jT3_P12ihipStream_tbPNSt15iterator_traitsISN_E10value_typeEPNST_ISO_E10value_typeEPSP_NS1_7vsmem_tEENKUlT_SN_SO_SP_E_clIPjSG_PS9_SI_EESM_S12_SN_SO_SP_EUlS12_E0_NS1_11comp_targetILNS1_3genE10ELNS1_11target_archE1201ELNS1_3gpuE5ELNS1_3repE0EEENS1_38merge_mergepath_config_static_selectorELNS0_4arch9wavefront6targetE0EEEvSO_,comdat
	.protected	_ZN7rocprim17ROCPRIM_400000_NS6detail17trampoline_kernelINS0_14default_configENS1_38merge_sort_block_merge_config_selectorIjN6thrust23THRUST_200600_302600_NS5tupleIffNS6_9null_typeES8_S8_S8_S8_S8_S8_S8_EEEEZZNS1_27merge_sort_block_merge_implIS3_NS6_6detail15normal_iteratorINS6_10device_ptrIjEEEENSD_INSE_IS9_EEEEjNS1_19radix_merge_compareILb0ELb0EjNS0_19identity_decomposerEEEEE10hipError_tT0_T1_T2_jT3_P12ihipStream_tbPNSt15iterator_traitsISN_E10value_typeEPNST_ISO_E10value_typeEPSP_NS1_7vsmem_tEENKUlT_SN_SO_SP_E_clIPjSG_PS9_SI_EESM_S12_SN_SO_SP_EUlS12_E0_NS1_11comp_targetILNS1_3genE10ELNS1_11target_archE1201ELNS1_3gpuE5ELNS1_3repE0EEENS1_38merge_mergepath_config_static_selectorELNS0_4arch9wavefront6targetE0EEEvSO_ ; -- Begin function _ZN7rocprim17ROCPRIM_400000_NS6detail17trampoline_kernelINS0_14default_configENS1_38merge_sort_block_merge_config_selectorIjN6thrust23THRUST_200600_302600_NS5tupleIffNS6_9null_typeES8_S8_S8_S8_S8_S8_S8_EEEEZZNS1_27merge_sort_block_merge_implIS3_NS6_6detail15normal_iteratorINS6_10device_ptrIjEEEENSD_INSE_IS9_EEEEjNS1_19radix_merge_compareILb0ELb0EjNS0_19identity_decomposerEEEEE10hipError_tT0_T1_T2_jT3_P12ihipStream_tbPNSt15iterator_traitsISN_E10value_typeEPNST_ISO_E10value_typeEPSP_NS1_7vsmem_tEENKUlT_SN_SO_SP_E_clIPjSG_PS9_SI_EESM_S12_SN_SO_SP_EUlS12_E0_NS1_11comp_targetILNS1_3genE10ELNS1_11target_archE1201ELNS1_3gpuE5ELNS1_3repE0EEENS1_38merge_mergepath_config_static_selectorELNS0_4arch9wavefront6targetE0EEEvSO_
	.globl	_ZN7rocprim17ROCPRIM_400000_NS6detail17trampoline_kernelINS0_14default_configENS1_38merge_sort_block_merge_config_selectorIjN6thrust23THRUST_200600_302600_NS5tupleIffNS6_9null_typeES8_S8_S8_S8_S8_S8_S8_EEEEZZNS1_27merge_sort_block_merge_implIS3_NS6_6detail15normal_iteratorINS6_10device_ptrIjEEEENSD_INSE_IS9_EEEEjNS1_19radix_merge_compareILb0ELb0EjNS0_19identity_decomposerEEEEE10hipError_tT0_T1_T2_jT3_P12ihipStream_tbPNSt15iterator_traitsISN_E10value_typeEPNST_ISO_E10value_typeEPSP_NS1_7vsmem_tEENKUlT_SN_SO_SP_E_clIPjSG_PS9_SI_EESM_S12_SN_SO_SP_EUlS12_E0_NS1_11comp_targetILNS1_3genE10ELNS1_11target_archE1201ELNS1_3gpuE5ELNS1_3repE0EEENS1_38merge_mergepath_config_static_selectorELNS0_4arch9wavefront6targetE0EEEvSO_
	.p2align	8
	.type	_ZN7rocprim17ROCPRIM_400000_NS6detail17trampoline_kernelINS0_14default_configENS1_38merge_sort_block_merge_config_selectorIjN6thrust23THRUST_200600_302600_NS5tupleIffNS6_9null_typeES8_S8_S8_S8_S8_S8_S8_EEEEZZNS1_27merge_sort_block_merge_implIS3_NS6_6detail15normal_iteratorINS6_10device_ptrIjEEEENSD_INSE_IS9_EEEEjNS1_19radix_merge_compareILb0ELb0EjNS0_19identity_decomposerEEEEE10hipError_tT0_T1_T2_jT3_P12ihipStream_tbPNSt15iterator_traitsISN_E10value_typeEPNST_ISO_E10value_typeEPSP_NS1_7vsmem_tEENKUlT_SN_SO_SP_E_clIPjSG_PS9_SI_EESM_S12_SN_SO_SP_EUlS12_E0_NS1_11comp_targetILNS1_3genE10ELNS1_11target_archE1201ELNS1_3gpuE5ELNS1_3repE0EEENS1_38merge_mergepath_config_static_selectorELNS0_4arch9wavefront6targetE0EEEvSO_,@function
_ZN7rocprim17ROCPRIM_400000_NS6detail17trampoline_kernelINS0_14default_configENS1_38merge_sort_block_merge_config_selectorIjN6thrust23THRUST_200600_302600_NS5tupleIffNS6_9null_typeES8_S8_S8_S8_S8_S8_S8_EEEEZZNS1_27merge_sort_block_merge_implIS3_NS6_6detail15normal_iteratorINS6_10device_ptrIjEEEENSD_INSE_IS9_EEEEjNS1_19radix_merge_compareILb0ELb0EjNS0_19identity_decomposerEEEEE10hipError_tT0_T1_T2_jT3_P12ihipStream_tbPNSt15iterator_traitsISN_E10value_typeEPNST_ISO_E10value_typeEPSP_NS1_7vsmem_tEENKUlT_SN_SO_SP_E_clIPjSG_PS9_SI_EESM_S12_SN_SO_SP_EUlS12_E0_NS1_11comp_targetILNS1_3genE10ELNS1_11target_archE1201ELNS1_3gpuE5ELNS1_3repE0EEENS1_38merge_mergepath_config_static_selectorELNS0_4arch9wavefront6targetE0EEEvSO_: ; @_ZN7rocprim17ROCPRIM_400000_NS6detail17trampoline_kernelINS0_14default_configENS1_38merge_sort_block_merge_config_selectorIjN6thrust23THRUST_200600_302600_NS5tupleIffNS6_9null_typeES8_S8_S8_S8_S8_S8_S8_EEEEZZNS1_27merge_sort_block_merge_implIS3_NS6_6detail15normal_iteratorINS6_10device_ptrIjEEEENSD_INSE_IS9_EEEEjNS1_19radix_merge_compareILb0ELb0EjNS0_19identity_decomposerEEEEE10hipError_tT0_T1_T2_jT3_P12ihipStream_tbPNSt15iterator_traitsISN_E10value_typeEPNST_ISO_E10value_typeEPSP_NS1_7vsmem_tEENKUlT_SN_SO_SP_E_clIPjSG_PS9_SI_EESM_S12_SN_SO_SP_EUlS12_E0_NS1_11comp_targetILNS1_3genE10ELNS1_11target_archE1201ELNS1_3gpuE5ELNS1_3repE0EEENS1_38merge_mergepath_config_static_selectorELNS0_4arch9wavefront6targetE0EEEvSO_
; %bb.0:
	.section	.rodata,"a",@progbits
	.p2align	6, 0x0
	.amdhsa_kernel _ZN7rocprim17ROCPRIM_400000_NS6detail17trampoline_kernelINS0_14default_configENS1_38merge_sort_block_merge_config_selectorIjN6thrust23THRUST_200600_302600_NS5tupleIffNS6_9null_typeES8_S8_S8_S8_S8_S8_S8_EEEEZZNS1_27merge_sort_block_merge_implIS3_NS6_6detail15normal_iteratorINS6_10device_ptrIjEEEENSD_INSE_IS9_EEEEjNS1_19radix_merge_compareILb0ELb0EjNS0_19identity_decomposerEEEEE10hipError_tT0_T1_T2_jT3_P12ihipStream_tbPNSt15iterator_traitsISN_E10value_typeEPNST_ISO_E10value_typeEPSP_NS1_7vsmem_tEENKUlT_SN_SO_SP_E_clIPjSG_PS9_SI_EESM_S12_SN_SO_SP_EUlS12_E0_NS1_11comp_targetILNS1_3genE10ELNS1_11target_archE1201ELNS1_3gpuE5ELNS1_3repE0EEENS1_38merge_mergepath_config_static_selectorELNS0_4arch9wavefront6targetE0EEEvSO_
		.amdhsa_group_segment_fixed_size 0
		.amdhsa_private_segment_fixed_size 0
		.amdhsa_kernarg_size 64
		.amdhsa_user_sgpr_count 2
		.amdhsa_user_sgpr_dispatch_ptr 0
		.amdhsa_user_sgpr_queue_ptr 0
		.amdhsa_user_sgpr_kernarg_segment_ptr 1
		.amdhsa_user_sgpr_dispatch_id 0
		.amdhsa_user_sgpr_kernarg_preload_length 0
		.amdhsa_user_sgpr_kernarg_preload_offset 0
		.amdhsa_user_sgpr_private_segment_size 0
		.amdhsa_wavefront_size32 1
		.amdhsa_uses_dynamic_stack 0
		.amdhsa_enable_private_segment 0
		.amdhsa_system_sgpr_workgroup_id_x 1
		.amdhsa_system_sgpr_workgroup_id_y 0
		.amdhsa_system_sgpr_workgroup_id_z 0
		.amdhsa_system_sgpr_workgroup_info 0
		.amdhsa_system_vgpr_workitem_id 0
		.amdhsa_next_free_vgpr 1
		.amdhsa_next_free_sgpr 1
		.amdhsa_named_barrier_count 0
		.amdhsa_reserve_vcc 0
		.amdhsa_float_round_mode_32 0
		.amdhsa_float_round_mode_16_64 0
		.amdhsa_float_denorm_mode_32 3
		.amdhsa_float_denorm_mode_16_64 3
		.amdhsa_fp16_overflow 0
		.amdhsa_memory_ordered 1
		.amdhsa_forward_progress 1
		.amdhsa_inst_pref_size 0
		.amdhsa_round_robin_scheduling 0
		.amdhsa_exception_fp_ieee_invalid_op 0
		.amdhsa_exception_fp_denorm_src 0
		.amdhsa_exception_fp_ieee_div_zero 0
		.amdhsa_exception_fp_ieee_overflow 0
		.amdhsa_exception_fp_ieee_underflow 0
		.amdhsa_exception_fp_ieee_inexact 0
		.amdhsa_exception_int_div_zero 0
	.end_amdhsa_kernel
	.section	.text._ZN7rocprim17ROCPRIM_400000_NS6detail17trampoline_kernelINS0_14default_configENS1_38merge_sort_block_merge_config_selectorIjN6thrust23THRUST_200600_302600_NS5tupleIffNS6_9null_typeES8_S8_S8_S8_S8_S8_S8_EEEEZZNS1_27merge_sort_block_merge_implIS3_NS6_6detail15normal_iteratorINS6_10device_ptrIjEEEENSD_INSE_IS9_EEEEjNS1_19radix_merge_compareILb0ELb0EjNS0_19identity_decomposerEEEEE10hipError_tT0_T1_T2_jT3_P12ihipStream_tbPNSt15iterator_traitsISN_E10value_typeEPNST_ISO_E10value_typeEPSP_NS1_7vsmem_tEENKUlT_SN_SO_SP_E_clIPjSG_PS9_SI_EESM_S12_SN_SO_SP_EUlS12_E0_NS1_11comp_targetILNS1_3genE10ELNS1_11target_archE1201ELNS1_3gpuE5ELNS1_3repE0EEENS1_38merge_mergepath_config_static_selectorELNS0_4arch9wavefront6targetE0EEEvSO_,"axG",@progbits,_ZN7rocprim17ROCPRIM_400000_NS6detail17trampoline_kernelINS0_14default_configENS1_38merge_sort_block_merge_config_selectorIjN6thrust23THRUST_200600_302600_NS5tupleIffNS6_9null_typeES8_S8_S8_S8_S8_S8_S8_EEEEZZNS1_27merge_sort_block_merge_implIS3_NS6_6detail15normal_iteratorINS6_10device_ptrIjEEEENSD_INSE_IS9_EEEEjNS1_19radix_merge_compareILb0ELb0EjNS0_19identity_decomposerEEEEE10hipError_tT0_T1_T2_jT3_P12ihipStream_tbPNSt15iterator_traitsISN_E10value_typeEPNST_ISO_E10value_typeEPSP_NS1_7vsmem_tEENKUlT_SN_SO_SP_E_clIPjSG_PS9_SI_EESM_S12_SN_SO_SP_EUlS12_E0_NS1_11comp_targetILNS1_3genE10ELNS1_11target_archE1201ELNS1_3gpuE5ELNS1_3repE0EEENS1_38merge_mergepath_config_static_selectorELNS0_4arch9wavefront6targetE0EEEvSO_,comdat
.Lfunc_end34:
	.size	_ZN7rocprim17ROCPRIM_400000_NS6detail17trampoline_kernelINS0_14default_configENS1_38merge_sort_block_merge_config_selectorIjN6thrust23THRUST_200600_302600_NS5tupleIffNS6_9null_typeES8_S8_S8_S8_S8_S8_S8_EEEEZZNS1_27merge_sort_block_merge_implIS3_NS6_6detail15normal_iteratorINS6_10device_ptrIjEEEENSD_INSE_IS9_EEEEjNS1_19radix_merge_compareILb0ELb0EjNS0_19identity_decomposerEEEEE10hipError_tT0_T1_T2_jT3_P12ihipStream_tbPNSt15iterator_traitsISN_E10value_typeEPNST_ISO_E10value_typeEPSP_NS1_7vsmem_tEENKUlT_SN_SO_SP_E_clIPjSG_PS9_SI_EESM_S12_SN_SO_SP_EUlS12_E0_NS1_11comp_targetILNS1_3genE10ELNS1_11target_archE1201ELNS1_3gpuE5ELNS1_3repE0EEENS1_38merge_mergepath_config_static_selectorELNS0_4arch9wavefront6targetE0EEEvSO_, .Lfunc_end34-_ZN7rocprim17ROCPRIM_400000_NS6detail17trampoline_kernelINS0_14default_configENS1_38merge_sort_block_merge_config_selectorIjN6thrust23THRUST_200600_302600_NS5tupleIffNS6_9null_typeES8_S8_S8_S8_S8_S8_S8_EEEEZZNS1_27merge_sort_block_merge_implIS3_NS6_6detail15normal_iteratorINS6_10device_ptrIjEEEENSD_INSE_IS9_EEEEjNS1_19radix_merge_compareILb0ELb0EjNS0_19identity_decomposerEEEEE10hipError_tT0_T1_T2_jT3_P12ihipStream_tbPNSt15iterator_traitsISN_E10value_typeEPNST_ISO_E10value_typeEPSP_NS1_7vsmem_tEENKUlT_SN_SO_SP_E_clIPjSG_PS9_SI_EESM_S12_SN_SO_SP_EUlS12_E0_NS1_11comp_targetILNS1_3genE10ELNS1_11target_archE1201ELNS1_3gpuE5ELNS1_3repE0EEENS1_38merge_mergepath_config_static_selectorELNS0_4arch9wavefront6targetE0EEEvSO_
                                        ; -- End function
	.set _ZN7rocprim17ROCPRIM_400000_NS6detail17trampoline_kernelINS0_14default_configENS1_38merge_sort_block_merge_config_selectorIjN6thrust23THRUST_200600_302600_NS5tupleIffNS6_9null_typeES8_S8_S8_S8_S8_S8_S8_EEEEZZNS1_27merge_sort_block_merge_implIS3_NS6_6detail15normal_iteratorINS6_10device_ptrIjEEEENSD_INSE_IS9_EEEEjNS1_19radix_merge_compareILb0ELb0EjNS0_19identity_decomposerEEEEE10hipError_tT0_T1_T2_jT3_P12ihipStream_tbPNSt15iterator_traitsISN_E10value_typeEPNST_ISO_E10value_typeEPSP_NS1_7vsmem_tEENKUlT_SN_SO_SP_E_clIPjSG_PS9_SI_EESM_S12_SN_SO_SP_EUlS12_E0_NS1_11comp_targetILNS1_3genE10ELNS1_11target_archE1201ELNS1_3gpuE5ELNS1_3repE0EEENS1_38merge_mergepath_config_static_selectorELNS0_4arch9wavefront6targetE0EEEvSO_.num_vgpr, 0
	.set _ZN7rocprim17ROCPRIM_400000_NS6detail17trampoline_kernelINS0_14default_configENS1_38merge_sort_block_merge_config_selectorIjN6thrust23THRUST_200600_302600_NS5tupleIffNS6_9null_typeES8_S8_S8_S8_S8_S8_S8_EEEEZZNS1_27merge_sort_block_merge_implIS3_NS6_6detail15normal_iteratorINS6_10device_ptrIjEEEENSD_INSE_IS9_EEEEjNS1_19radix_merge_compareILb0ELb0EjNS0_19identity_decomposerEEEEE10hipError_tT0_T1_T2_jT3_P12ihipStream_tbPNSt15iterator_traitsISN_E10value_typeEPNST_ISO_E10value_typeEPSP_NS1_7vsmem_tEENKUlT_SN_SO_SP_E_clIPjSG_PS9_SI_EESM_S12_SN_SO_SP_EUlS12_E0_NS1_11comp_targetILNS1_3genE10ELNS1_11target_archE1201ELNS1_3gpuE5ELNS1_3repE0EEENS1_38merge_mergepath_config_static_selectorELNS0_4arch9wavefront6targetE0EEEvSO_.num_agpr, 0
	.set _ZN7rocprim17ROCPRIM_400000_NS6detail17trampoline_kernelINS0_14default_configENS1_38merge_sort_block_merge_config_selectorIjN6thrust23THRUST_200600_302600_NS5tupleIffNS6_9null_typeES8_S8_S8_S8_S8_S8_S8_EEEEZZNS1_27merge_sort_block_merge_implIS3_NS6_6detail15normal_iteratorINS6_10device_ptrIjEEEENSD_INSE_IS9_EEEEjNS1_19radix_merge_compareILb0ELb0EjNS0_19identity_decomposerEEEEE10hipError_tT0_T1_T2_jT3_P12ihipStream_tbPNSt15iterator_traitsISN_E10value_typeEPNST_ISO_E10value_typeEPSP_NS1_7vsmem_tEENKUlT_SN_SO_SP_E_clIPjSG_PS9_SI_EESM_S12_SN_SO_SP_EUlS12_E0_NS1_11comp_targetILNS1_3genE10ELNS1_11target_archE1201ELNS1_3gpuE5ELNS1_3repE0EEENS1_38merge_mergepath_config_static_selectorELNS0_4arch9wavefront6targetE0EEEvSO_.numbered_sgpr, 0
	.set _ZN7rocprim17ROCPRIM_400000_NS6detail17trampoline_kernelINS0_14default_configENS1_38merge_sort_block_merge_config_selectorIjN6thrust23THRUST_200600_302600_NS5tupleIffNS6_9null_typeES8_S8_S8_S8_S8_S8_S8_EEEEZZNS1_27merge_sort_block_merge_implIS3_NS6_6detail15normal_iteratorINS6_10device_ptrIjEEEENSD_INSE_IS9_EEEEjNS1_19radix_merge_compareILb0ELb0EjNS0_19identity_decomposerEEEEE10hipError_tT0_T1_T2_jT3_P12ihipStream_tbPNSt15iterator_traitsISN_E10value_typeEPNST_ISO_E10value_typeEPSP_NS1_7vsmem_tEENKUlT_SN_SO_SP_E_clIPjSG_PS9_SI_EESM_S12_SN_SO_SP_EUlS12_E0_NS1_11comp_targetILNS1_3genE10ELNS1_11target_archE1201ELNS1_3gpuE5ELNS1_3repE0EEENS1_38merge_mergepath_config_static_selectorELNS0_4arch9wavefront6targetE0EEEvSO_.num_named_barrier, 0
	.set _ZN7rocprim17ROCPRIM_400000_NS6detail17trampoline_kernelINS0_14default_configENS1_38merge_sort_block_merge_config_selectorIjN6thrust23THRUST_200600_302600_NS5tupleIffNS6_9null_typeES8_S8_S8_S8_S8_S8_S8_EEEEZZNS1_27merge_sort_block_merge_implIS3_NS6_6detail15normal_iteratorINS6_10device_ptrIjEEEENSD_INSE_IS9_EEEEjNS1_19radix_merge_compareILb0ELb0EjNS0_19identity_decomposerEEEEE10hipError_tT0_T1_T2_jT3_P12ihipStream_tbPNSt15iterator_traitsISN_E10value_typeEPNST_ISO_E10value_typeEPSP_NS1_7vsmem_tEENKUlT_SN_SO_SP_E_clIPjSG_PS9_SI_EESM_S12_SN_SO_SP_EUlS12_E0_NS1_11comp_targetILNS1_3genE10ELNS1_11target_archE1201ELNS1_3gpuE5ELNS1_3repE0EEENS1_38merge_mergepath_config_static_selectorELNS0_4arch9wavefront6targetE0EEEvSO_.private_seg_size, 0
	.set _ZN7rocprim17ROCPRIM_400000_NS6detail17trampoline_kernelINS0_14default_configENS1_38merge_sort_block_merge_config_selectorIjN6thrust23THRUST_200600_302600_NS5tupleIffNS6_9null_typeES8_S8_S8_S8_S8_S8_S8_EEEEZZNS1_27merge_sort_block_merge_implIS3_NS6_6detail15normal_iteratorINS6_10device_ptrIjEEEENSD_INSE_IS9_EEEEjNS1_19radix_merge_compareILb0ELb0EjNS0_19identity_decomposerEEEEE10hipError_tT0_T1_T2_jT3_P12ihipStream_tbPNSt15iterator_traitsISN_E10value_typeEPNST_ISO_E10value_typeEPSP_NS1_7vsmem_tEENKUlT_SN_SO_SP_E_clIPjSG_PS9_SI_EESM_S12_SN_SO_SP_EUlS12_E0_NS1_11comp_targetILNS1_3genE10ELNS1_11target_archE1201ELNS1_3gpuE5ELNS1_3repE0EEENS1_38merge_mergepath_config_static_selectorELNS0_4arch9wavefront6targetE0EEEvSO_.uses_vcc, 0
	.set _ZN7rocprim17ROCPRIM_400000_NS6detail17trampoline_kernelINS0_14default_configENS1_38merge_sort_block_merge_config_selectorIjN6thrust23THRUST_200600_302600_NS5tupleIffNS6_9null_typeES8_S8_S8_S8_S8_S8_S8_EEEEZZNS1_27merge_sort_block_merge_implIS3_NS6_6detail15normal_iteratorINS6_10device_ptrIjEEEENSD_INSE_IS9_EEEEjNS1_19radix_merge_compareILb0ELb0EjNS0_19identity_decomposerEEEEE10hipError_tT0_T1_T2_jT3_P12ihipStream_tbPNSt15iterator_traitsISN_E10value_typeEPNST_ISO_E10value_typeEPSP_NS1_7vsmem_tEENKUlT_SN_SO_SP_E_clIPjSG_PS9_SI_EESM_S12_SN_SO_SP_EUlS12_E0_NS1_11comp_targetILNS1_3genE10ELNS1_11target_archE1201ELNS1_3gpuE5ELNS1_3repE0EEENS1_38merge_mergepath_config_static_selectorELNS0_4arch9wavefront6targetE0EEEvSO_.uses_flat_scratch, 0
	.set _ZN7rocprim17ROCPRIM_400000_NS6detail17trampoline_kernelINS0_14default_configENS1_38merge_sort_block_merge_config_selectorIjN6thrust23THRUST_200600_302600_NS5tupleIffNS6_9null_typeES8_S8_S8_S8_S8_S8_S8_EEEEZZNS1_27merge_sort_block_merge_implIS3_NS6_6detail15normal_iteratorINS6_10device_ptrIjEEEENSD_INSE_IS9_EEEEjNS1_19radix_merge_compareILb0ELb0EjNS0_19identity_decomposerEEEEE10hipError_tT0_T1_T2_jT3_P12ihipStream_tbPNSt15iterator_traitsISN_E10value_typeEPNST_ISO_E10value_typeEPSP_NS1_7vsmem_tEENKUlT_SN_SO_SP_E_clIPjSG_PS9_SI_EESM_S12_SN_SO_SP_EUlS12_E0_NS1_11comp_targetILNS1_3genE10ELNS1_11target_archE1201ELNS1_3gpuE5ELNS1_3repE0EEENS1_38merge_mergepath_config_static_selectorELNS0_4arch9wavefront6targetE0EEEvSO_.has_dyn_sized_stack, 0
	.set _ZN7rocprim17ROCPRIM_400000_NS6detail17trampoline_kernelINS0_14default_configENS1_38merge_sort_block_merge_config_selectorIjN6thrust23THRUST_200600_302600_NS5tupleIffNS6_9null_typeES8_S8_S8_S8_S8_S8_S8_EEEEZZNS1_27merge_sort_block_merge_implIS3_NS6_6detail15normal_iteratorINS6_10device_ptrIjEEEENSD_INSE_IS9_EEEEjNS1_19radix_merge_compareILb0ELb0EjNS0_19identity_decomposerEEEEE10hipError_tT0_T1_T2_jT3_P12ihipStream_tbPNSt15iterator_traitsISN_E10value_typeEPNST_ISO_E10value_typeEPSP_NS1_7vsmem_tEENKUlT_SN_SO_SP_E_clIPjSG_PS9_SI_EESM_S12_SN_SO_SP_EUlS12_E0_NS1_11comp_targetILNS1_3genE10ELNS1_11target_archE1201ELNS1_3gpuE5ELNS1_3repE0EEENS1_38merge_mergepath_config_static_selectorELNS0_4arch9wavefront6targetE0EEEvSO_.has_recursion, 0
	.set _ZN7rocprim17ROCPRIM_400000_NS6detail17trampoline_kernelINS0_14default_configENS1_38merge_sort_block_merge_config_selectorIjN6thrust23THRUST_200600_302600_NS5tupleIffNS6_9null_typeES8_S8_S8_S8_S8_S8_S8_EEEEZZNS1_27merge_sort_block_merge_implIS3_NS6_6detail15normal_iteratorINS6_10device_ptrIjEEEENSD_INSE_IS9_EEEEjNS1_19radix_merge_compareILb0ELb0EjNS0_19identity_decomposerEEEEE10hipError_tT0_T1_T2_jT3_P12ihipStream_tbPNSt15iterator_traitsISN_E10value_typeEPNST_ISO_E10value_typeEPSP_NS1_7vsmem_tEENKUlT_SN_SO_SP_E_clIPjSG_PS9_SI_EESM_S12_SN_SO_SP_EUlS12_E0_NS1_11comp_targetILNS1_3genE10ELNS1_11target_archE1201ELNS1_3gpuE5ELNS1_3repE0EEENS1_38merge_mergepath_config_static_selectorELNS0_4arch9wavefront6targetE0EEEvSO_.has_indirect_call, 0
	.section	.AMDGPU.csdata,"",@progbits
; Kernel info:
; codeLenInByte = 0
; TotalNumSgprs: 0
; NumVgprs: 0
; ScratchSize: 0
; MemoryBound: 0
; FloatMode: 240
; IeeeMode: 1
; LDSByteSize: 0 bytes/workgroup (compile time only)
; SGPRBlocks: 0
; VGPRBlocks: 0
; NumSGPRsForWavesPerEU: 1
; NumVGPRsForWavesPerEU: 1
; NamedBarCnt: 0
; Occupancy: 16
; WaveLimiterHint : 0
; COMPUTE_PGM_RSRC2:SCRATCH_EN: 0
; COMPUTE_PGM_RSRC2:USER_SGPR: 2
; COMPUTE_PGM_RSRC2:TRAP_HANDLER: 0
; COMPUTE_PGM_RSRC2:TGID_X_EN: 1
; COMPUTE_PGM_RSRC2:TGID_Y_EN: 0
; COMPUTE_PGM_RSRC2:TGID_Z_EN: 0
; COMPUTE_PGM_RSRC2:TIDIG_COMP_CNT: 0
	.section	.text._ZN7rocprim17ROCPRIM_400000_NS6detail17trampoline_kernelINS0_14default_configENS1_38merge_sort_block_merge_config_selectorIjN6thrust23THRUST_200600_302600_NS5tupleIffNS6_9null_typeES8_S8_S8_S8_S8_S8_S8_EEEEZZNS1_27merge_sort_block_merge_implIS3_NS6_6detail15normal_iteratorINS6_10device_ptrIjEEEENSD_INSE_IS9_EEEEjNS1_19radix_merge_compareILb0ELb0EjNS0_19identity_decomposerEEEEE10hipError_tT0_T1_T2_jT3_P12ihipStream_tbPNSt15iterator_traitsISN_E10value_typeEPNST_ISO_E10value_typeEPSP_NS1_7vsmem_tEENKUlT_SN_SO_SP_E_clIPjSG_PS9_SI_EESM_S12_SN_SO_SP_EUlS12_E0_NS1_11comp_targetILNS1_3genE5ELNS1_11target_archE942ELNS1_3gpuE9ELNS1_3repE0EEENS1_38merge_mergepath_config_static_selectorELNS0_4arch9wavefront6targetE0EEEvSO_,"axG",@progbits,_ZN7rocprim17ROCPRIM_400000_NS6detail17trampoline_kernelINS0_14default_configENS1_38merge_sort_block_merge_config_selectorIjN6thrust23THRUST_200600_302600_NS5tupleIffNS6_9null_typeES8_S8_S8_S8_S8_S8_S8_EEEEZZNS1_27merge_sort_block_merge_implIS3_NS6_6detail15normal_iteratorINS6_10device_ptrIjEEEENSD_INSE_IS9_EEEEjNS1_19radix_merge_compareILb0ELb0EjNS0_19identity_decomposerEEEEE10hipError_tT0_T1_T2_jT3_P12ihipStream_tbPNSt15iterator_traitsISN_E10value_typeEPNST_ISO_E10value_typeEPSP_NS1_7vsmem_tEENKUlT_SN_SO_SP_E_clIPjSG_PS9_SI_EESM_S12_SN_SO_SP_EUlS12_E0_NS1_11comp_targetILNS1_3genE5ELNS1_11target_archE942ELNS1_3gpuE9ELNS1_3repE0EEENS1_38merge_mergepath_config_static_selectorELNS0_4arch9wavefront6targetE0EEEvSO_,comdat
	.protected	_ZN7rocprim17ROCPRIM_400000_NS6detail17trampoline_kernelINS0_14default_configENS1_38merge_sort_block_merge_config_selectorIjN6thrust23THRUST_200600_302600_NS5tupleIffNS6_9null_typeES8_S8_S8_S8_S8_S8_S8_EEEEZZNS1_27merge_sort_block_merge_implIS3_NS6_6detail15normal_iteratorINS6_10device_ptrIjEEEENSD_INSE_IS9_EEEEjNS1_19radix_merge_compareILb0ELb0EjNS0_19identity_decomposerEEEEE10hipError_tT0_T1_T2_jT3_P12ihipStream_tbPNSt15iterator_traitsISN_E10value_typeEPNST_ISO_E10value_typeEPSP_NS1_7vsmem_tEENKUlT_SN_SO_SP_E_clIPjSG_PS9_SI_EESM_S12_SN_SO_SP_EUlS12_E0_NS1_11comp_targetILNS1_3genE5ELNS1_11target_archE942ELNS1_3gpuE9ELNS1_3repE0EEENS1_38merge_mergepath_config_static_selectorELNS0_4arch9wavefront6targetE0EEEvSO_ ; -- Begin function _ZN7rocprim17ROCPRIM_400000_NS6detail17trampoline_kernelINS0_14default_configENS1_38merge_sort_block_merge_config_selectorIjN6thrust23THRUST_200600_302600_NS5tupleIffNS6_9null_typeES8_S8_S8_S8_S8_S8_S8_EEEEZZNS1_27merge_sort_block_merge_implIS3_NS6_6detail15normal_iteratorINS6_10device_ptrIjEEEENSD_INSE_IS9_EEEEjNS1_19radix_merge_compareILb0ELb0EjNS0_19identity_decomposerEEEEE10hipError_tT0_T1_T2_jT3_P12ihipStream_tbPNSt15iterator_traitsISN_E10value_typeEPNST_ISO_E10value_typeEPSP_NS1_7vsmem_tEENKUlT_SN_SO_SP_E_clIPjSG_PS9_SI_EESM_S12_SN_SO_SP_EUlS12_E0_NS1_11comp_targetILNS1_3genE5ELNS1_11target_archE942ELNS1_3gpuE9ELNS1_3repE0EEENS1_38merge_mergepath_config_static_selectorELNS0_4arch9wavefront6targetE0EEEvSO_
	.globl	_ZN7rocprim17ROCPRIM_400000_NS6detail17trampoline_kernelINS0_14default_configENS1_38merge_sort_block_merge_config_selectorIjN6thrust23THRUST_200600_302600_NS5tupleIffNS6_9null_typeES8_S8_S8_S8_S8_S8_S8_EEEEZZNS1_27merge_sort_block_merge_implIS3_NS6_6detail15normal_iteratorINS6_10device_ptrIjEEEENSD_INSE_IS9_EEEEjNS1_19radix_merge_compareILb0ELb0EjNS0_19identity_decomposerEEEEE10hipError_tT0_T1_T2_jT3_P12ihipStream_tbPNSt15iterator_traitsISN_E10value_typeEPNST_ISO_E10value_typeEPSP_NS1_7vsmem_tEENKUlT_SN_SO_SP_E_clIPjSG_PS9_SI_EESM_S12_SN_SO_SP_EUlS12_E0_NS1_11comp_targetILNS1_3genE5ELNS1_11target_archE942ELNS1_3gpuE9ELNS1_3repE0EEENS1_38merge_mergepath_config_static_selectorELNS0_4arch9wavefront6targetE0EEEvSO_
	.p2align	8
	.type	_ZN7rocprim17ROCPRIM_400000_NS6detail17trampoline_kernelINS0_14default_configENS1_38merge_sort_block_merge_config_selectorIjN6thrust23THRUST_200600_302600_NS5tupleIffNS6_9null_typeES8_S8_S8_S8_S8_S8_S8_EEEEZZNS1_27merge_sort_block_merge_implIS3_NS6_6detail15normal_iteratorINS6_10device_ptrIjEEEENSD_INSE_IS9_EEEEjNS1_19radix_merge_compareILb0ELb0EjNS0_19identity_decomposerEEEEE10hipError_tT0_T1_T2_jT3_P12ihipStream_tbPNSt15iterator_traitsISN_E10value_typeEPNST_ISO_E10value_typeEPSP_NS1_7vsmem_tEENKUlT_SN_SO_SP_E_clIPjSG_PS9_SI_EESM_S12_SN_SO_SP_EUlS12_E0_NS1_11comp_targetILNS1_3genE5ELNS1_11target_archE942ELNS1_3gpuE9ELNS1_3repE0EEENS1_38merge_mergepath_config_static_selectorELNS0_4arch9wavefront6targetE0EEEvSO_,@function
_ZN7rocprim17ROCPRIM_400000_NS6detail17trampoline_kernelINS0_14default_configENS1_38merge_sort_block_merge_config_selectorIjN6thrust23THRUST_200600_302600_NS5tupleIffNS6_9null_typeES8_S8_S8_S8_S8_S8_S8_EEEEZZNS1_27merge_sort_block_merge_implIS3_NS6_6detail15normal_iteratorINS6_10device_ptrIjEEEENSD_INSE_IS9_EEEEjNS1_19radix_merge_compareILb0ELb0EjNS0_19identity_decomposerEEEEE10hipError_tT0_T1_T2_jT3_P12ihipStream_tbPNSt15iterator_traitsISN_E10value_typeEPNST_ISO_E10value_typeEPSP_NS1_7vsmem_tEENKUlT_SN_SO_SP_E_clIPjSG_PS9_SI_EESM_S12_SN_SO_SP_EUlS12_E0_NS1_11comp_targetILNS1_3genE5ELNS1_11target_archE942ELNS1_3gpuE9ELNS1_3repE0EEENS1_38merge_mergepath_config_static_selectorELNS0_4arch9wavefront6targetE0EEEvSO_: ; @_ZN7rocprim17ROCPRIM_400000_NS6detail17trampoline_kernelINS0_14default_configENS1_38merge_sort_block_merge_config_selectorIjN6thrust23THRUST_200600_302600_NS5tupleIffNS6_9null_typeES8_S8_S8_S8_S8_S8_S8_EEEEZZNS1_27merge_sort_block_merge_implIS3_NS6_6detail15normal_iteratorINS6_10device_ptrIjEEEENSD_INSE_IS9_EEEEjNS1_19radix_merge_compareILb0ELb0EjNS0_19identity_decomposerEEEEE10hipError_tT0_T1_T2_jT3_P12ihipStream_tbPNSt15iterator_traitsISN_E10value_typeEPNST_ISO_E10value_typeEPSP_NS1_7vsmem_tEENKUlT_SN_SO_SP_E_clIPjSG_PS9_SI_EESM_S12_SN_SO_SP_EUlS12_E0_NS1_11comp_targetILNS1_3genE5ELNS1_11target_archE942ELNS1_3gpuE9ELNS1_3repE0EEENS1_38merge_mergepath_config_static_selectorELNS0_4arch9wavefront6targetE0EEEvSO_
; %bb.0:
	.section	.rodata,"a",@progbits
	.p2align	6, 0x0
	.amdhsa_kernel _ZN7rocprim17ROCPRIM_400000_NS6detail17trampoline_kernelINS0_14default_configENS1_38merge_sort_block_merge_config_selectorIjN6thrust23THRUST_200600_302600_NS5tupleIffNS6_9null_typeES8_S8_S8_S8_S8_S8_S8_EEEEZZNS1_27merge_sort_block_merge_implIS3_NS6_6detail15normal_iteratorINS6_10device_ptrIjEEEENSD_INSE_IS9_EEEEjNS1_19radix_merge_compareILb0ELb0EjNS0_19identity_decomposerEEEEE10hipError_tT0_T1_T2_jT3_P12ihipStream_tbPNSt15iterator_traitsISN_E10value_typeEPNST_ISO_E10value_typeEPSP_NS1_7vsmem_tEENKUlT_SN_SO_SP_E_clIPjSG_PS9_SI_EESM_S12_SN_SO_SP_EUlS12_E0_NS1_11comp_targetILNS1_3genE5ELNS1_11target_archE942ELNS1_3gpuE9ELNS1_3repE0EEENS1_38merge_mergepath_config_static_selectorELNS0_4arch9wavefront6targetE0EEEvSO_
		.amdhsa_group_segment_fixed_size 0
		.amdhsa_private_segment_fixed_size 0
		.amdhsa_kernarg_size 64
		.amdhsa_user_sgpr_count 2
		.amdhsa_user_sgpr_dispatch_ptr 0
		.amdhsa_user_sgpr_queue_ptr 0
		.amdhsa_user_sgpr_kernarg_segment_ptr 1
		.amdhsa_user_sgpr_dispatch_id 0
		.amdhsa_user_sgpr_kernarg_preload_length 0
		.amdhsa_user_sgpr_kernarg_preload_offset 0
		.amdhsa_user_sgpr_private_segment_size 0
		.amdhsa_wavefront_size32 1
		.amdhsa_uses_dynamic_stack 0
		.amdhsa_enable_private_segment 0
		.amdhsa_system_sgpr_workgroup_id_x 1
		.amdhsa_system_sgpr_workgroup_id_y 0
		.amdhsa_system_sgpr_workgroup_id_z 0
		.amdhsa_system_sgpr_workgroup_info 0
		.amdhsa_system_vgpr_workitem_id 0
		.amdhsa_next_free_vgpr 1
		.amdhsa_next_free_sgpr 1
		.amdhsa_named_barrier_count 0
		.amdhsa_reserve_vcc 0
		.amdhsa_float_round_mode_32 0
		.amdhsa_float_round_mode_16_64 0
		.amdhsa_float_denorm_mode_32 3
		.amdhsa_float_denorm_mode_16_64 3
		.amdhsa_fp16_overflow 0
		.amdhsa_memory_ordered 1
		.amdhsa_forward_progress 1
		.amdhsa_inst_pref_size 0
		.amdhsa_round_robin_scheduling 0
		.amdhsa_exception_fp_ieee_invalid_op 0
		.amdhsa_exception_fp_denorm_src 0
		.amdhsa_exception_fp_ieee_div_zero 0
		.amdhsa_exception_fp_ieee_overflow 0
		.amdhsa_exception_fp_ieee_underflow 0
		.amdhsa_exception_fp_ieee_inexact 0
		.amdhsa_exception_int_div_zero 0
	.end_amdhsa_kernel
	.section	.text._ZN7rocprim17ROCPRIM_400000_NS6detail17trampoline_kernelINS0_14default_configENS1_38merge_sort_block_merge_config_selectorIjN6thrust23THRUST_200600_302600_NS5tupleIffNS6_9null_typeES8_S8_S8_S8_S8_S8_S8_EEEEZZNS1_27merge_sort_block_merge_implIS3_NS6_6detail15normal_iteratorINS6_10device_ptrIjEEEENSD_INSE_IS9_EEEEjNS1_19radix_merge_compareILb0ELb0EjNS0_19identity_decomposerEEEEE10hipError_tT0_T1_T2_jT3_P12ihipStream_tbPNSt15iterator_traitsISN_E10value_typeEPNST_ISO_E10value_typeEPSP_NS1_7vsmem_tEENKUlT_SN_SO_SP_E_clIPjSG_PS9_SI_EESM_S12_SN_SO_SP_EUlS12_E0_NS1_11comp_targetILNS1_3genE5ELNS1_11target_archE942ELNS1_3gpuE9ELNS1_3repE0EEENS1_38merge_mergepath_config_static_selectorELNS0_4arch9wavefront6targetE0EEEvSO_,"axG",@progbits,_ZN7rocprim17ROCPRIM_400000_NS6detail17trampoline_kernelINS0_14default_configENS1_38merge_sort_block_merge_config_selectorIjN6thrust23THRUST_200600_302600_NS5tupleIffNS6_9null_typeES8_S8_S8_S8_S8_S8_S8_EEEEZZNS1_27merge_sort_block_merge_implIS3_NS6_6detail15normal_iteratorINS6_10device_ptrIjEEEENSD_INSE_IS9_EEEEjNS1_19radix_merge_compareILb0ELb0EjNS0_19identity_decomposerEEEEE10hipError_tT0_T1_T2_jT3_P12ihipStream_tbPNSt15iterator_traitsISN_E10value_typeEPNST_ISO_E10value_typeEPSP_NS1_7vsmem_tEENKUlT_SN_SO_SP_E_clIPjSG_PS9_SI_EESM_S12_SN_SO_SP_EUlS12_E0_NS1_11comp_targetILNS1_3genE5ELNS1_11target_archE942ELNS1_3gpuE9ELNS1_3repE0EEENS1_38merge_mergepath_config_static_selectorELNS0_4arch9wavefront6targetE0EEEvSO_,comdat
.Lfunc_end35:
	.size	_ZN7rocprim17ROCPRIM_400000_NS6detail17trampoline_kernelINS0_14default_configENS1_38merge_sort_block_merge_config_selectorIjN6thrust23THRUST_200600_302600_NS5tupleIffNS6_9null_typeES8_S8_S8_S8_S8_S8_S8_EEEEZZNS1_27merge_sort_block_merge_implIS3_NS6_6detail15normal_iteratorINS6_10device_ptrIjEEEENSD_INSE_IS9_EEEEjNS1_19radix_merge_compareILb0ELb0EjNS0_19identity_decomposerEEEEE10hipError_tT0_T1_T2_jT3_P12ihipStream_tbPNSt15iterator_traitsISN_E10value_typeEPNST_ISO_E10value_typeEPSP_NS1_7vsmem_tEENKUlT_SN_SO_SP_E_clIPjSG_PS9_SI_EESM_S12_SN_SO_SP_EUlS12_E0_NS1_11comp_targetILNS1_3genE5ELNS1_11target_archE942ELNS1_3gpuE9ELNS1_3repE0EEENS1_38merge_mergepath_config_static_selectorELNS0_4arch9wavefront6targetE0EEEvSO_, .Lfunc_end35-_ZN7rocprim17ROCPRIM_400000_NS6detail17trampoline_kernelINS0_14default_configENS1_38merge_sort_block_merge_config_selectorIjN6thrust23THRUST_200600_302600_NS5tupleIffNS6_9null_typeES8_S8_S8_S8_S8_S8_S8_EEEEZZNS1_27merge_sort_block_merge_implIS3_NS6_6detail15normal_iteratorINS6_10device_ptrIjEEEENSD_INSE_IS9_EEEEjNS1_19radix_merge_compareILb0ELb0EjNS0_19identity_decomposerEEEEE10hipError_tT0_T1_T2_jT3_P12ihipStream_tbPNSt15iterator_traitsISN_E10value_typeEPNST_ISO_E10value_typeEPSP_NS1_7vsmem_tEENKUlT_SN_SO_SP_E_clIPjSG_PS9_SI_EESM_S12_SN_SO_SP_EUlS12_E0_NS1_11comp_targetILNS1_3genE5ELNS1_11target_archE942ELNS1_3gpuE9ELNS1_3repE0EEENS1_38merge_mergepath_config_static_selectorELNS0_4arch9wavefront6targetE0EEEvSO_
                                        ; -- End function
	.set _ZN7rocprim17ROCPRIM_400000_NS6detail17trampoline_kernelINS0_14default_configENS1_38merge_sort_block_merge_config_selectorIjN6thrust23THRUST_200600_302600_NS5tupleIffNS6_9null_typeES8_S8_S8_S8_S8_S8_S8_EEEEZZNS1_27merge_sort_block_merge_implIS3_NS6_6detail15normal_iteratorINS6_10device_ptrIjEEEENSD_INSE_IS9_EEEEjNS1_19radix_merge_compareILb0ELb0EjNS0_19identity_decomposerEEEEE10hipError_tT0_T1_T2_jT3_P12ihipStream_tbPNSt15iterator_traitsISN_E10value_typeEPNST_ISO_E10value_typeEPSP_NS1_7vsmem_tEENKUlT_SN_SO_SP_E_clIPjSG_PS9_SI_EESM_S12_SN_SO_SP_EUlS12_E0_NS1_11comp_targetILNS1_3genE5ELNS1_11target_archE942ELNS1_3gpuE9ELNS1_3repE0EEENS1_38merge_mergepath_config_static_selectorELNS0_4arch9wavefront6targetE0EEEvSO_.num_vgpr, 0
	.set _ZN7rocprim17ROCPRIM_400000_NS6detail17trampoline_kernelINS0_14default_configENS1_38merge_sort_block_merge_config_selectorIjN6thrust23THRUST_200600_302600_NS5tupleIffNS6_9null_typeES8_S8_S8_S8_S8_S8_S8_EEEEZZNS1_27merge_sort_block_merge_implIS3_NS6_6detail15normal_iteratorINS6_10device_ptrIjEEEENSD_INSE_IS9_EEEEjNS1_19radix_merge_compareILb0ELb0EjNS0_19identity_decomposerEEEEE10hipError_tT0_T1_T2_jT3_P12ihipStream_tbPNSt15iterator_traitsISN_E10value_typeEPNST_ISO_E10value_typeEPSP_NS1_7vsmem_tEENKUlT_SN_SO_SP_E_clIPjSG_PS9_SI_EESM_S12_SN_SO_SP_EUlS12_E0_NS1_11comp_targetILNS1_3genE5ELNS1_11target_archE942ELNS1_3gpuE9ELNS1_3repE0EEENS1_38merge_mergepath_config_static_selectorELNS0_4arch9wavefront6targetE0EEEvSO_.num_agpr, 0
	.set _ZN7rocprim17ROCPRIM_400000_NS6detail17trampoline_kernelINS0_14default_configENS1_38merge_sort_block_merge_config_selectorIjN6thrust23THRUST_200600_302600_NS5tupleIffNS6_9null_typeES8_S8_S8_S8_S8_S8_S8_EEEEZZNS1_27merge_sort_block_merge_implIS3_NS6_6detail15normal_iteratorINS6_10device_ptrIjEEEENSD_INSE_IS9_EEEEjNS1_19radix_merge_compareILb0ELb0EjNS0_19identity_decomposerEEEEE10hipError_tT0_T1_T2_jT3_P12ihipStream_tbPNSt15iterator_traitsISN_E10value_typeEPNST_ISO_E10value_typeEPSP_NS1_7vsmem_tEENKUlT_SN_SO_SP_E_clIPjSG_PS9_SI_EESM_S12_SN_SO_SP_EUlS12_E0_NS1_11comp_targetILNS1_3genE5ELNS1_11target_archE942ELNS1_3gpuE9ELNS1_3repE0EEENS1_38merge_mergepath_config_static_selectorELNS0_4arch9wavefront6targetE0EEEvSO_.numbered_sgpr, 0
	.set _ZN7rocprim17ROCPRIM_400000_NS6detail17trampoline_kernelINS0_14default_configENS1_38merge_sort_block_merge_config_selectorIjN6thrust23THRUST_200600_302600_NS5tupleIffNS6_9null_typeES8_S8_S8_S8_S8_S8_S8_EEEEZZNS1_27merge_sort_block_merge_implIS3_NS6_6detail15normal_iteratorINS6_10device_ptrIjEEEENSD_INSE_IS9_EEEEjNS1_19radix_merge_compareILb0ELb0EjNS0_19identity_decomposerEEEEE10hipError_tT0_T1_T2_jT3_P12ihipStream_tbPNSt15iterator_traitsISN_E10value_typeEPNST_ISO_E10value_typeEPSP_NS1_7vsmem_tEENKUlT_SN_SO_SP_E_clIPjSG_PS9_SI_EESM_S12_SN_SO_SP_EUlS12_E0_NS1_11comp_targetILNS1_3genE5ELNS1_11target_archE942ELNS1_3gpuE9ELNS1_3repE0EEENS1_38merge_mergepath_config_static_selectorELNS0_4arch9wavefront6targetE0EEEvSO_.num_named_barrier, 0
	.set _ZN7rocprim17ROCPRIM_400000_NS6detail17trampoline_kernelINS0_14default_configENS1_38merge_sort_block_merge_config_selectorIjN6thrust23THRUST_200600_302600_NS5tupleIffNS6_9null_typeES8_S8_S8_S8_S8_S8_S8_EEEEZZNS1_27merge_sort_block_merge_implIS3_NS6_6detail15normal_iteratorINS6_10device_ptrIjEEEENSD_INSE_IS9_EEEEjNS1_19radix_merge_compareILb0ELb0EjNS0_19identity_decomposerEEEEE10hipError_tT0_T1_T2_jT3_P12ihipStream_tbPNSt15iterator_traitsISN_E10value_typeEPNST_ISO_E10value_typeEPSP_NS1_7vsmem_tEENKUlT_SN_SO_SP_E_clIPjSG_PS9_SI_EESM_S12_SN_SO_SP_EUlS12_E0_NS1_11comp_targetILNS1_3genE5ELNS1_11target_archE942ELNS1_3gpuE9ELNS1_3repE0EEENS1_38merge_mergepath_config_static_selectorELNS0_4arch9wavefront6targetE0EEEvSO_.private_seg_size, 0
	.set _ZN7rocprim17ROCPRIM_400000_NS6detail17trampoline_kernelINS0_14default_configENS1_38merge_sort_block_merge_config_selectorIjN6thrust23THRUST_200600_302600_NS5tupleIffNS6_9null_typeES8_S8_S8_S8_S8_S8_S8_EEEEZZNS1_27merge_sort_block_merge_implIS3_NS6_6detail15normal_iteratorINS6_10device_ptrIjEEEENSD_INSE_IS9_EEEEjNS1_19radix_merge_compareILb0ELb0EjNS0_19identity_decomposerEEEEE10hipError_tT0_T1_T2_jT3_P12ihipStream_tbPNSt15iterator_traitsISN_E10value_typeEPNST_ISO_E10value_typeEPSP_NS1_7vsmem_tEENKUlT_SN_SO_SP_E_clIPjSG_PS9_SI_EESM_S12_SN_SO_SP_EUlS12_E0_NS1_11comp_targetILNS1_3genE5ELNS1_11target_archE942ELNS1_3gpuE9ELNS1_3repE0EEENS1_38merge_mergepath_config_static_selectorELNS0_4arch9wavefront6targetE0EEEvSO_.uses_vcc, 0
	.set _ZN7rocprim17ROCPRIM_400000_NS6detail17trampoline_kernelINS0_14default_configENS1_38merge_sort_block_merge_config_selectorIjN6thrust23THRUST_200600_302600_NS5tupleIffNS6_9null_typeES8_S8_S8_S8_S8_S8_S8_EEEEZZNS1_27merge_sort_block_merge_implIS3_NS6_6detail15normal_iteratorINS6_10device_ptrIjEEEENSD_INSE_IS9_EEEEjNS1_19radix_merge_compareILb0ELb0EjNS0_19identity_decomposerEEEEE10hipError_tT0_T1_T2_jT3_P12ihipStream_tbPNSt15iterator_traitsISN_E10value_typeEPNST_ISO_E10value_typeEPSP_NS1_7vsmem_tEENKUlT_SN_SO_SP_E_clIPjSG_PS9_SI_EESM_S12_SN_SO_SP_EUlS12_E0_NS1_11comp_targetILNS1_3genE5ELNS1_11target_archE942ELNS1_3gpuE9ELNS1_3repE0EEENS1_38merge_mergepath_config_static_selectorELNS0_4arch9wavefront6targetE0EEEvSO_.uses_flat_scratch, 0
	.set _ZN7rocprim17ROCPRIM_400000_NS6detail17trampoline_kernelINS0_14default_configENS1_38merge_sort_block_merge_config_selectorIjN6thrust23THRUST_200600_302600_NS5tupleIffNS6_9null_typeES8_S8_S8_S8_S8_S8_S8_EEEEZZNS1_27merge_sort_block_merge_implIS3_NS6_6detail15normal_iteratorINS6_10device_ptrIjEEEENSD_INSE_IS9_EEEEjNS1_19radix_merge_compareILb0ELb0EjNS0_19identity_decomposerEEEEE10hipError_tT0_T1_T2_jT3_P12ihipStream_tbPNSt15iterator_traitsISN_E10value_typeEPNST_ISO_E10value_typeEPSP_NS1_7vsmem_tEENKUlT_SN_SO_SP_E_clIPjSG_PS9_SI_EESM_S12_SN_SO_SP_EUlS12_E0_NS1_11comp_targetILNS1_3genE5ELNS1_11target_archE942ELNS1_3gpuE9ELNS1_3repE0EEENS1_38merge_mergepath_config_static_selectorELNS0_4arch9wavefront6targetE0EEEvSO_.has_dyn_sized_stack, 0
	.set _ZN7rocprim17ROCPRIM_400000_NS6detail17trampoline_kernelINS0_14default_configENS1_38merge_sort_block_merge_config_selectorIjN6thrust23THRUST_200600_302600_NS5tupleIffNS6_9null_typeES8_S8_S8_S8_S8_S8_S8_EEEEZZNS1_27merge_sort_block_merge_implIS3_NS6_6detail15normal_iteratorINS6_10device_ptrIjEEEENSD_INSE_IS9_EEEEjNS1_19radix_merge_compareILb0ELb0EjNS0_19identity_decomposerEEEEE10hipError_tT0_T1_T2_jT3_P12ihipStream_tbPNSt15iterator_traitsISN_E10value_typeEPNST_ISO_E10value_typeEPSP_NS1_7vsmem_tEENKUlT_SN_SO_SP_E_clIPjSG_PS9_SI_EESM_S12_SN_SO_SP_EUlS12_E0_NS1_11comp_targetILNS1_3genE5ELNS1_11target_archE942ELNS1_3gpuE9ELNS1_3repE0EEENS1_38merge_mergepath_config_static_selectorELNS0_4arch9wavefront6targetE0EEEvSO_.has_recursion, 0
	.set _ZN7rocprim17ROCPRIM_400000_NS6detail17trampoline_kernelINS0_14default_configENS1_38merge_sort_block_merge_config_selectorIjN6thrust23THRUST_200600_302600_NS5tupleIffNS6_9null_typeES8_S8_S8_S8_S8_S8_S8_EEEEZZNS1_27merge_sort_block_merge_implIS3_NS6_6detail15normal_iteratorINS6_10device_ptrIjEEEENSD_INSE_IS9_EEEEjNS1_19radix_merge_compareILb0ELb0EjNS0_19identity_decomposerEEEEE10hipError_tT0_T1_T2_jT3_P12ihipStream_tbPNSt15iterator_traitsISN_E10value_typeEPNST_ISO_E10value_typeEPSP_NS1_7vsmem_tEENKUlT_SN_SO_SP_E_clIPjSG_PS9_SI_EESM_S12_SN_SO_SP_EUlS12_E0_NS1_11comp_targetILNS1_3genE5ELNS1_11target_archE942ELNS1_3gpuE9ELNS1_3repE0EEENS1_38merge_mergepath_config_static_selectorELNS0_4arch9wavefront6targetE0EEEvSO_.has_indirect_call, 0
	.section	.AMDGPU.csdata,"",@progbits
; Kernel info:
; codeLenInByte = 0
; TotalNumSgprs: 0
; NumVgprs: 0
; ScratchSize: 0
; MemoryBound: 0
; FloatMode: 240
; IeeeMode: 1
; LDSByteSize: 0 bytes/workgroup (compile time only)
; SGPRBlocks: 0
; VGPRBlocks: 0
; NumSGPRsForWavesPerEU: 1
; NumVGPRsForWavesPerEU: 1
; NamedBarCnt: 0
; Occupancy: 16
; WaveLimiterHint : 0
; COMPUTE_PGM_RSRC2:SCRATCH_EN: 0
; COMPUTE_PGM_RSRC2:USER_SGPR: 2
; COMPUTE_PGM_RSRC2:TRAP_HANDLER: 0
; COMPUTE_PGM_RSRC2:TGID_X_EN: 1
; COMPUTE_PGM_RSRC2:TGID_Y_EN: 0
; COMPUTE_PGM_RSRC2:TGID_Z_EN: 0
; COMPUTE_PGM_RSRC2:TIDIG_COMP_CNT: 0
	.section	.text._ZN7rocprim17ROCPRIM_400000_NS6detail17trampoline_kernelINS0_14default_configENS1_38merge_sort_block_merge_config_selectorIjN6thrust23THRUST_200600_302600_NS5tupleIffNS6_9null_typeES8_S8_S8_S8_S8_S8_S8_EEEEZZNS1_27merge_sort_block_merge_implIS3_NS6_6detail15normal_iteratorINS6_10device_ptrIjEEEENSD_INSE_IS9_EEEEjNS1_19radix_merge_compareILb0ELb0EjNS0_19identity_decomposerEEEEE10hipError_tT0_T1_T2_jT3_P12ihipStream_tbPNSt15iterator_traitsISN_E10value_typeEPNST_ISO_E10value_typeEPSP_NS1_7vsmem_tEENKUlT_SN_SO_SP_E_clIPjSG_PS9_SI_EESM_S12_SN_SO_SP_EUlS12_E0_NS1_11comp_targetILNS1_3genE4ELNS1_11target_archE910ELNS1_3gpuE8ELNS1_3repE0EEENS1_38merge_mergepath_config_static_selectorELNS0_4arch9wavefront6targetE0EEEvSO_,"axG",@progbits,_ZN7rocprim17ROCPRIM_400000_NS6detail17trampoline_kernelINS0_14default_configENS1_38merge_sort_block_merge_config_selectorIjN6thrust23THRUST_200600_302600_NS5tupleIffNS6_9null_typeES8_S8_S8_S8_S8_S8_S8_EEEEZZNS1_27merge_sort_block_merge_implIS3_NS6_6detail15normal_iteratorINS6_10device_ptrIjEEEENSD_INSE_IS9_EEEEjNS1_19radix_merge_compareILb0ELb0EjNS0_19identity_decomposerEEEEE10hipError_tT0_T1_T2_jT3_P12ihipStream_tbPNSt15iterator_traitsISN_E10value_typeEPNST_ISO_E10value_typeEPSP_NS1_7vsmem_tEENKUlT_SN_SO_SP_E_clIPjSG_PS9_SI_EESM_S12_SN_SO_SP_EUlS12_E0_NS1_11comp_targetILNS1_3genE4ELNS1_11target_archE910ELNS1_3gpuE8ELNS1_3repE0EEENS1_38merge_mergepath_config_static_selectorELNS0_4arch9wavefront6targetE0EEEvSO_,comdat
	.protected	_ZN7rocprim17ROCPRIM_400000_NS6detail17trampoline_kernelINS0_14default_configENS1_38merge_sort_block_merge_config_selectorIjN6thrust23THRUST_200600_302600_NS5tupleIffNS6_9null_typeES8_S8_S8_S8_S8_S8_S8_EEEEZZNS1_27merge_sort_block_merge_implIS3_NS6_6detail15normal_iteratorINS6_10device_ptrIjEEEENSD_INSE_IS9_EEEEjNS1_19radix_merge_compareILb0ELb0EjNS0_19identity_decomposerEEEEE10hipError_tT0_T1_T2_jT3_P12ihipStream_tbPNSt15iterator_traitsISN_E10value_typeEPNST_ISO_E10value_typeEPSP_NS1_7vsmem_tEENKUlT_SN_SO_SP_E_clIPjSG_PS9_SI_EESM_S12_SN_SO_SP_EUlS12_E0_NS1_11comp_targetILNS1_3genE4ELNS1_11target_archE910ELNS1_3gpuE8ELNS1_3repE0EEENS1_38merge_mergepath_config_static_selectorELNS0_4arch9wavefront6targetE0EEEvSO_ ; -- Begin function _ZN7rocprim17ROCPRIM_400000_NS6detail17trampoline_kernelINS0_14default_configENS1_38merge_sort_block_merge_config_selectorIjN6thrust23THRUST_200600_302600_NS5tupleIffNS6_9null_typeES8_S8_S8_S8_S8_S8_S8_EEEEZZNS1_27merge_sort_block_merge_implIS3_NS6_6detail15normal_iteratorINS6_10device_ptrIjEEEENSD_INSE_IS9_EEEEjNS1_19radix_merge_compareILb0ELb0EjNS0_19identity_decomposerEEEEE10hipError_tT0_T1_T2_jT3_P12ihipStream_tbPNSt15iterator_traitsISN_E10value_typeEPNST_ISO_E10value_typeEPSP_NS1_7vsmem_tEENKUlT_SN_SO_SP_E_clIPjSG_PS9_SI_EESM_S12_SN_SO_SP_EUlS12_E0_NS1_11comp_targetILNS1_3genE4ELNS1_11target_archE910ELNS1_3gpuE8ELNS1_3repE0EEENS1_38merge_mergepath_config_static_selectorELNS0_4arch9wavefront6targetE0EEEvSO_
	.globl	_ZN7rocprim17ROCPRIM_400000_NS6detail17trampoline_kernelINS0_14default_configENS1_38merge_sort_block_merge_config_selectorIjN6thrust23THRUST_200600_302600_NS5tupleIffNS6_9null_typeES8_S8_S8_S8_S8_S8_S8_EEEEZZNS1_27merge_sort_block_merge_implIS3_NS6_6detail15normal_iteratorINS6_10device_ptrIjEEEENSD_INSE_IS9_EEEEjNS1_19radix_merge_compareILb0ELb0EjNS0_19identity_decomposerEEEEE10hipError_tT0_T1_T2_jT3_P12ihipStream_tbPNSt15iterator_traitsISN_E10value_typeEPNST_ISO_E10value_typeEPSP_NS1_7vsmem_tEENKUlT_SN_SO_SP_E_clIPjSG_PS9_SI_EESM_S12_SN_SO_SP_EUlS12_E0_NS1_11comp_targetILNS1_3genE4ELNS1_11target_archE910ELNS1_3gpuE8ELNS1_3repE0EEENS1_38merge_mergepath_config_static_selectorELNS0_4arch9wavefront6targetE0EEEvSO_
	.p2align	8
	.type	_ZN7rocprim17ROCPRIM_400000_NS6detail17trampoline_kernelINS0_14default_configENS1_38merge_sort_block_merge_config_selectorIjN6thrust23THRUST_200600_302600_NS5tupleIffNS6_9null_typeES8_S8_S8_S8_S8_S8_S8_EEEEZZNS1_27merge_sort_block_merge_implIS3_NS6_6detail15normal_iteratorINS6_10device_ptrIjEEEENSD_INSE_IS9_EEEEjNS1_19radix_merge_compareILb0ELb0EjNS0_19identity_decomposerEEEEE10hipError_tT0_T1_T2_jT3_P12ihipStream_tbPNSt15iterator_traitsISN_E10value_typeEPNST_ISO_E10value_typeEPSP_NS1_7vsmem_tEENKUlT_SN_SO_SP_E_clIPjSG_PS9_SI_EESM_S12_SN_SO_SP_EUlS12_E0_NS1_11comp_targetILNS1_3genE4ELNS1_11target_archE910ELNS1_3gpuE8ELNS1_3repE0EEENS1_38merge_mergepath_config_static_selectorELNS0_4arch9wavefront6targetE0EEEvSO_,@function
_ZN7rocprim17ROCPRIM_400000_NS6detail17trampoline_kernelINS0_14default_configENS1_38merge_sort_block_merge_config_selectorIjN6thrust23THRUST_200600_302600_NS5tupleIffNS6_9null_typeES8_S8_S8_S8_S8_S8_S8_EEEEZZNS1_27merge_sort_block_merge_implIS3_NS6_6detail15normal_iteratorINS6_10device_ptrIjEEEENSD_INSE_IS9_EEEEjNS1_19radix_merge_compareILb0ELb0EjNS0_19identity_decomposerEEEEE10hipError_tT0_T1_T2_jT3_P12ihipStream_tbPNSt15iterator_traitsISN_E10value_typeEPNST_ISO_E10value_typeEPSP_NS1_7vsmem_tEENKUlT_SN_SO_SP_E_clIPjSG_PS9_SI_EESM_S12_SN_SO_SP_EUlS12_E0_NS1_11comp_targetILNS1_3genE4ELNS1_11target_archE910ELNS1_3gpuE8ELNS1_3repE0EEENS1_38merge_mergepath_config_static_selectorELNS0_4arch9wavefront6targetE0EEEvSO_: ; @_ZN7rocprim17ROCPRIM_400000_NS6detail17trampoline_kernelINS0_14default_configENS1_38merge_sort_block_merge_config_selectorIjN6thrust23THRUST_200600_302600_NS5tupleIffNS6_9null_typeES8_S8_S8_S8_S8_S8_S8_EEEEZZNS1_27merge_sort_block_merge_implIS3_NS6_6detail15normal_iteratorINS6_10device_ptrIjEEEENSD_INSE_IS9_EEEEjNS1_19radix_merge_compareILb0ELb0EjNS0_19identity_decomposerEEEEE10hipError_tT0_T1_T2_jT3_P12ihipStream_tbPNSt15iterator_traitsISN_E10value_typeEPNST_ISO_E10value_typeEPSP_NS1_7vsmem_tEENKUlT_SN_SO_SP_E_clIPjSG_PS9_SI_EESM_S12_SN_SO_SP_EUlS12_E0_NS1_11comp_targetILNS1_3genE4ELNS1_11target_archE910ELNS1_3gpuE8ELNS1_3repE0EEENS1_38merge_mergepath_config_static_selectorELNS0_4arch9wavefront6targetE0EEEvSO_
; %bb.0:
	.section	.rodata,"a",@progbits
	.p2align	6, 0x0
	.amdhsa_kernel _ZN7rocprim17ROCPRIM_400000_NS6detail17trampoline_kernelINS0_14default_configENS1_38merge_sort_block_merge_config_selectorIjN6thrust23THRUST_200600_302600_NS5tupleIffNS6_9null_typeES8_S8_S8_S8_S8_S8_S8_EEEEZZNS1_27merge_sort_block_merge_implIS3_NS6_6detail15normal_iteratorINS6_10device_ptrIjEEEENSD_INSE_IS9_EEEEjNS1_19radix_merge_compareILb0ELb0EjNS0_19identity_decomposerEEEEE10hipError_tT0_T1_T2_jT3_P12ihipStream_tbPNSt15iterator_traitsISN_E10value_typeEPNST_ISO_E10value_typeEPSP_NS1_7vsmem_tEENKUlT_SN_SO_SP_E_clIPjSG_PS9_SI_EESM_S12_SN_SO_SP_EUlS12_E0_NS1_11comp_targetILNS1_3genE4ELNS1_11target_archE910ELNS1_3gpuE8ELNS1_3repE0EEENS1_38merge_mergepath_config_static_selectorELNS0_4arch9wavefront6targetE0EEEvSO_
		.amdhsa_group_segment_fixed_size 0
		.amdhsa_private_segment_fixed_size 0
		.amdhsa_kernarg_size 64
		.amdhsa_user_sgpr_count 2
		.amdhsa_user_sgpr_dispatch_ptr 0
		.amdhsa_user_sgpr_queue_ptr 0
		.amdhsa_user_sgpr_kernarg_segment_ptr 1
		.amdhsa_user_sgpr_dispatch_id 0
		.amdhsa_user_sgpr_kernarg_preload_length 0
		.amdhsa_user_sgpr_kernarg_preload_offset 0
		.amdhsa_user_sgpr_private_segment_size 0
		.amdhsa_wavefront_size32 1
		.amdhsa_uses_dynamic_stack 0
		.amdhsa_enable_private_segment 0
		.amdhsa_system_sgpr_workgroup_id_x 1
		.amdhsa_system_sgpr_workgroup_id_y 0
		.amdhsa_system_sgpr_workgroup_id_z 0
		.amdhsa_system_sgpr_workgroup_info 0
		.amdhsa_system_vgpr_workitem_id 0
		.amdhsa_next_free_vgpr 1
		.amdhsa_next_free_sgpr 1
		.amdhsa_named_barrier_count 0
		.amdhsa_reserve_vcc 0
		.amdhsa_float_round_mode_32 0
		.amdhsa_float_round_mode_16_64 0
		.amdhsa_float_denorm_mode_32 3
		.amdhsa_float_denorm_mode_16_64 3
		.amdhsa_fp16_overflow 0
		.amdhsa_memory_ordered 1
		.amdhsa_forward_progress 1
		.amdhsa_inst_pref_size 0
		.amdhsa_round_robin_scheduling 0
		.amdhsa_exception_fp_ieee_invalid_op 0
		.amdhsa_exception_fp_denorm_src 0
		.amdhsa_exception_fp_ieee_div_zero 0
		.amdhsa_exception_fp_ieee_overflow 0
		.amdhsa_exception_fp_ieee_underflow 0
		.amdhsa_exception_fp_ieee_inexact 0
		.amdhsa_exception_int_div_zero 0
	.end_amdhsa_kernel
	.section	.text._ZN7rocprim17ROCPRIM_400000_NS6detail17trampoline_kernelINS0_14default_configENS1_38merge_sort_block_merge_config_selectorIjN6thrust23THRUST_200600_302600_NS5tupleIffNS6_9null_typeES8_S8_S8_S8_S8_S8_S8_EEEEZZNS1_27merge_sort_block_merge_implIS3_NS6_6detail15normal_iteratorINS6_10device_ptrIjEEEENSD_INSE_IS9_EEEEjNS1_19radix_merge_compareILb0ELb0EjNS0_19identity_decomposerEEEEE10hipError_tT0_T1_T2_jT3_P12ihipStream_tbPNSt15iterator_traitsISN_E10value_typeEPNST_ISO_E10value_typeEPSP_NS1_7vsmem_tEENKUlT_SN_SO_SP_E_clIPjSG_PS9_SI_EESM_S12_SN_SO_SP_EUlS12_E0_NS1_11comp_targetILNS1_3genE4ELNS1_11target_archE910ELNS1_3gpuE8ELNS1_3repE0EEENS1_38merge_mergepath_config_static_selectorELNS0_4arch9wavefront6targetE0EEEvSO_,"axG",@progbits,_ZN7rocprim17ROCPRIM_400000_NS6detail17trampoline_kernelINS0_14default_configENS1_38merge_sort_block_merge_config_selectorIjN6thrust23THRUST_200600_302600_NS5tupleIffNS6_9null_typeES8_S8_S8_S8_S8_S8_S8_EEEEZZNS1_27merge_sort_block_merge_implIS3_NS6_6detail15normal_iteratorINS6_10device_ptrIjEEEENSD_INSE_IS9_EEEEjNS1_19radix_merge_compareILb0ELb0EjNS0_19identity_decomposerEEEEE10hipError_tT0_T1_T2_jT3_P12ihipStream_tbPNSt15iterator_traitsISN_E10value_typeEPNST_ISO_E10value_typeEPSP_NS1_7vsmem_tEENKUlT_SN_SO_SP_E_clIPjSG_PS9_SI_EESM_S12_SN_SO_SP_EUlS12_E0_NS1_11comp_targetILNS1_3genE4ELNS1_11target_archE910ELNS1_3gpuE8ELNS1_3repE0EEENS1_38merge_mergepath_config_static_selectorELNS0_4arch9wavefront6targetE0EEEvSO_,comdat
.Lfunc_end36:
	.size	_ZN7rocprim17ROCPRIM_400000_NS6detail17trampoline_kernelINS0_14default_configENS1_38merge_sort_block_merge_config_selectorIjN6thrust23THRUST_200600_302600_NS5tupleIffNS6_9null_typeES8_S8_S8_S8_S8_S8_S8_EEEEZZNS1_27merge_sort_block_merge_implIS3_NS6_6detail15normal_iteratorINS6_10device_ptrIjEEEENSD_INSE_IS9_EEEEjNS1_19radix_merge_compareILb0ELb0EjNS0_19identity_decomposerEEEEE10hipError_tT0_T1_T2_jT3_P12ihipStream_tbPNSt15iterator_traitsISN_E10value_typeEPNST_ISO_E10value_typeEPSP_NS1_7vsmem_tEENKUlT_SN_SO_SP_E_clIPjSG_PS9_SI_EESM_S12_SN_SO_SP_EUlS12_E0_NS1_11comp_targetILNS1_3genE4ELNS1_11target_archE910ELNS1_3gpuE8ELNS1_3repE0EEENS1_38merge_mergepath_config_static_selectorELNS0_4arch9wavefront6targetE0EEEvSO_, .Lfunc_end36-_ZN7rocprim17ROCPRIM_400000_NS6detail17trampoline_kernelINS0_14default_configENS1_38merge_sort_block_merge_config_selectorIjN6thrust23THRUST_200600_302600_NS5tupleIffNS6_9null_typeES8_S8_S8_S8_S8_S8_S8_EEEEZZNS1_27merge_sort_block_merge_implIS3_NS6_6detail15normal_iteratorINS6_10device_ptrIjEEEENSD_INSE_IS9_EEEEjNS1_19radix_merge_compareILb0ELb0EjNS0_19identity_decomposerEEEEE10hipError_tT0_T1_T2_jT3_P12ihipStream_tbPNSt15iterator_traitsISN_E10value_typeEPNST_ISO_E10value_typeEPSP_NS1_7vsmem_tEENKUlT_SN_SO_SP_E_clIPjSG_PS9_SI_EESM_S12_SN_SO_SP_EUlS12_E0_NS1_11comp_targetILNS1_3genE4ELNS1_11target_archE910ELNS1_3gpuE8ELNS1_3repE0EEENS1_38merge_mergepath_config_static_selectorELNS0_4arch9wavefront6targetE0EEEvSO_
                                        ; -- End function
	.set _ZN7rocprim17ROCPRIM_400000_NS6detail17trampoline_kernelINS0_14default_configENS1_38merge_sort_block_merge_config_selectorIjN6thrust23THRUST_200600_302600_NS5tupleIffNS6_9null_typeES8_S8_S8_S8_S8_S8_S8_EEEEZZNS1_27merge_sort_block_merge_implIS3_NS6_6detail15normal_iteratorINS6_10device_ptrIjEEEENSD_INSE_IS9_EEEEjNS1_19radix_merge_compareILb0ELb0EjNS0_19identity_decomposerEEEEE10hipError_tT0_T1_T2_jT3_P12ihipStream_tbPNSt15iterator_traitsISN_E10value_typeEPNST_ISO_E10value_typeEPSP_NS1_7vsmem_tEENKUlT_SN_SO_SP_E_clIPjSG_PS9_SI_EESM_S12_SN_SO_SP_EUlS12_E0_NS1_11comp_targetILNS1_3genE4ELNS1_11target_archE910ELNS1_3gpuE8ELNS1_3repE0EEENS1_38merge_mergepath_config_static_selectorELNS0_4arch9wavefront6targetE0EEEvSO_.num_vgpr, 0
	.set _ZN7rocprim17ROCPRIM_400000_NS6detail17trampoline_kernelINS0_14default_configENS1_38merge_sort_block_merge_config_selectorIjN6thrust23THRUST_200600_302600_NS5tupleIffNS6_9null_typeES8_S8_S8_S8_S8_S8_S8_EEEEZZNS1_27merge_sort_block_merge_implIS3_NS6_6detail15normal_iteratorINS6_10device_ptrIjEEEENSD_INSE_IS9_EEEEjNS1_19radix_merge_compareILb0ELb0EjNS0_19identity_decomposerEEEEE10hipError_tT0_T1_T2_jT3_P12ihipStream_tbPNSt15iterator_traitsISN_E10value_typeEPNST_ISO_E10value_typeEPSP_NS1_7vsmem_tEENKUlT_SN_SO_SP_E_clIPjSG_PS9_SI_EESM_S12_SN_SO_SP_EUlS12_E0_NS1_11comp_targetILNS1_3genE4ELNS1_11target_archE910ELNS1_3gpuE8ELNS1_3repE0EEENS1_38merge_mergepath_config_static_selectorELNS0_4arch9wavefront6targetE0EEEvSO_.num_agpr, 0
	.set _ZN7rocprim17ROCPRIM_400000_NS6detail17trampoline_kernelINS0_14default_configENS1_38merge_sort_block_merge_config_selectorIjN6thrust23THRUST_200600_302600_NS5tupleIffNS6_9null_typeES8_S8_S8_S8_S8_S8_S8_EEEEZZNS1_27merge_sort_block_merge_implIS3_NS6_6detail15normal_iteratorINS6_10device_ptrIjEEEENSD_INSE_IS9_EEEEjNS1_19radix_merge_compareILb0ELb0EjNS0_19identity_decomposerEEEEE10hipError_tT0_T1_T2_jT3_P12ihipStream_tbPNSt15iterator_traitsISN_E10value_typeEPNST_ISO_E10value_typeEPSP_NS1_7vsmem_tEENKUlT_SN_SO_SP_E_clIPjSG_PS9_SI_EESM_S12_SN_SO_SP_EUlS12_E0_NS1_11comp_targetILNS1_3genE4ELNS1_11target_archE910ELNS1_3gpuE8ELNS1_3repE0EEENS1_38merge_mergepath_config_static_selectorELNS0_4arch9wavefront6targetE0EEEvSO_.numbered_sgpr, 0
	.set _ZN7rocprim17ROCPRIM_400000_NS6detail17trampoline_kernelINS0_14default_configENS1_38merge_sort_block_merge_config_selectorIjN6thrust23THRUST_200600_302600_NS5tupleIffNS6_9null_typeES8_S8_S8_S8_S8_S8_S8_EEEEZZNS1_27merge_sort_block_merge_implIS3_NS6_6detail15normal_iteratorINS6_10device_ptrIjEEEENSD_INSE_IS9_EEEEjNS1_19radix_merge_compareILb0ELb0EjNS0_19identity_decomposerEEEEE10hipError_tT0_T1_T2_jT3_P12ihipStream_tbPNSt15iterator_traitsISN_E10value_typeEPNST_ISO_E10value_typeEPSP_NS1_7vsmem_tEENKUlT_SN_SO_SP_E_clIPjSG_PS9_SI_EESM_S12_SN_SO_SP_EUlS12_E0_NS1_11comp_targetILNS1_3genE4ELNS1_11target_archE910ELNS1_3gpuE8ELNS1_3repE0EEENS1_38merge_mergepath_config_static_selectorELNS0_4arch9wavefront6targetE0EEEvSO_.num_named_barrier, 0
	.set _ZN7rocprim17ROCPRIM_400000_NS6detail17trampoline_kernelINS0_14default_configENS1_38merge_sort_block_merge_config_selectorIjN6thrust23THRUST_200600_302600_NS5tupleIffNS6_9null_typeES8_S8_S8_S8_S8_S8_S8_EEEEZZNS1_27merge_sort_block_merge_implIS3_NS6_6detail15normal_iteratorINS6_10device_ptrIjEEEENSD_INSE_IS9_EEEEjNS1_19radix_merge_compareILb0ELb0EjNS0_19identity_decomposerEEEEE10hipError_tT0_T1_T2_jT3_P12ihipStream_tbPNSt15iterator_traitsISN_E10value_typeEPNST_ISO_E10value_typeEPSP_NS1_7vsmem_tEENKUlT_SN_SO_SP_E_clIPjSG_PS9_SI_EESM_S12_SN_SO_SP_EUlS12_E0_NS1_11comp_targetILNS1_3genE4ELNS1_11target_archE910ELNS1_3gpuE8ELNS1_3repE0EEENS1_38merge_mergepath_config_static_selectorELNS0_4arch9wavefront6targetE0EEEvSO_.private_seg_size, 0
	.set _ZN7rocprim17ROCPRIM_400000_NS6detail17trampoline_kernelINS0_14default_configENS1_38merge_sort_block_merge_config_selectorIjN6thrust23THRUST_200600_302600_NS5tupleIffNS6_9null_typeES8_S8_S8_S8_S8_S8_S8_EEEEZZNS1_27merge_sort_block_merge_implIS3_NS6_6detail15normal_iteratorINS6_10device_ptrIjEEEENSD_INSE_IS9_EEEEjNS1_19radix_merge_compareILb0ELb0EjNS0_19identity_decomposerEEEEE10hipError_tT0_T1_T2_jT3_P12ihipStream_tbPNSt15iterator_traitsISN_E10value_typeEPNST_ISO_E10value_typeEPSP_NS1_7vsmem_tEENKUlT_SN_SO_SP_E_clIPjSG_PS9_SI_EESM_S12_SN_SO_SP_EUlS12_E0_NS1_11comp_targetILNS1_3genE4ELNS1_11target_archE910ELNS1_3gpuE8ELNS1_3repE0EEENS1_38merge_mergepath_config_static_selectorELNS0_4arch9wavefront6targetE0EEEvSO_.uses_vcc, 0
	.set _ZN7rocprim17ROCPRIM_400000_NS6detail17trampoline_kernelINS0_14default_configENS1_38merge_sort_block_merge_config_selectorIjN6thrust23THRUST_200600_302600_NS5tupleIffNS6_9null_typeES8_S8_S8_S8_S8_S8_S8_EEEEZZNS1_27merge_sort_block_merge_implIS3_NS6_6detail15normal_iteratorINS6_10device_ptrIjEEEENSD_INSE_IS9_EEEEjNS1_19radix_merge_compareILb0ELb0EjNS0_19identity_decomposerEEEEE10hipError_tT0_T1_T2_jT3_P12ihipStream_tbPNSt15iterator_traitsISN_E10value_typeEPNST_ISO_E10value_typeEPSP_NS1_7vsmem_tEENKUlT_SN_SO_SP_E_clIPjSG_PS9_SI_EESM_S12_SN_SO_SP_EUlS12_E0_NS1_11comp_targetILNS1_3genE4ELNS1_11target_archE910ELNS1_3gpuE8ELNS1_3repE0EEENS1_38merge_mergepath_config_static_selectorELNS0_4arch9wavefront6targetE0EEEvSO_.uses_flat_scratch, 0
	.set _ZN7rocprim17ROCPRIM_400000_NS6detail17trampoline_kernelINS0_14default_configENS1_38merge_sort_block_merge_config_selectorIjN6thrust23THRUST_200600_302600_NS5tupleIffNS6_9null_typeES8_S8_S8_S8_S8_S8_S8_EEEEZZNS1_27merge_sort_block_merge_implIS3_NS6_6detail15normal_iteratorINS6_10device_ptrIjEEEENSD_INSE_IS9_EEEEjNS1_19radix_merge_compareILb0ELb0EjNS0_19identity_decomposerEEEEE10hipError_tT0_T1_T2_jT3_P12ihipStream_tbPNSt15iterator_traitsISN_E10value_typeEPNST_ISO_E10value_typeEPSP_NS1_7vsmem_tEENKUlT_SN_SO_SP_E_clIPjSG_PS9_SI_EESM_S12_SN_SO_SP_EUlS12_E0_NS1_11comp_targetILNS1_3genE4ELNS1_11target_archE910ELNS1_3gpuE8ELNS1_3repE0EEENS1_38merge_mergepath_config_static_selectorELNS0_4arch9wavefront6targetE0EEEvSO_.has_dyn_sized_stack, 0
	.set _ZN7rocprim17ROCPRIM_400000_NS6detail17trampoline_kernelINS0_14default_configENS1_38merge_sort_block_merge_config_selectorIjN6thrust23THRUST_200600_302600_NS5tupleIffNS6_9null_typeES8_S8_S8_S8_S8_S8_S8_EEEEZZNS1_27merge_sort_block_merge_implIS3_NS6_6detail15normal_iteratorINS6_10device_ptrIjEEEENSD_INSE_IS9_EEEEjNS1_19radix_merge_compareILb0ELb0EjNS0_19identity_decomposerEEEEE10hipError_tT0_T1_T2_jT3_P12ihipStream_tbPNSt15iterator_traitsISN_E10value_typeEPNST_ISO_E10value_typeEPSP_NS1_7vsmem_tEENKUlT_SN_SO_SP_E_clIPjSG_PS9_SI_EESM_S12_SN_SO_SP_EUlS12_E0_NS1_11comp_targetILNS1_3genE4ELNS1_11target_archE910ELNS1_3gpuE8ELNS1_3repE0EEENS1_38merge_mergepath_config_static_selectorELNS0_4arch9wavefront6targetE0EEEvSO_.has_recursion, 0
	.set _ZN7rocprim17ROCPRIM_400000_NS6detail17trampoline_kernelINS0_14default_configENS1_38merge_sort_block_merge_config_selectorIjN6thrust23THRUST_200600_302600_NS5tupleIffNS6_9null_typeES8_S8_S8_S8_S8_S8_S8_EEEEZZNS1_27merge_sort_block_merge_implIS3_NS6_6detail15normal_iteratorINS6_10device_ptrIjEEEENSD_INSE_IS9_EEEEjNS1_19radix_merge_compareILb0ELb0EjNS0_19identity_decomposerEEEEE10hipError_tT0_T1_T2_jT3_P12ihipStream_tbPNSt15iterator_traitsISN_E10value_typeEPNST_ISO_E10value_typeEPSP_NS1_7vsmem_tEENKUlT_SN_SO_SP_E_clIPjSG_PS9_SI_EESM_S12_SN_SO_SP_EUlS12_E0_NS1_11comp_targetILNS1_3genE4ELNS1_11target_archE910ELNS1_3gpuE8ELNS1_3repE0EEENS1_38merge_mergepath_config_static_selectorELNS0_4arch9wavefront6targetE0EEEvSO_.has_indirect_call, 0
	.section	.AMDGPU.csdata,"",@progbits
; Kernel info:
; codeLenInByte = 0
; TotalNumSgprs: 0
; NumVgprs: 0
; ScratchSize: 0
; MemoryBound: 0
; FloatMode: 240
; IeeeMode: 1
; LDSByteSize: 0 bytes/workgroup (compile time only)
; SGPRBlocks: 0
; VGPRBlocks: 0
; NumSGPRsForWavesPerEU: 1
; NumVGPRsForWavesPerEU: 1
; NamedBarCnt: 0
; Occupancy: 16
; WaveLimiterHint : 0
; COMPUTE_PGM_RSRC2:SCRATCH_EN: 0
; COMPUTE_PGM_RSRC2:USER_SGPR: 2
; COMPUTE_PGM_RSRC2:TRAP_HANDLER: 0
; COMPUTE_PGM_RSRC2:TGID_X_EN: 1
; COMPUTE_PGM_RSRC2:TGID_Y_EN: 0
; COMPUTE_PGM_RSRC2:TGID_Z_EN: 0
; COMPUTE_PGM_RSRC2:TIDIG_COMP_CNT: 0
	.section	.text._ZN7rocprim17ROCPRIM_400000_NS6detail17trampoline_kernelINS0_14default_configENS1_38merge_sort_block_merge_config_selectorIjN6thrust23THRUST_200600_302600_NS5tupleIffNS6_9null_typeES8_S8_S8_S8_S8_S8_S8_EEEEZZNS1_27merge_sort_block_merge_implIS3_NS6_6detail15normal_iteratorINS6_10device_ptrIjEEEENSD_INSE_IS9_EEEEjNS1_19radix_merge_compareILb0ELb0EjNS0_19identity_decomposerEEEEE10hipError_tT0_T1_T2_jT3_P12ihipStream_tbPNSt15iterator_traitsISN_E10value_typeEPNST_ISO_E10value_typeEPSP_NS1_7vsmem_tEENKUlT_SN_SO_SP_E_clIPjSG_PS9_SI_EESM_S12_SN_SO_SP_EUlS12_E0_NS1_11comp_targetILNS1_3genE3ELNS1_11target_archE908ELNS1_3gpuE7ELNS1_3repE0EEENS1_38merge_mergepath_config_static_selectorELNS0_4arch9wavefront6targetE0EEEvSO_,"axG",@progbits,_ZN7rocprim17ROCPRIM_400000_NS6detail17trampoline_kernelINS0_14default_configENS1_38merge_sort_block_merge_config_selectorIjN6thrust23THRUST_200600_302600_NS5tupleIffNS6_9null_typeES8_S8_S8_S8_S8_S8_S8_EEEEZZNS1_27merge_sort_block_merge_implIS3_NS6_6detail15normal_iteratorINS6_10device_ptrIjEEEENSD_INSE_IS9_EEEEjNS1_19radix_merge_compareILb0ELb0EjNS0_19identity_decomposerEEEEE10hipError_tT0_T1_T2_jT3_P12ihipStream_tbPNSt15iterator_traitsISN_E10value_typeEPNST_ISO_E10value_typeEPSP_NS1_7vsmem_tEENKUlT_SN_SO_SP_E_clIPjSG_PS9_SI_EESM_S12_SN_SO_SP_EUlS12_E0_NS1_11comp_targetILNS1_3genE3ELNS1_11target_archE908ELNS1_3gpuE7ELNS1_3repE0EEENS1_38merge_mergepath_config_static_selectorELNS0_4arch9wavefront6targetE0EEEvSO_,comdat
	.protected	_ZN7rocprim17ROCPRIM_400000_NS6detail17trampoline_kernelINS0_14default_configENS1_38merge_sort_block_merge_config_selectorIjN6thrust23THRUST_200600_302600_NS5tupleIffNS6_9null_typeES8_S8_S8_S8_S8_S8_S8_EEEEZZNS1_27merge_sort_block_merge_implIS3_NS6_6detail15normal_iteratorINS6_10device_ptrIjEEEENSD_INSE_IS9_EEEEjNS1_19radix_merge_compareILb0ELb0EjNS0_19identity_decomposerEEEEE10hipError_tT0_T1_T2_jT3_P12ihipStream_tbPNSt15iterator_traitsISN_E10value_typeEPNST_ISO_E10value_typeEPSP_NS1_7vsmem_tEENKUlT_SN_SO_SP_E_clIPjSG_PS9_SI_EESM_S12_SN_SO_SP_EUlS12_E0_NS1_11comp_targetILNS1_3genE3ELNS1_11target_archE908ELNS1_3gpuE7ELNS1_3repE0EEENS1_38merge_mergepath_config_static_selectorELNS0_4arch9wavefront6targetE0EEEvSO_ ; -- Begin function _ZN7rocprim17ROCPRIM_400000_NS6detail17trampoline_kernelINS0_14default_configENS1_38merge_sort_block_merge_config_selectorIjN6thrust23THRUST_200600_302600_NS5tupleIffNS6_9null_typeES8_S8_S8_S8_S8_S8_S8_EEEEZZNS1_27merge_sort_block_merge_implIS3_NS6_6detail15normal_iteratorINS6_10device_ptrIjEEEENSD_INSE_IS9_EEEEjNS1_19radix_merge_compareILb0ELb0EjNS0_19identity_decomposerEEEEE10hipError_tT0_T1_T2_jT3_P12ihipStream_tbPNSt15iterator_traitsISN_E10value_typeEPNST_ISO_E10value_typeEPSP_NS1_7vsmem_tEENKUlT_SN_SO_SP_E_clIPjSG_PS9_SI_EESM_S12_SN_SO_SP_EUlS12_E0_NS1_11comp_targetILNS1_3genE3ELNS1_11target_archE908ELNS1_3gpuE7ELNS1_3repE0EEENS1_38merge_mergepath_config_static_selectorELNS0_4arch9wavefront6targetE0EEEvSO_
	.globl	_ZN7rocprim17ROCPRIM_400000_NS6detail17trampoline_kernelINS0_14default_configENS1_38merge_sort_block_merge_config_selectorIjN6thrust23THRUST_200600_302600_NS5tupleIffNS6_9null_typeES8_S8_S8_S8_S8_S8_S8_EEEEZZNS1_27merge_sort_block_merge_implIS3_NS6_6detail15normal_iteratorINS6_10device_ptrIjEEEENSD_INSE_IS9_EEEEjNS1_19radix_merge_compareILb0ELb0EjNS0_19identity_decomposerEEEEE10hipError_tT0_T1_T2_jT3_P12ihipStream_tbPNSt15iterator_traitsISN_E10value_typeEPNST_ISO_E10value_typeEPSP_NS1_7vsmem_tEENKUlT_SN_SO_SP_E_clIPjSG_PS9_SI_EESM_S12_SN_SO_SP_EUlS12_E0_NS1_11comp_targetILNS1_3genE3ELNS1_11target_archE908ELNS1_3gpuE7ELNS1_3repE0EEENS1_38merge_mergepath_config_static_selectorELNS0_4arch9wavefront6targetE0EEEvSO_
	.p2align	8
	.type	_ZN7rocprim17ROCPRIM_400000_NS6detail17trampoline_kernelINS0_14default_configENS1_38merge_sort_block_merge_config_selectorIjN6thrust23THRUST_200600_302600_NS5tupleIffNS6_9null_typeES8_S8_S8_S8_S8_S8_S8_EEEEZZNS1_27merge_sort_block_merge_implIS3_NS6_6detail15normal_iteratorINS6_10device_ptrIjEEEENSD_INSE_IS9_EEEEjNS1_19radix_merge_compareILb0ELb0EjNS0_19identity_decomposerEEEEE10hipError_tT0_T1_T2_jT3_P12ihipStream_tbPNSt15iterator_traitsISN_E10value_typeEPNST_ISO_E10value_typeEPSP_NS1_7vsmem_tEENKUlT_SN_SO_SP_E_clIPjSG_PS9_SI_EESM_S12_SN_SO_SP_EUlS12_E0_NS1_11comp_targetILNS1_3genE3ELNS1_11target_archE908ELNS1_3gpuE7ELNS1_3repE0EEENS1_38merge_mergepath_config_static_selectorELNS0_4arch9wavefront6targetE0EEEvSO_,@function
_ZN7rocprim17ROCPRIM_400000_NS6detail17trampoline_kernelINS0_14default_configENS1_38merge_sort_block_merge_config_selectorIjN6thrust23THRUST_200600_302600_NS5tupleIffNS6_9null_typeES8_S8_S8_S8_S8_S8_S8_EEEEZZNS1_27merge_sort_block_merge_implIS3_NS6_6detail15normal_iteratorINS6_10device_ptrIjEEEENSD_INSE_IS9_EEEEjNS1_19radix_merge_compareILb0ELb0EjNS0_19identity_decomposerEEEEE10hipError_tT0_T1_T2_jT3_P12ihipStream_tbPNSt15iterator_traitsISN_E10value_typeEPNST_ISO_E10value_typeEPSP_NS1_7vsmem_tEENKUlT_SN_SO_SP_E_clIPjSG_PS9_SI_EESM_S12_SN_SO_SP_EUlS12_E0_NS1_11comp_targetILNS1_3genE3ELNS1_11target_archE908ELNS1_3gpuE7ELNS1_3repE0EEENS1_38merge_mergepath_config_static_selectorELNS0_4arch9wavefront6targetE0EEEvSO_: ; @_ZN7rocprim17ROCPRIM_400000_NS6detail17trampoline_kernelINS0_14default_configENS1_38merge_sort_block_merge_config_selectorIjN6thrust23THRUST_200600_302600_NS5tupleIffNS6_9null_typeES8_S8_S8_S8_S8_S8_S8_EEEEZZNS1_27merge_sort_block_merge_implIS3_NS6_6detail15normal_iteratorINS6_10device_ptrIjEEEENSD_INSE_IS9_EEEEjNS1_19radix_merge_compareILb0ELb0EjNS0_19identity_decomposerEEEEE10hipError_tT0_T1_T2_jT3_P12ihipStream_tbPNSt15iterator_traitsISN_E10value_typeEPNST_ISO_E10value_typeEPSP_NS1_7vsmem_tEENKUlT_SN_SO_SP_E_clIPjSG_PS9_SI_EESM_S12_SN_SO_SP_EUlS12_E0_NS1_11comp_targetILNS1_3genE3ELNS1_11target_archE908ELNS1_3gpuE7ELNS1_3repE0EEENS1_38merge_mergepath_config_static_selectorELNS0_4arch9wavefront6targetE0EEEvSO_
; %bb.0:
	.section	.rodata,"a",@progbits
	.p2align	6, 0x0
	.amdhsa_kernel _ZN7rocprim17ROCPRIM_400000_NS6detail17trampoline_kernelINS0_14default_configENS1_38merge_sort_block_merge_config_selectorIjN6thrust23THRUST_200600_302600_NS5tupleIffNS6_9null_typeES8_S8_S8_S8_S8_S8_S8_EEEEZZNS1_27merge_sort_block_merge_implIS3_NS6_6detail15normal_iteratorINS6_10device_ptrIjEEEENSD_INSE_IS9_EEEEjNS1_19radix_merge_compareILb0ELb0EjNS0_19identity_decomposerEEEEE10hipError_tT0_T1_T2_jT3_P12ihipStream_tbPNSt15iterator_traitsISN_E10value_typeEPNST_ISO_E10value_typeEPSP_NS1_7vsmem_tEENKUlT_SN_SO_SP_E_clIPjSG_PS9_SI_EESM_S12_SN_SO_SP_EUlS12_E0_NS1_11comp_targetILNS1_3genE3ELNS1_11target_archE908ELNS1_3gpuE7ELNS1_3repE0EEENS1_38merge_mergepath_config_static_selectorELNS0_4arch9wavefront6targetE0EEEvSO_
		.amdhsa_group_segment_fixed_size 0
		.amdhsa_private_segment_fixed_size 0
		.amdhsa_kernarg_size 64
		.amdhsa_user_sgpr_count 2
		.amdhsa_user_sgpr_dispatch_ptr 0
		.amdhsa_user_sgpr_queue_ptr 0
		.amdhsa_user_sgpr_kernarg_segment_ptr 1
		.amdhsa_user_sgpr_dispatch_id 0
		.amdhsa_user_sgpr_kernarg_preload_length 0
		.amdhsa_user_sgpr_kernarg_preload_offset 0
		.amdhsa_user_sgpr_private_segment_size 0
		.amdhsa_wavefront_size32 1
		.amdhsa_uses_dynamic_stack 0
		.amdhsa_enable_private_segment 0
		.amdhsa_system_sgpr_workgroup_id_x 1
		.amdhsa_system_sgpr_workgroup_id_y 0
		.amdhsa_system_sgpr_workgroup_id_z 0
		.amdhsa_system_sgpr_workgroup_info 0
		.amdhsa_system_vgpr_workitem_id 0
		.amdhsa_next_free_vgpr 1
		.amdhsa_next_free_sgpr 1
		.amdhsa_named_barrier_count 0
		.amdhsa_reserve_vcc 0
		.amdhsa_float_round_mode_32 0
		.amdhsa_float_round_mode_16_64 0
		.amdhsa_float_denorm_mode_32 3
		.amdhsa_float_denorm_mode_16_64 3
		.amdhsa_fp16_overflow 0
		.amdhsa_memory_ordered 1
		.amdhsa_forward_progress 1
		.amdhsa_inst_pref_size 0
		.amdhsa_round_robin_scheduling 0
		.amdhsa_exception_fp_ieee_invalid_op 0
		.amdhsa_exception_fp_denorm_src 0
		.amdhsa_exception_fp_ieee_div_zero 0
		.amdhsa_exception_fp_ieee_overflow 0
		.amdhsa_exception_fp_ieee_underflow 0
		.amdhsa_exception_fp_ieee_inexact 0
		.amdhsa_exception_int_div_zero 0
	.end_amdhsa_kernel
	.section	.text._ZN7rocprim17ROCPRIM_400000_NS6detail17trampoline_kernelINS0_14default_configENS1_38merge_sort_block_merge_config_selectorIjN6thrust23THRUST_200600_302600_NS5tupleIffNS6_9null_typeES8_S8_S8_S8_S8_S8_S8_EEEEZZNS1_27merge_sort_block_merge_implIS3_NS6_6detail15normal_iteratorINS6_10device_ptrIjEEEENSD_INSE_IS9_EEEEjNS1_19radix_merge_compareILb0ELb0EjNS0_19identity_decomposerEEEEE10hipError_tT0_T1_T2_jT3_P12ihipStream_tbPNSt15iterator_traitsISN_E10value_typeEPNST_ISO_E10value_typeEPSP_NS1_7vsmem_tEENKUlT_SN_SO_SP_E_clIPjSG_PS9_SI_EESM_S12_SN_SO_SP_EUlS12_E0_NS1_11comp_targetILNS1_3genE3ELNS1_11target_archE908ELNS1_3gpuE7ELNS1_3repE0EEENS1_38merge_mergepath_config_static_selectorELNS0_4arch9wavefront6targetE0EEEvSO_,"axG",@progbits,_ZN7rocprim17ROCPRIM_400000_NS6detail17trampoline_kernelINS0_14default_configENS1_38merge_sort_block_merge_config_selectorIjN6thrust23THRUST_200600_302600_NS5tupleIffNS6_9null_typeES8_S8_S8_S8_S8_S8_S8_EEEEZZNS1_27merge_sort_block_merge_implIS3_NS6_6detail15normal_iteratorINS6_10device_ptrIjEEEENSD_INSE_IS9_EEEEjNS1_19radix_merge_compareILb0ELb0EjNS0_19identity_decomposerEEEEE10hipError_tT0_T1_T2_jT3_P12ihipStream_tbPNSt15iterator_traitsISN_E10value_typeEPNST_ISO_E10value_typeEPSP_NS1_7vsmem_tEENKUlT_SN_SO_SP_E_clIPjSG_PS9_SI_EESM_S12_SN_SO_SP_EUlS12_E0_NS1_11comp_targetILNS1_3genE3ELNS1_11target_archE908ELNS1_3gpuE7ELNS1_3repE0EEENS1_38merge_mergepath_config_static_selectorELNS0_4arch9wavefront6targetE0EEEvSO_,comdat
.Lfunc_end37:
	.size	_ZN7rocprim17ROCPRIM_400000_NS6detail17trampoline_kernelINS0_14default_configENS1_38merge_sort_block_merge_config_selectorIjN6thrust23THRUST_200600_302600_NS5tupleIffNS6_9null_typeES8_S8_S8_S8_S8_S8_S8_EEEEZZNS1_27merge_sort_block_merge_implIS3_NS6_6detail15normal_iteratorINS6_10device_ptrIjEEEENSD_INSE_IS9_EEEEjNS1_19radix_merge_compareILb0ELb0EjNS0_19identity_decomposerEEEEE10hipError_tT0_T1_T2_jT3_P12ihipStream_tbPNSt15iterator_traitsISN_E10value_typeEPNST_ISO_E10value_typeEPSP_NS1_7vsmem_tEENKUlT_SN_SO_SP_E_clIPjSG_PS9_SI_EESM_S12_SN_SO_SP_EUlS12_E0_NS1_11comp_targetILNS1_3genE3ELNS1_11target_archE908ELNS1_3gpuE7ELNS1_3repE0EEENS1_38merge_mergepath_config_static_selectorELNS0_4arch9wavefront6targetE0EEEvSO_, .Lfunc_end37-_ZN7rocprim17ROCPRIM_400000_NS6detail17trampoline_kernelINS0_14default_configENS1_38merge_sort_block_merge_config_selectorIjN6thrust23THRUST_200600_302600_NS5tupleIffNS6_9null_typeES8_S8_S8_S8_S8_S8_S8_EEEEZZNS1_27merge_sort_block_merge_implIS3_NS6_6detail15normal_iteratorINS6_10device_ptrIjEEEENSD_INSE_IS9_EEEEjNS1_19radix_merge_compareILb0ELb0EjNS0_19identity_decomposerEEEEE10hipError_tT0_T1_T2_jT3_P12ihipStream_tbPNSt15iterator_traitsISN_E10value_typeEPNST_ISO_E10value_typeEPSP_NS1_7vsmem_tEENKUlT_SN_SO_SP_E_clIPjSG_PS9_SI_EESM_S12_SN_SO_SP_EUlS12_E0_NS1_11comp_targetILNS1_3genE3ELNS1_11target_archE908ELNS1_3gpuE7ELNS1_3repE0EEENS1_38merge_mergepath_config_static_selectorELNS0_4arch9wavefront6targetE0EEEvSO_
                                        ; -- End function
	.set _ZN7rocprim17ROCPRIM_400000_NS6detail17trampoline_kernelINS0_14default_configENS1_38merge_sort_block_merge_config_selectorIjN6thrust23THRUST_200600_302600_NS5tupleIffNS6_9null_typeES8_S8_S8_S8_S8_S8_S8_EEEEZZNS1_27merge_sort_block_merge_implIS3_NS6_6detail15normal_iteratorINS6_10device_ptrIjEEEENSD_INSE_IS9_EEEEjNS1_19radix_merge_compareILb0ELb0EjNS0_19identity_decomposerEEEEE10hipError_tT0_T1_T2_jT3_P12ihipStream_tbPNSt15iterator_traitsISN_E10value_typeEPNST_ISO_E10value_typeEPSP_NS1_7vsmem_tEENKUlT_SN_SO_SP_E_clIPjSG_PS9_SI_EESM_S12_SN_SO_SP_EUlS12_E0_NS1_11comp_targetILNS1_3genE3ELNS1_11target_archE908ELNS1_3gpuE7ELNS1_3repE0EEENS1_38merge_mergepath_config_static_selectorELNS0_4arch9wavefront6targetE0EEEvSO_.num_vgpr, 0
	.set _ZN7rocprim17ROCPRIM_400000_NS6detail17trampoline_kernelINS0_14default_configENS1_38merge_sort_block_merge_config_selectorIjN6thrust23THRUST_200600_302600_NS5tupleIffNS6_9null_typeES8_S8_S8_S8_S8_S8_S8_EEEEZZNS1_27merge_sort_block_merge_implIS3_NS6_6detail15normal_iteratorINS6_10device_ptrIjEEEENSD_INSE_IS9_EEEEjNS1_19radix_merge_compareILb0ELb0EjNS0_19identity_decomposerEEEEE10hipError_tT0_T1_T2_jT3_P12ihipStream_tbPNSt15iterator_traitsISN_E10value_typeEPNST_ISO_E10value_typeEPSP_NS1_7vsmem_tEENKUlT_SN_SO_SP_E_clIPjSG_PS9_SI_EESM_S12_SN_SO_SP_EUlS12_E0_NS1_11comp_targetILNS1_3genE3ELNS1_11target_archE908ELNS1_3gpuE7ELNS1_3repE0EEENS1_38merge_mergepath_config_static_selectorELNS0_4arch9wavefront6targetE0EEEvSO_.num_agpr, 0
	.set _ZN7rocprim17ROCPRIM_400000_NS6detail17trampoline_kernelINS0_14default_configENS1_38merge_sort_block_merge_config_selectorIjN6thrust23THRUST_200600_302600_NS5tupleIffNS6_9null_typeES8_S8_S8_S8_S8_S8_S8_EEEEZZNS1_27merge_sort_block_merge_implIS3_NS6_6detail15normal_iteratorINS6_10device_ptrIjEEEENSD_INSE_IS9_EEEEjNS1_19radix_merge_compareILb0ELb0EjNS0_19identity_decomposerEEEEE10hipError_tT0_T1_T2_jT3_P12ihipStream_tbPNSt15iterator_traitsISN_E10value_typeEPNST_ISO_E10value_typeEPSP_NS1_7vsmem_tEENKUlT_SN_SO_SP_E_clIPjSG_PS9_SI_EESM_S12_SN_SO_SP_EUlS12_E0_NS1_11comp_targetILNS1_3genE3ELNS1_11target_archE908ELNS1_3gpuE7ELNS1_3repE0EEENS1_38merge_mergepath_config_static_selectorELNS0_4arch9wavefront6targetE0EEEvSO_.numbered_sgpr, 0
	.set _ZN7rocprim17ROCPRIM_400000_NS6detail17trampoline_kernelINS0_14default_configENS1_38merge_sort_block_merge_config_selectorIjN6thrust23THRUST_200600_302600_NS5tupleIffNS6_9null_typeES8_S8_S8_S8_S8_S8_S8_EEEEZZNS1_27merge_sort_block_merge_implIS3_NS6_6detail15normal_iteratorINS6_10device_ptrIjEEEENSD_INSE_IS9_EEEEjNS1_19radix_merge_compareILb0ELb0EjNS0_19identity_decomposerEEEEE10hipError_tT0_T1_T2_jT3_P12ihipStream_tbPNSt15iterator_traitsISN_E10value_typeEPNST_ISO_E10value_typeEPSP_NS1_7vsmem_tEENKUlT_SN_SO_SP_E_clIPjSG_PS9_SI_EESM_S12_SN_SO_SP_EUlS12_E0_NS1_11comp_targetILNS1_3genE3ELNS1_11target_archE908ELNS1_3gpuE7ELNS1_3repE0EEENS1_38merge_mergepath_config_static_selectorELNS0_4arch9wavefront6targetE0EEEvSO_.num_named_barrier, 0
	.set _ZN7rocprim17ROCPRIM_400000_NS6detail17trampoline_kernelINS0_14default_configENS1_38merge_sort_block_merge_config_selectorIjN6thrust23THRUST_200600_302600_NS5tupleIffNS6_9null_typeES8_S8_S8_S8_S8_S8_S8_EEEEZZNS1_27merge_sort_block_merge_implIS3_NS6_6detail15normal_iteratorINS6_10device_ptrIjEEEENSD_INSE_IS9_EEEEjNS1_19radix_merge_compareILb0ELb0EjNS0_19identity_decomposerEEEEE10hipError_tT0_T1_T2_jT3_P12ihipStream_tbPNSt15iterator_traitsISN_E10value_typeEPNST_ISO_E10value_typeEPSP_NS1_7vsmem_tEENKUlT_SN_SO_SP_E_clIPjSG_PS9_SI_EESM_S12_SN_SO_SP_EUlS12_E0_NS1_11comp_targetILNS1_3genE3ELNS1_11target_archE908ELNS1_3gpuE7ELNS1_3repE0EEENS1_38merge_mergepath_config_static_selectorELNS0_4arch9wavefront6targetE0EEEvSO_.private_seg_size, 0
	.set _ZN7rocprim17ROCPRIM_400000_NS6detail17trampoline_kernelINS0_14default_configENS1_38merge_sort_block_merge_config_selectorIjN6thrust23THRUST_200600_302600_NS5tupleIffNS6_9null_typeES8_S8_S8_S8_S8_S8_S8_EEEEZZNS1_27merge_sort_block_merge_implIS3_NS6_6detail15normal_iteratorINS6_10device_ptrIjEEEENSD_INSE_IS9_EEEEjNS1_19radix_merge_compareILb0ELb0EjNS0_19identity_decomposerEEEEE10hipError_tT0_T1_T2_jT3_P12ihipStream_tbPNSt15iterator_traitsISN_E10value_typeEPNST_ISO_E10value_typeEPSP_NS1_7vsmem_tEENKUlT_SN_SO_SP_E_clIPjSG_PS9_SI_EESM_S12_SN_SO_SP_EUlS12_E0_NS1_11comp_targetILNS1_3genE3ELNS1_11target_archE908ELNS1_3gpuE7ELNS1_3repE0EEENS1_38merge_mergepath_config_static_selectorELNS0_4arch9wavefront6targetE0EEEvSO_.uses_vcc, 0
	.set _ZN7rocprim17ROCPRIM_400000_NS6detail17trampoline_kernelINS0_14default_configENS1_38merge_sort_block_merge_config_selectorIjN6thrust23THRUST_200600_302600_NS5tupleIffNS6_9null_typeES8_S8_S8_S8_S8_S8_S8_EEEEZZNS1_27merge_sort_block_merge_implIS3_NS6_6detail15normal_iteratorINS6_10device_ptrIjEEEENSD_INSE_IS9_EEEEjNS1_19radix_merge_compareILb0ELb0EjNS0_19identity_decomposerEEEEE10hipError_tT0_T1_T2_jT3_P12ihipStream_tbPNSt15iterator_traitsISN_E10value_typeEPNST_ISO_E10value_typeEPSP_NS1_7vsmem_tEENKUlT_SN_SO_SP_E_clIPjSG_PS9_SI_EESM_S12_SN_SO_SP_EUlS12_E0_NS1_11comp_targetILNS1_3genE3ELNS1_11target_archE908ELNS1_3gpuE7ELNS1_3repE0EEENS1_38merge_mergepath_config_static_selectorELNS0_4arch9wavefront6targetE0EEEvSO_.uses_flat_scratch, 0
	.set _ZN7rocprim17ROCPRIM_400000_NS6detail17trampoline_kernelINS0_14default_configENS1_38merge_sort_block_merge_config_selectorIjN6thrust23THRUST_200600_302600_NS5tupleIffNS6_9null_typeES8_S8_S8_S8_S8_S8_S8_EEEEZZNS1_27merge_sort_block_merge_implIS3_NS6_6detail15normal_iteratorINS6_10device_ptrIjEEEENSD_INSE_IS9_EEEEjNS1_19radix_merge_compareILb0ELb0EjNS0_19identity_decomposerEEEEE10hipError_tT0_T1_T2_jT3_P12ihipStream_tbPNSt15iterator_traitsISN_E10value_typeEPNST_ISO_E10value_typeEPSP_NS1_7vsmem_tEENKUlT_SN_SO_SP_E_clIPjSG_PS9_SI_EESM_S12_SN_SO_SP_EUlS12_E0_NS1_11comp_targetILNS1_3genE3ELNS1_11target_archE908ELNS1_3gpuE7ELNS1_3repE0EEENS1_38merge_mergepath_config_static_selectorELNS0_4arch9wavefront6targetE0EEEvSO_.has_dyn_sized_stack, 0
	.set _ZN7rocprim17ROCPRIM_400000_NS6detail17trampoline_kernelINS0_14default_configENS1_38merge_sort_block_merge_config_selectorIjN6thrust23THRUST_200600_302600_NS5tupleIffNS6_9null_typeES8_S8_S8_S8_S8_S8_S8_EEEEZZNS1_27merge_sort_block_merge_implIS3_NS6_6detail15normal_iteratorINS6_10device_ptrIjEEEENSD_INSE_IS9_EEEEjNS1_19radix_merge_compareILb0ELb0EjNS0_19identity_decomposerEEEEE10hipError_tT0_T1_T2_jT3_P12ihipStream_tbPNSt15iterator_traitsISN_E10value_typeEPNST_ISO_E10value_typeEPSP_NS1_7vsmem_tEENKUlT_SN_SO_SP_E_clIPjSG_PS9_SI_EESM_S12_SN_SO_SP_EUlS12_E0_NS1_11comp_targetILNS1_3genE3ELNS1_11target_archE908ELNS1_3gpuE7ELNS1_3repE0EEENS1_38merge_mergepath_config_static_selectorELNS0_4arch9wavefront6targetE0EEEvSO_.has_recursion, 0
	.set _ZN7rocprim17ROCPRIM_400000_NS6detail17trampoline_kernelINS0_14default_configENS1_38merge_sort_block_merge_config_selectorIjN6thrust23THRUST_200600_302600_NS5tupleIffNS6_9null_typeES8_S8_S8_S8_S8_S8_S8_EEEEZZNS1_27merge_sort_block_merge_implIS3_NS6_6detail15normal_iteratorINS6_10device_ptrIjEEEENSD_INSE_IS9_EEEEjNS1_19radix_merge_compareILb0ELb0EjNS0_19identity_decomposerEEEEE10hipError_tT0_T1_T2_jT3_P12ihipStream_tbPNSt15iterator_traitsISN_E10value_typeEPNST_ISO_E10value_typeEPSP_NS1_7vsmem_tEENKUlT_SN_SO_SP_E_clIPjSG_PS9_SI_EESM_S12_SN_SO_SP_EUlS12_E0_NS1_11comp_targetILNS1_3genE3ELNS1_11target_archE908ELNS1_3gpuE7ELNS1_3repE0EEENS1_38merge_mergepath_config_static_selectorELNS0_4arch9wavefront6targetE0EEEvSO_.has_indirect_call, 0
	.section	.AMDGPU.csdata,"",@progbits
; Kernel info:
; codeLenInByte = 0
; TotalNumSgprs: 0
; NumVgprs: 0
; ScratchSize: 0
; MemoryBound: 0
; FloatMode: 240
; IeeeMode: 1
; LDSByteSize: 0 bytes/workgroup (compile time only)
; SGPRBlocks: 0
; VGPRBlocks: 0
; NumSGPRsForWavesPerEU: 1
; NumVGPRsForWavesPerEU: 1
; NamedBarCnt: 0
; Occupancy: 16
; WaveLimiterHint : 0
; COMPUTE_PGM_RSRC2:SCRATCH_EN: 0
; COMPUTE_PGM_RSRC2:USER_SGPR: 2
; COMPUTE_PGM_RSRC2:TRAP_HANDLER: 0
; COMPUTE_PGM_RSRC2:TGID_X_EN: 1
; COMPUTE_PGM_RSRC2:TGID_Y_EN: 0
; COMPUTE_PGM_RSRC2:TGID_Z_EN: 0
; COMPUTE_PGM_RSRC2:TIDIG_COMP_CNT: 0
	.section	.text._ZN7rocprim17ROCPRIM_400000_NS6detail17trampoline_kernelINS0_14default_configENS1_38merge_sort_block_merge_config_selectorIjN6thrust23THRUST_200600_302600_NS5tupleIffNS6_9null_typeES8_S8_S8_S8_S8_S8_S8_EEEEZZNS1_27merge_sort_block_merge_implIS3_NS6_6detail15normal_iteratorINS6_10device_ptrIjEEEENSD_INSE_IS9_EEEEjNS1_19radix_merge_compareILb0ELb0EjNS0_19identity_decomposerEEEEE10hipError_tT0_T1_T2_jT3_P12ihipStream_tbPNSt15iterator_traitsISN_E10value_typeEPNST_ISO_E10value_typeEPSP_NS1_7vsmem_tEENKUlT_SN_SO_SP_E_clIPjSG_PS9_SI_EESM_S12_SN_SO_SP_EUlS12_E0_NS1_11comp_targetILNS1_3genE2ELNS1_11target_archE906ELNS1_3gpuE6ELNS1_3repE0EEENS1_38merge_mergepath_config_static_selectorELNS0_4arch9wavefront6targetE0EEEvSO_,"axG",@progbits,_ZN7rocprim17ROCPRIM_400000_NS6detail17trampoline_kernelINS0_14default_configENS1_38merge_sort_block_merge_config_selectorIjN6thrust23THRUST_200600_302600_NS5tupleIffNS6_9null_typeES8_S8_S8_S8_S8_S8_S8_EEEEZZNS1_27merge_sort_block_merge_implIS3_NS6_6detail15normal_iteratorINS6_10device_ptrIjEEEENSD_INSE_IS9_EEEEjNS1_19radix_merge_compareILb0ELb0EjNS0_19identity_decomposerEEEEE10hipError_tT0_T1_T2_jT3_P12ihipStream_tbPNSt15iterator_traitsISN_E10value_typeEPNST_ISO_E10value_typeEPSP_NS1_7vsmem_tEENKUlT_SN_SO_SP_E_clIPjSG_PS9_SI_EESM_S12_SN_SO_SP_EUlS12_E0_NS1_11comp_targetILNS1_3genE2ELNS1_11target_archE906ELNS1_3gpuE6ELNS1_3repE0EEENS1_38merge_mergepath_config_static_selectorELNS0_4arch9wavefront6targetE0EEEvSO_,comdat
	.protected	_ZN7rocprim17ROCPRIM_400000_NS6detail17trampoline_kernelINS0_14default_configENS1_38merge_sort_block_merge_config_selectorIjN6thrust23THRUST_200600_302600_NS5tupleIffNS6_9null_typeES8_S8_S8_S8_S8_S8_S8_EEEEZZNS1_27merge_sort_block_merge_implIS3_NS6_6detail15normal_iteratorINS6_10device_ptrIjEEEENSD_INSE_IS9_EEEEjNS1_19radix_merge_compareILb0ELb0EjNS0_19identity_decomposerEEEEE10hipError_tT0_T1_T2_jT3_P12ihipStream_tbPNSt15iterator_traitsISN_E10value_typeEPNST_ISO_E10value_typeEPSP_NS1_7vsmem_tEENKUlT_SN_SO_SP_E_clIPjSG_PS9_SI_EESM_S12_SN_SO_SP_EUlS12_E0_NS1_11comp_targetILNS1_3genE2ELNS1_11target_archE906ELNS1_3gpuE6ELNS1_3repE0EEENS1_38merge_mergepath_config_static_selectorELNS0_4arch9wavefront6targetE0EEEvSO_ ; -- Begin function _ZN7rocprim17ROCPRIM_400000_NS6detail17trampoline_kernelINS0_14default_configENS1_38merge_sort_block_merge_config_selectorIjN6thrust23THRUST_200600_302600_NS5tupleIffNS6_9null_typeES8_S8_S8_S8_S8_S8_S8_EEEEZZNS1_27merge_sort_block_merge_implIS3_NS6_6detail15normal_iteratorINS6_10device_ptrIjEEEENSD_INSE_IS9_EEEEjNS1_19radix_merge_compareILb0ELb0EjNS0_19identity_decomposerEEEEE10hipError_tT0_T1_T2_jT3_P12ihipStream_tbPNSt15iterator_traitsISN_E10value_typeEPNST_ISO_E10value_typeEPSP_NS1_7vsmem_tEENKUlT_SN_SO_SP_E_clIPjSG_PS9_SI_EESM_S12_SN_SO_SP_EUlS12_E0_NS1_11comp_targetILNS1_3genE2ELNS1_11target_archE906ELNS1_3gpuE6ELNS1_3repE0EEENS1_38merge_mergepath_config_static_selectorELNS0_4arch9wavefront6targetE0EEEvSO_
	.globl	_ZN7rocprim17ROCPRIM_400000_NS6detail17trampoline_kernelINS0_14default_configENS1_38merge_sort_block_merge_config_selectorIjN6thrust23THRUST_200600_302600_NS5tupleIffNS6_9null_typeES8_S8_S8_S8_S8_S8_S8_EEEEZZNS1_27merge_sort_block_merge_implIS3_NS6_6detail15normal_iteratorINS6_10device_ptrIjEEEENSD_INSE_IS9_EEEEjNS1_19radix_merge_compareILb0ELb0EjNS0_19identity_decomposerEEEEE10hipError_tT0_T1_T2_jT3_P12ihipStream_tbPNSt15iterator_traitsISN_E10value_typeEPNST_ISO_E10value_typeEPSP_NS1_7vsmem_tEENKUlT_SN_SO_SP_E_clIPjSG_PS9_SI_EESM_S12_SN_SO_SP_EUlS12_E0_NS1_11comp_targetILNS1_3genE2ELNS1_11target_archE906ELNS1_3gpuE6ELNS1_3repE0EEENS1_38merge_mergepath_config_static_selectorELNS0_4arch9wavefront6targetE0EEEvSO_
	.p2align	8
	.type	_ZN7rocprim17ROCPRIM_400000_NS6detail17trampoline_kernelINS0_14default_configENS1_38merge_sort_block_merge_config_selectorIjN6thrust23THRUST_200600_302600_NS5tupleIffNS6_9null_typeES8_S8_S8_S8_S8_S8_S8_EEEEZZNS1_27merge_sort_block_merge_implIS3_NS6_6detail15normal_iteratorINS6_10device_ptrIjEEEENSD_INSE_IS9_EEEEjNS1_19radix_merge_compareILb0ELb0EjNS0_19identity_decomposerEEEEE10hipError_tT0_T1_T2_jT3_P12ihipStream_tbPNSt15iterator_traitsISN_E10value_typeEPNST_ISO_E10value_typeEPSP_NS1_7vsmem_tEENKUlT_SN_SO_SP_E_clIPjSG_PS9_SI_EESM_S12_SN_SO_SP_EUlS12_E0_NS1_11comp_targetILNS1_3genE2ELNS1_11target_archE906ELNS1_3gpuE6ELNS1_3repE0EEENS1_38merge_mergepath_config_static_selectorELNS0_4arch9wavefront6targetE0EEEvSO_,@function
_ZN7rocprim17ROCPRIM_400000_NS6detail17trampoline_kernelINS0_14default_configENS1_38merge_sort_block_merge_config_selectorIjN6thrust23THRUST_200600_302600_NS5tupleIffNS6_9null_typeES8_S8_S8_S8_S8_S8_S8_EEEEZZNS1_27merge_sort_block_merge_implIS3_NS6_6detail15normal_iteratorINS6_10device_ptrIjEEEENSD_INSE_IS9_EEEEjNS1_19radix_merge_compareILb0ELb0EjNS0_19identity_decomposerEEEEE10hipError_tT0_T1_T2_jT3_P12ihipStream_tbPNSt15iterator_traitsISN_E10value_typeEPNST_ISO_E10value_typeEPSP_NS1_7vsmem_tEENKUlT_SN_SO_SP_E_clIPjSG_PS9_SI_EESM_S12_SN_SO_SP_EUlS12_E0_NS1_11comp_targetILNS1_3genE2ELNS1_11target_archE906ELNS1_3gpuE6ELNS1_3repE0EEENS1_38merge_mergepath_config_static_selectorELNS0_4arch9wavefront6targetE0EEEvSO_: ; @_ZN7rocprim17ROCPRIM_400000_NS6detail17trampoline_kernelINS0_14default_configENS1_38merge_sort_block_merge_config_selectorIjN6thrust23THRUST_200600_302600_NS5tupleIffNS6_9null_typeES8_S8_S8_S8_S8_S8_S8_EEEEZZNS1_27merge_sort_block_merge_implIS3_NS6_6detail15normal_iteratorINS6_10device_ptrIjEEEENSD_INSE_IS9_EEEEjNS1_19radix_merge_compareILb0ELb0EjNS0_19identity_decomposerEEEEE10hipError_tT0_T1_T2_jT3_P12ihipStream_tbPNSt15iterator_traitsISN_E10value_typeEPNST_ISO_E10value_typeEPSP_NS1_7vsmem_tEENKUlT_SN_SO_SP_E_clIPjSG_PS9_SI_EESM_S12_SN_SO_SP_EUlS12_E0_NS1_11comp_targetILNS1_3genE2ELNS1_11target_archE906ELNS1_3gpuE6ELNS1_3repE0EEENS1_38merge_mergepath_config_static_selectorELNS0_4arch9wavefront6targetE0EEEvSO_
; %bb.0:
	.section	.rodata,"a",@progbits
	.p2align	6, 0x0
	.amdhsa_kernel _ZN7rocprim17ROCPRIM_400000_NS6detail17trampoline_kernelINS0_14default_configENS1_38merge_sort_block_merge_config_selectorIjN6thrust23THRUST_200600_302600_NS5tupleIffNS6_9null_typeES8_S8_S8_S8_S8_S8_S8_EEEEZZNS1_27merge_sort_block_merge_implIS3_NS6_6detail15normal_iteratorINS6_10device_ptrIjEEEENSD_INSE_IS9_EEEEjNS1_19radix_merge_compareILb0ELb0EjNS0_19identity_decomposerEEEEE10hipError_tT0_T1_T2_jT3_P12ihipStream_tbPNSt15iterator_traitsISN_E10value_typeEPNST_ISO_E10value_typeEPSP_NS1_7vsmem_tEENKUlT_SN_SO_SP_E_clIPjSG_PS9_SI_EESM_S12_SN_SO_SP_EUlS12_E0_NS1_11comp_targetILNS1_3genE2ELNS1_11target_archE906ELNS1_3gpuE6ELNS1_3repE0EEENS1_38merge_mergepath_config_static_selectorELNS0_4arch9wavefront6targetE0EEEvSO_
		.amdhsa_group_segment_fixed_size 0
		.amdhsa_private_segment_fixed_size 0
		.amdhsa_kernarg_size 64
		.amdhsa_user_sgpr_count 2
		.amdhsa_user_sgpr_dispatch_ptr 0
		.amdhsa_user_sgpr_queue_ptr 0
		.amdhsa_user_sgpr_kernarg_segment_ptr 1
		.amdhsa_user_sgpr_dispatch_id 0
		.amdhsa_user_sgpr_kernarg_preload_length 0
		.amdhsa_user_sgpr_kernarg_preload_offset 0
		.amdhsa_user_sgpr_private_segment_size 0
		.amdhsa_wavefront_size32 1
		.amdhsa_uses_dynamic_stack 0
		.amdhsa_enable_private_segment 0
		.amdhsa_system_sgpr_workgroup_id_x 1
		.amdhsa_system_sgpr_workgroup_id_y 0
		.amdhsa_system_sgpr_workgroup_id_z 0
		.amdhsa_system_sgpr_workgroup_info 0
		.amdhsa_system_vgpr_workitem_id 0
		.amdhsa_next_free_vgpr 1
		.amdhsa_next_free_sgpr 1
		.amdhsa_named_barrier_count 0
		.amdhsa_reserve_vcc 0
		.amdhsa_float_round_mode_32 0
		.amdhsa_float_round_mode_16_64 0
		.amdhsa_float_denorm_mode_32 3
		.amdhsa_float_denorm_mode_16_64 3
		.amdhsa_fp16_overflow 0
		.amdhsa_memory_ordered 1
		.amdhsa_forward_progress 1
		.amdhsa_inst_pref_size 0
		.amdhsa_round_robin_scheduling 0
		.amdhsa_exception_fp_ieee_invalid_op 0
		.amdhsa_exception_fp_denorm_src 0
		.amdhsa_exception_fp_ieee_div_zero 0
		.amdhsa_exception_fp_ieee_overflow 0
		.amdhsa_exception_fp_ieee_underflow 0
		.amdhsa_exception_fp_ieee_inexact 0
		.amdhsa_exception_int_div_zero 0
	.end_amdhsa_kernel
	.section	.text._ZN7rocprim17ROCPRIM_400000_NS6detail17trampoline_kernelINS0_14default_configENS1_38merge_sort_block_merge_config_selectorIjN6thrust23THRUST_200600_302600_NS5tupleIffNS6_9null_typeES8_S8_S8_S8_S8_S8_S8_EEEEZZNS1_27merge_sort_block_merge_implIS3_NS6_6detail15normal_iteratorINS6_10device_ptrIjEEEENSD_INSE_IS9_EEEEjNS1_19radix_merge_compareILb0ELb0EjNS0_19identity_decomposerEEEEE10hipError_tT0_T1_T2_jT3_P12ihipStream_tbPNSt15iterator_traitsISN_E10value_typeEPNST_ISO_E10value_typeEPSP_NS1_7vsmem_tEENKUlT_SN_SO_SP_E_clIPjSG_PS9_SI_EESM_S12_SN_SO_SP_EUlS12_E0_NS1_11comp_targetILNS1_3genE2ELNS1_11target_archE906ELNS1_3gpuE6ELNS1_3repE0EEENS1_38merge_mergepath_config_static_selectorELNS0_4arch9wavefront6targetE0EEEvSO_,"axG",@progbits,_ZN7rocprim17ROCPRIM_400000_NS6detail17trampoline_kernelINS0_14default_configENS1_38merge_sort_block_merge_config_selectorIjN6thrust23THRUST_200600_302600_NS5tupleIffNS6_9null_typeES8_S8_S8_S8_S8_S8_S8_EEEEZZNS1_27merge_sort_block_merge_implIS3_NS6_6detail15normal_iteratorINS6_10device_ptrIjEEEENSD_INSE_IS9_EEEEjNS1_19radix_merge_compareILb0ELb0EjNS0_19identity_decomposerEEEEE10hipError_tT0_T1_T2_jT3_P12ihipStream_tbPNSt15iterator_traitsISN_E10value_typeEPNST_ISO_E10value_typeEPSP_NS1_7vsmem_tEENKUlT_SN_SO_SP_E_clIPjSG_PS9_SI_EESM_S12_SN_SO_SP_EUlS12_E0_NS1_11comp_targetILNS1_3genE2ELNS1_11target_archE906ELNS1_3gpuE6ELNS1_3repE0EEENS1_38merge_mergepath_config_static_selectorELNS0_4arch9wavefront6targetE0EEEvSO_,comdat
.Lfunc_end38:
	.size	_ZN7rocprim17ROCPRIM_400000_NS6detail17trampoline_kernelINS0_14default_configENS1_38merge_sort_block_merge_config_selectorIjN6thrust23THRUST_200600_302600_NS5tupleIffNS6_9null_typeES8_S8_S8_S8_S8_S8_S8_EEEEZZNS1_27merge_sort_block_merge_implIS3_NS6_6detail15normal_iteratorINS6_10device_ptrIjEEEENSD_INSE_IS9_EEEEjNS1_19radix_merge_compareILb0ELb0EjNS0_19identity_decomposerEEEEE10hipError_tT0_T1_T2_jT3_P12ihipStream_tbPNSt15iterator_traitsISN_E10value_typeEPNST_ISO_E10value_typeEPSP_NS1_7vsmem_tEENKUlT_SN_SO_SP_E_clIPjSG_PS9_SI_EESM_S12_SN_SO_SP_EUlS12_E0_NS1_11comp_targetILNS1_3genE2ELNS1_11target_archE906ELNS1_3gpuE6ELNS1_3repE0EEENS1_38merge_mergepath_config_static_selectorELNS0_4arch9wavefront6targetE0EEEvSO_, .Lfunc_end38-_ZN7rocprim17ROCPRIM_400000_NS6detail17trampoline_kernelINS0_14default_configENS1_38merge_sort_block_merge_config_selectorIjN6thrust23THRUST_200600_302600_NS5tupleIffNS6_9null_typeES8_S8_S8_S8_S8_S8_S8_EEEEZZNS1_27merge_sort_block_merge_implIS3_NS6_6detail15normal_iteratorINS6_10device_ptrIjEEEENSD_INSE_IS9_EEEEjNS1_19radix_merge_compareILb0ELb0EjNS0_19identity_decomposerEEEEE10hipError_tT0_T1_T2_jT3_P12ihipStream_tbPNSt15iterator_traitsISN_E10value_typeEPNST_ISO_E10value_typeEPSP_NS1_7vsmem_tEENKUlT_SN_SO_SP_E_clIPjSG_PS9_SI_EESM_S12_SN_SO_SP_EUlS12_E0_NS1_11comp_targetILNS1_3genE2ELNS1_11target_archE906ELNS1_3gpuE6ELNS1_3repE0EEENS1_38merge_mergepath_config_static_selectorELNS0_4arch9wavefront6targetE0EEEvSO_
                                        ; -- End function
	.set _ZN7rocprim17ROCPRIM_400000_NS6detail17trampoline_kernelINS0_14default_configENS1_38merge_sort_block_merge_config_selectorIjN6thrust23THRUST_200600_302600_NS5tupleIffNS6_9null_typeES8_S8_S8_S8_S8_S8_S8_EEEEZZNS1_27merge_sort_block_merge_implIS3_NS6_6detail15normal_iteratorINS6_10device_ptrIjEEEENSD_INSE_IS9_EEEEjNS1_19radix_merge_compareILb0ELb0EjNS0_19identity_decomposerEEEEE10hipError_tT0_T1_T2_jT3_P12ihipStream_tbPNSt15iterator_traitsISN_E10value_typeEPNST_ISO_E10value_typeEPSP_NS1_7vsmem_tEENKUlT_SN_SO_SP_E_clIPjSG_PS9_SI_EESM_S12_SN_SO_SP_EUlS12_E0_NS1_11comp_targetILNS1_3genE2ELNS1_11target_archE906ELNS1_3gpuE6ELNS1_3repE0EEENS1_38merge_mergepath_config_static_selectorELNS0_4arch9wavefront6targetE0EEEvSO_.num_vgpr, 0
	.set _ZN7rocprim17ROCPRIM_400000_NS6detail17trampoline_kernelINS0_14default_configENS1_38merge_sort_block_merge_config_selectorIjN6thrust23THRUST_200600_302600_NS5tupleIffNS6_9null_typeES8_S8_S8_S8_S8_S8_S8_EEEEZZNS1_27merge_sort_block_merge_implIS3_NS6_6detail15normal_iteratorINS6_10device_ptrIjEEEENSD_INSE_IS9_EEEEjNS1_19radix_merge_compareILb0ELb0EjNS0_19identity_decomposerEEEEE10hipError_tT0_T1_T2_jT3_P12ihipStream_tbPNSt15iterator_traitsISN_E10value_typeEPNST_ISO_E10value_typeEPSP_NS1_7vsmem_tEENKUlT_SN_SO_SP_E_clIPjSG_PS9_SI_EESM_S12_SN_SO_SP_EUlS12_E0_NS1_11comp_targetILNS1_3genE2ELNS1_11target_archE906ELNS1_3gpuE6ELNS1_3repE0EEENS1_38merge_mergepath_config_static_selectorELNS0_4arch9wavefront6targetE0EEEvSO_.num_agpr, 0
	.set _ZN7rocprim17ROCPRIM_400000_NS6detail17trampoline_kernelINS0_14default_configENS1_38merge_sort_block_merge_config_selectorIjN6thrust23THRUST_200600_302600_NS5tupleIffNS6_9null_typeES8_S8_S8_S8_S8_S8_S8_EEEEZZNS1_27merge_sort_block_merge_implIS3_NS6_6detail15normal_iteratorINS6_10device_ptrIjEEEENSD_INSE_IS9_EEEEjNS1_19radix_merge_compareILb0ELb0EjNS0_19identity_decomposerEEEEE10hipError_tT0_T1_T2_jT3_P12ihipStream_tbPNSt15iterator_traitsISN_E10value_typeEPNST_ISO_E10value_typeEPSP_NS1_7vsmem_tEENKUlT_SN_SO_SP_E_clIPjSG_PS9_SI_EESM_S12_SN_SO_SP_EUlS12_E0_NS1_11comp_targetILNS1_3genE2ELNS1_11target_archE906ELNS1_3gpuE6ELNS1_3repE0EEENS1_38merge_mergepath_config_static_selectorELNS0_4arch9wavefront6targetE0EEEvSO_.numbered_sgpr, 0
	.set _ZN7rocprim17ROCPRIM_400000_NS6detail17trampoline_kernelINS0_14default_configENS1_38merge_sort_block_merge_config_selectorIjN6thrust23THRUST_200600_302600_NS5tupleIffNS6_9null_typeES8_S8_S8_S8_S8_S8_S8_EEEEZZNS1_27merge_sort_block_merge_implIS3_NS6_6detail15normal_iteratorINS6_10device_ptrIjEEEENSD_INSE_IS9_EEEEjNS1_19radix_merge_compareILb0ELb0EjNS0_19identity_decomposerEEEEE10hipError_tT0_T1_T2_jT3_P12ihipStream_tbPNSt15iterator_traitsISN_E10value_typeEPNST_ISO_E10value_typeEPSP_NS1_7vsmem_tEENKUlT_SN_SO_SP_E_clIPjSG_PS9_SI_EESM_S12_SN_SO_SP_EUlS12_E0_NS1_11comp_targetILNS1_3genE2ELNS1_11target_archE906ELNS1_3gpuE6ELNS1_3repE0EEENS1_38merge_mergepath_config_static_selectorELNS0_4arch9wavefront6targetE0EEEvSO_.num_named_barrier, 0
	.set _ZN7rocprim17ROCPRIM_400000_NS6detail17trampoline_kernelINS0_14default_configENS1_38merge_sort_block_merge_config_selectorIjN6thrust23THRUST_200600_302600_NS5tupleIffNS6_9null_typeES8_S8_S8_S8_S8_S8_S8_EEEEZZNS1_27merge_sort_block_merge_implIS3_NS6_6detail15normal_iteratorINS6_10device_ptrIjEEEENSD_INSE_IS9_EEEEjNS1_19radix_merge_compareILb0ELb0EjNS0_19identity_decomposerEEEEE10hipError_tT0_T1_T2_jT3_P12ihipStream_tbPNSt15iterator_traitsISN_E10value_typeEPNST_ISO_E10value_typeEPSP_NS1_7vsmem_tEENKUlT_SN_SO_SP_E_clIPjSG_PS9_SI_EESM_S12_SN_SO_SP_EUlS12_E0_NS1_11comp_targetILNS1_3genE2ELNS1_11target_archE906ELNS1_3gpuE6ELNS1_3repE0EEENS1_38merge_mergepath_config_static_selectorELNS0_4arch9wavefront6targetE0EEEvSO_.private_seg_size, 0
	.set _ZN7rocprim17ROCPRIM_400000_NS6detail17trampoline_kernelINS0_14default_configENS1_38merge_sort_block_merge_config_selectorIjN6thrust23THRUST_200600_302600_NS5tupleIffNS6_9null_typeES8_S8_S8_S8_S8_S8_S8_EEEEZZNS1_27merge_sort_block_merge_implIS3_NS6_6detail15normal_iteratorINS6_10device_ptrIjEEEENSD_INSE_IS9_EEEEjNS1_19radix_merge_compareILb0ELb0EjNS0_19identity_decomposerEEEEE10hipError_tT0_T1_T2_jT3_P12ihipStream_tbPNSt15iterator_traitsISN_E10value_typeEPNST_ISO_E10value_typeEPSP_NS1_7vsmem_tEENKUlT_SN_SO_SP_E_clIPjSG_PS9_SI_EESM_S12_SN_SO_SP_EUlS12_E0_NS1_11comp_targetILNS1_3genE2ELNS1_11target_archE906ELNS1_3gpuE6ELNS1_3repE0EEENS1_38merge_mergepath_config_static_selectorELNS0_4arch9wavefront6targetE0EEEvSO_.uses_vcc, 0
	.set _ZN7rocprim17ROCPRIM_400000_NS6detail17trampoline_kernelINS0_14default_configENS1_38merge_sort_block_merge_config_selectorIjN6thrust23THRUST_200600_302600_NS5tupleIffNS6_9null_typeES8_S8_S8_S8_S8_S8_S8_EEEEZZNS1_27merge_sort_block_merge_implIS3_NS6_6detail15normal_iteratorINS6_10device_ptrIjEEEENSD_INSE_IS9_EEEEjNS1_19radix_merge_compareILb0ELb0EjNS0_19identity_decomposerEEEEE10hipError_tT0_T1_T2_jT3_P12ihipStream_tbPNSt15iterator_traitsISN_E10value_typeEPNST_ISO_E10value_typeEPSP_NS1_7vsmem_tEENKUlT_SN_SO_SP_E_clIPjSG_PS9_SI_EESM_S12_SN_SO_SP_EUlS12_E0_NS1_11comp_targetILNS1_3genE2ELNS1_11target_archE906ELNS1_3gpuE6ELNS1_3repE0EEENS1_38merge_mergepath_config_static_selectorELNS0_4arch9wavefront6targetE0EEEvSO_.uses_flat_scratch, 0
	.set _ZN7rocprim17ROCPRIM_400000_NS6detail17trampoline_kernelINS0_14default_configENS1_38merge_sort_block_merge_config_selectorIjN6thrust23THRUST_200600_302600_NS5tupleIffNS6_9null_typeES8_S8_S8_S8_S8_S8_S8_EEEEZZNS1_27merge_sort_block_merge_implIS3_NS6_6detail15normal_iteratorINS6_10device_ptrIjEEEENSD_INSE_IS9_EEEEjNS1_19radix_merge_compareILb0ELb0EjNS0_19identity_decomposerEEEEE10hipError_tT0_T1_T2_jT3_P12ihipStream_tbPNSt15iterator_traitsISN_E10value_typeEPNST_ISO_E10value_typeEPSP_NS1_7vsmem_tEENKUlT_SN_SO_SP_E_clIPjSG_PS9_SI_EESM_S12_SN_SO_SP_EUlS12_E0_NS1_11comp_targetILNS1_3genE2ELNS1_11target_archE906ELNS1_3gpuE6ELNS1_3repE0EEENS1_38merge_mergepath_config_static_selectorELNS0_4arch9wavefront6targetE0EEEvSO_.has_dyn_sized_stack, 0
	.set _ZN7rocprim17ROCPRIM_400000_NS6detail17trampoline_kernelINS0_14default_configENS1_38merge_sort_block_merge_config_selectorIjN6thrust23THRUST_200600_302600_NS5tupleIffNS6_9null_typeES8_S8_S8_S8_S8_S8_S8_EEEEZZNS1_27merge_sort_block_merge_implIS3_NS6_6detail15normal_iteratorINS6_10device_ptrIjEEEENSD_INSE_IS9_EEEEjNS1_19radix_merge_compareILb0ELb0EjNS0_19identity_decomposerEEEEE10hipError_tT0_T1_T2_jT3_P12ihipStream_tbPNSt15iterator_traitsISN_E10value_typeEPNST_ISO_E10value_typeEPSP_NS1_7vsmem_tEENKUlT_SN_SO_SP_E_clIPjSG_PS9_SI_EESM_S12_SN_SO_SP_EUlS12_E0_NS1_11comp_targetILNS1_3genE2ELNS1_11target_archE906ELNS1_3gpuE6ELNS1_3repE0EEENS1_38merge_mergepath_config_static_selectorELNS0_4arch9wavefront6targetE0EEEvSO_.has_recursion, 0
	.set _ZN7rocprim17ROCPRIM_400000_NS6detail17trampoline_kernelINS0_14default_configENS1_38merge_sort_block_merge_config_selectorIjN6thrust23THRUST_200600_302600_NS5tupleIffNS6_9null_typeES8_S8_S8_S8_S8_S8_S8_EEEEZZNS1_27merge_sort_block_merge_implIS3_NS6_6detail15normal_iteratorINS6_10device_ptrIjEEEENSD_INSE_IS9_EEEEjNS1_19radix_merge_compareILb0ELb0EjNS0_19identity_decomposerEEEEE10hipError_tT0_T1_T2_jT3_P12ihipStream_tbPNSt15iterator_traitsISN_E10value_typeEPNST_ISO_E10value_typeEPSP_NS1_7vsmem_tEENKUlT_SN_SO_SP_E_clIPjSG_PS9_SI_EESM_S12_SN_SO_SP_EUlS12_E0_NS1_11comp_targetILNS1_3genE2ELNS1_11target_archE906ELNS1_3gpuE6ELNS1_3repE0EEENS1_38merge_mergepath_config_static_selectorELNS0_4arch9wavefront6targetE0EEEvSO_.has_indirect_call, 0
	.section	.AMDGPU.csdata,"",@progbits
; Kernel info:
; codeLenInByte = 0
; TotalNumSgprs: 0
; NumVgprs: 0
; ScratchSize: 0
; MemoryBound: 0
; FloatMode: 240
; IeeeMode: 1
; LDSByteSize: 0 bytes/workgroup (compile time only)
; SGPRBlocks: 0
; VGPRBlocks: 0
; NumSGPRsForWavesPerEU: 1
; NumVGPRsForWavesPerEU: 1
; NamedBarCnt: 0
; Occupancy: 16
; WaveLimiterHint : 0
; COMPUTE_PGM_RSRC2:SCRATCH_EN: 0
; COMPUTE_PGM_RSRC2:USER_SGPR: 2
; COMPUTE_PGM_RSRC2:TRAP_HANDLER: 0
; COMPUTE_PGM_RSRC2:TGID_X_EN: 1
; COMPUTE_PGM_RSRC2:TGID_Y_EN: 0
; COMPUTE_PGM_RSRC2:TGID_Z_EN: 0
; COMPUTE_PGM_RSRC2:TIDIG_COMP_CNT: 0
	.section	.text._ZN7rocprim17ROCPRIM_400000_NS6detail17trampoline_kernelINS0_14default_configENS1_38merge_sort_block_merge_config_selectorIjN6thrust23THRUST_200600_302600_NS5tupleIffNS6_9null_typeES8_S8_S8_S8_S8_S8_S8_EEEEZZNS1_27merge_sort_block_merge_implIS3_NS6_6detail15normal_iteratorINS6_10device_ptrIjEEEENSD_INSE_IS9_EEEEjNS1_19radix_merge_compareILb0ELb0EjNS0_19identity_decomposerEEEEE10hipError_tT0_T1_T2_jT3_P12ihipStream_tbPNSt15iterator_traitsISN_E10value_typeEPNST_ISO_E10value_typeEPSP_NS1_7vsmem_tEENKUlT_SN_SO_SP_E_clIPjSG_PS9_SI_EESM_S12_SN_SO_SP_EUlS12_E0_NS1_11comp_targetILNS1_3genE9ELNS1_11target_archE1100ELNS1_3gpuE3ELNS1_3repE0EEENS1_38merge_mergepath_config_static_selectorELNS0_4arch9wavefront6targetE0EEEvSO_,"axG",@progbits,_ZN7rocprim17ROCPRIM_400000_NS6detail17trampoline_kernelINS0_14default_configENS1_38merge_sort_block_merge_config_selectorIjN6thrust23THRUST_200600_302600_NS5tupleIffNS6_9null_typeES8_S8_S8_S8_S8_S8_S8_EEEEZZNS1_27merge_sort_block_merge_implIS3_NS6_6detail15normal_iteratorINS6_10device_ptrIjEEEENSD_INSE_IS9_EEEEjNS1_19radix_merge_compareILb0ELb0EjNS0_19identity_decomposerEEEEE10hipError_tT0_T1_T2_jT3_P12ihipStream_tbPNSt15iterator_traitsISN_E10value_typeEPNST_ISO_E10value_typeEPSP_NS1_7vsmem_tEENKUlT_SN_SO_SP_E_clIPjSG_PS9_SI_EESM_S12_SN_SO_SP_EUlS12_E0_NS1_11comp_targetILNS1_3genE9ELNS1_11target_archE1100ELNS1_3gpuE3ELNS1_3repE0EEENS1_38merge_mergepath_config_static_selectorELNS0_4arch9wavefront6targetE0EEEvSO_,comdat
	.protected	_ZN7rocprim17ROCPRIM_400000_NS6detail17trampoline_kernelINS0_14default_configENS1_38merge_sort_block_merge_config_selectorIjN6thrust23THRUST_200600_302600_NS5tupleIffNS6_9null_typeES8_S8_S8_S8_S8_S8_S8_EEEEZZNS1_27merge_sort_block_merge_implIS3_NS6_6detail15normal_iteratorINS6_10device_ptrIjEEEENSD_INSE_IS9_EEEEjNS1_19radix_merge_compareILb0ELb0EjNS0_19identity_decomposerEEEEE10hipError_tT0_T1_T2_jT3_P12ihipStream_tbPNSt15iterator_traitsISN_E10value_typeEPNST_ISO_E10value_typeEPSP_NS1_7vsmem_tEENKUlT_SN_SO_SP_E_clIPjSG_PS9_SI_EESM_S12_SN_SO_SP_EUlS12_E0_NS1_11comp_targetILNS1_3genE9ELNS1_11target_archE1100ELNS1_3gpuE3ELNS1_3repE0EEENS1_38merge_mergepath_config_static_selectorELNS0_4arch9wavefront6targetE0EEEvSO_ ; -- Begin function _ZN7rocprim17ROCPRIM_400000_NS6detail17trampoline_kernelINS0_14default_configENS1_38merge_sort_block_merge_config_selectorIjN6thrust23THRUST_200600_302600_NS5tupleIffNS6_9null_typeES8_S8_S8_S8_S8_S8_S8_EEEEZZNS1_27merge_sort_block_merge_implIS3_NS6_6detail15normal_iteratorINS6_10device_ptrIjEEEENSD_INSE_IS9_EEEEjNS1_19radix_merge_compareILb0ELb0EjNS0_19identity_decomposerEEEEE10hipError_tT0_T1_T2_jT3_P12ihipStream_tbPNSt15iterator_traitsISN_E10value_typeEPNST_ISO_E10value_typeEPSP_NS1_7vsmem_tEENKUlT_SN_SO_SP_E_clIPjSG_PS9_SI_EESM_S12_SN_SO_SP_EUlS12_E0_NS1_11comp_targetILNS1_3genE9ELNS1_11target_archE1100ELNS1_3gpuE3ELNS1_3repE0EEENS1_38merge_mergepath_config_static_selectorELNS0_4arch9wavefront6targetE0EEEvSO_
	.globl	_ZN7rocprim17ROCPRIM_400000_NS6detail17trampoline_kernelINS0_14default_configENS1_38merge_sort_block_merge_config_selectorIjN6thrust23THRUST_200600_302600_NS5tupleIffNS6_9null_typeES8_S8_S8_S8_S8_S8_S8_EEEEZZNS1_27merge_sort_block_merge_implIS3_NS6_6detail15normal_iteratorINS6_10device_ptrIjEEEENSD_INSE_IS9_EEEEjNS1_19radix_merge_compareILb0ELb0EjNS0_19identity_decomposerEEEEE10hipError_tT0_T1_T2_jT3_P12ihipStream_tbPNSt15iterator_traitsISN_E10value_typeEPNST_ISO_E10value_typeEPSP_NS1_7vsmem_tEENKUlT_SN_SO_SP_E_clIPjSG_PS9_SI_EESM_S12_SN_SO_SP_EUlS12_E0_NS1_11comp_targetILNS1_3genE9ELNS1_11target_archE1100ELNS1_3gpuE3ELNS1_3repE0EEENS1_38merge_mergepath_config_static_selectorELNS0_4arch9wavefront6targetE0EEEvSO_
	.p2align	8
	.type	_ZN7rocprim17ROCPRIM_400000_NS6detail17trampoline_kernelINS0_14default_configENS1_38merge_sort_block_merge_config_selectorIjN6thrust23THRUST_200600_302600_NS5tupleIffNS6_9null_typeES8_S8_S8_S8_S8_S8_S8_EEEEZZNS1_27merge_sort_block_merge_implIS3_NS6_6detail15normal_iteratorINS6_10device_ptrIjEEEENSD_INSE_IS9_EEEEjNS1_19radix_merge_compareILb0ELb0EjNS0_19identity_decomposerEEEEE10hipError_tT0_T1_T2_jT3_P12ihipStream_tbPNSt15iterator_traitsISN_E10value_typeEPNST_ISO_E10value_typeEPSP_NS1_7vsmem_tEENKUlT_SN_SO_SP_E_clIPjSG_PS9_SI_EESM_S12_SN_SO_SP_EUlS12_E0_NS1_11comp_targetILNS1_3genE9ELNS1_11target_archE1100ELNS1_3gpuE3ELNS1_3repE0EEENS1_38merge_mergepath_config_static_selectorELNS0_4arch9wavefront6targetE0EEEvSO_,@function
_ZN7rocprim17ROCPRIM_400000_NS6detail17trampoline_kernelINS0_14default_configENS1_38merge_sort_block_merge_config_selectorIjN6thrust23THRUST_200600_302600_NS5tupleIffNS6_9null_typeES8_S8_S8_S8_S8_S8_S8_EEEEZZNS1_27merge_sort_block_merge_implIS3_NS6_6detail15normal_iteratorINS6_10device_ptrIjEEEENSD_INSE_IS9_EEEEjNS1_19radix_merge_compareILb0ELb0EjNS0_19identity_decomposerEEEEE10hipError_tT0_T1_T2_jT3_P12ihipStream_tbPNSt15iterator_traitsISN_E10value_typeEPNST_ISO_E10value_typeEPSP_NS1_7vsmem_tEENKUlT_SN_SO_SP_E_clIPjSG_PS9_SI_EESM_S12_SN_SO_SP_EUlS12_E0_NS1_11comp_targetILNS1_3genE9ELNS1_11target_archE1100ELNS1_3gpuE3ELNS1_3repE0EEENS1_38merge_mergepath_config_static_selectorELNS0_4arch9wavefront6targetE0EEEvSO_: ; @_ZN7rocprim17ROCPRIM_400000_NS6detail17trampoline_kernelINS0_14default_configENS1_38merge_sort_block_merge_config_selectorIjN6thrust23THRUST_200600_302600_NS5tupleIffNS6_9null_typeES8_S8_S8_S8_S8_S8_S8_EEEEZZNS1_27merge_sort_block_merge_implIS3_NS6_6detail15normal_iteratorINS6_10device_ptrIjEEEENSD_INSE_IS9_EEEEjNS1_19radix_merge_compareILb0ELb0EjNS0_19identity_decomposerEEEEE10hipError_tT0_T1_T2_jT3_P12ihipStream_tbPNSt15iterator_traitsISN_E10value_typeEPNST_ISO_E10value_typeEPSP_NS1_7vsmem_tEENKUlT_SN_SO_SP_E_clIPjSG_PS9_SI_EESM_S12_SN_SO_SP_EUlS12_E0_NS1_11comp_targetILNS1_3genE9ELNS1_11target_archE1100ELNS1_3gpuE3ELNS1_3repE0EEENS1_38merge_mergepath_config_static_selectorELNS0_4arch9wavefront6targetE0EEEvSO_
; %bb.0:
	.section	.rodata,"a",@progbits
	.p2align	6, 0x0
	.amdhsa_kernel _ZN7rocprim17ROCPRIM_400000_NS6detail17trampoline_kernelINS0_14default_configENS1_38merge_sort_block_merge_config_selectorIjN6thrust23THRUST_200600_302600_NS5tupleIffNS6_9null_typeES8_S8_S8_S8_S8_S8_S8_EEEEZZNS1_27merge_sort_block_merge_implIS3_NS6_6detail15normal_iteratorINS6_10device_ptrIjEEEENSD_INSE_IS9_EEEEjNS1_19radix_merge_compareILb0ELb0EjNS0_19identity_decomposerEEEEE10hipError_tT0_T1_T2_jT3_P12ihipStream_tbPNSt15iterator_traitsISN_E10value_typeEPNST_ISO_E10value_typeEPSP_NS1_7vsmem_tEENKUlT_SN_SO_SP_E_clIPjSG_PS9_SI_EESM_S12_SN_SO_SP_EUlS12_E0_NS1_11comp_targetILNS1_3genE9ELNS1_11target_archE1100ELNS1_3gpuE3ELNS1_3repE0EEENS1_38merge_mergepath_config_static_selectorELNS0_4arch9wavefront6targetE0EEEvSO_
		.amdhsa_group_segment_fixed_size 0
		.amdhsa_private_segment_fixed_size 0
		.amdhsa_kernarg_size 64
		.amdhsa_user_sgpr_count 2
		.amdhsa_user_sgpr_dispatch_ptr 0
		.amdhsa_user_sgpr_queue_ptr 0
		.amdhsa_user_sgpr_kernarg_segment_ptr 1
		.amdhsa_user_sgpr_dispatch_id 0
		.amdhsa_user_sgpr_kernarg_preload_length 0
		.amdhsa_user_sgpr_kernarg_preload_offset 0
		.amdhsa_user_sgpr_private_segment_size 0
		.amdhsa_wavefront_size32 1
		.amdhsa_uses_dynamic_stack 0
		.amdhsa_enable_private_segment 0
		.amdhsa_system_sgpr_workgroup_id_x 1
		.amdhsa_system_sgpr_workgroup_id_y 0
		.amdhsa_system_sgpr_workgroup_id_z 0
		.amdhsa_system_sgpr_workgroup_info 0
		.amdhsa_system_vgpr_workitem_id 0
		.amdhsa_next_free_vgpr 1
		.amdhsa_next_free_sgpr 1
		.amdhsa_named_barrier_count 0
		.amdhsa_reserve_vcc 0
		.amdhsa_float_round_mode_32 0
		.amdhsa_float_round_mode_16_64 0
		.amdhsa_float_denorm_mode_32 3
		.amdhsa_float_denorm_mode_16_64 3
		.amdhsa_fp16_overflow 0
		.amdhsa_memory_ordered 1
		.amdhsa_forward_progress 1
		.amdhsa_inst_pref_size 0
		.amdhsa_round_robin_scheduling 0
		.amdhsa_exception_fp_ieee_invalid_op 0
		.amdhsa_exception_fp_denorm_src 0
		.amdhsa_exception_fp_ieee_div_zero 0
		.amdhsa_exception_fp_ieee_overflow 0
		.amdhsa_exception_fp_ieee_underflow 0
		.amdhsa_exception_fp_ieee_inexact 0
		.amdhsa_exception_int_div_zero 0
	.end_amdhsa_kernel
	.section	.text._ZN7rocprim17ROCPRIM_400000_NS6detail17trampoline_kernelINS0_14default_configENS1_38merge_sort_block_merge_config_selectorIjN6thrust23THRUST_200600_302600_NS5tupleIffNS6_9null_typeES8_S8_S8_S8_S8_S8_S8_EEEEZZNS1_27merge_sort_block_merge_implIS3_NS6_6detail15normal_iteratorINS6_10device_ptrIjEEEENSD_INSE_IS9_EEEEjNS1_19radix_merge_compareILb0ELb0EjNS0_19identity_decomposerEEEEE10hipError_tT0_T1_T2_jT3_P12ihipStream_tbPNSt15iterator_traitsISN_E10value_typeEPNST_ISO_E10value_typeEPSP_NS1_7vsmem_tEENKUlT_SN_SO_SP_E_clIPjSG_PS9_SI_EESM_S12_SN_SO_SP_EUlS12_E0_NS1_11comp_targetILNS1_3genE9ELNS1_11target_archE1100ELNS1_3gpuE3ELNS1_3repE0EEENS1_38merge_mergepath_config_static_selectorELNS0_4arch9wavefront6targetE0EEEvSO_,"axG",@progbits,_ZN7rocprim17ROCPRIM_400000_NS6detail17trampoline_kernelINS0_14default_configENS1_38merge_sort_block_merge_config_selectorIjN6thrust23THRUST_200600_302600_NS5tupleIffNS6_9null_typeES8_S8_S8_S8_S8_S8_S8_EEEEZZNS1_27merge_sort_block_merge_implIS3_NS6_6detail15normal_iteratorINS6_10device_ptrIjEEEENSD_INSE_IS9_EEEEjNS1_19radix_merge_compareILb0ELb0EjNS0_19identity_decomposerEEEEE10hipError_tT0_T1_T2_jT3_P12ihipStream_tbPNSt15iterator_traitsISN_E10value_typeEPNST_ISO_E10value_typeEPSP_NS1_7vsmem_tEENKUlT_SN_SO_SP_E_clIPjSG_PS9_SI_EESM_S12_SN_SO_SP_EUlS12_E0_NS1_11comp_targetILNS1_3genE9ELNS1_11target_archE1100ELNS1_3gpuE3ELNS1_3repE0EEENS1_38merge_mergepath_config_static_selectorELNS0_4arch9wavefront6targetE0EEEvSO_,comdat
.Lfunc_end39:
	.size	_ZN7rocprim17ROCPRIM_400000_NS6detail17trampoline_kernelINS0_14default_configENS1_38merge_sort_block_merge_config_selectorIjN6thrust23THRUST_200600_302600_NS5tupleIffNS6_9null_typeES8_S8_S8_S8_S8_S8_S8_EEEEZZNS1_27merge_sort_block_merge_implIS3_NS6_6detail15normal_iteratorINS6_10device_ptrIjEEEENSD_INSE_IS9_EEEEjNS1_19radix_merge_compareILb0ELb0EjNS0_19identity_decomposerEEEEE10hipError_tT0_T1_T2_jT3_P12ihipStream_tbPNSt15iterator_traitsISN_E10value_typeEPNST_ISO_E10value_typeEPSP_NS1_7vsmem_tEENKUlT_SN_SO_SP_E_clIPjSG_PS9_SI_EESM_S12_SN_SO_SP_EUlS12_E0_NS1_11comp_targetILNS1_3genE9ELNS1_11target_archE1100ELNS1_3gpuE3ELNS1_3repE0EEENS1_38merge_mergepath_config_static_selectorELNS0_4arch9wavefront6targetE0EEEvSO_, .Lfunc_end39-_ZN7rocprim17ROCPRIM_400000_NS6detail17trampoline_kernelINS0_14default_configENS1_38merge_sort_block_merge_config_selectorIjN6thrust23THRUST_200600_302600_NS5tupleIffNS6_9null_typeES8_S8_S8_S8_S8_S8_S8_EEEEZZNS1_27merge_sort_block_merge_implIS3_NS6_6detail15normal_iteratorINS6_10device_ptrIjEEEENSD_INSE_IS9_EEEEjNS1_19radix_merge_compareILb0ELb0EjNS0_19identity_decomposerEEEEE10hipError_tT0_T1_T2_jT3_P12ihipStream_tbPNSt15iterator_traitsISN_E10value_typeEPNST_ISO_E10value_typeEPSP_NS1_7vsmem_tEENKUlT_SN_SO_SP_E_clIPjSG_PS9_SI_EESM_S12_SN_SO_SP_EUlS12_E0_NS1_11comp_targetILNS1_3genE9ELNS1_11target_archE1100ELNS1_3gpuE3ELNS1_3repE0EEENS1_38merge_mergepath_config_static_selectorELNS0_4arch9wavefront6targetE0EEEvSO_
                                        ; -- End function
	.set _ZN7rocprim17ROCPRIM_400000_NS6detail17trampoline_kernelINS0_14default_configENS1_38merge_sort_block_merge_config_selectorIjN6thrust23THRUST_200600_302600_NS5tupleIffNS6_9null_typeES8_S8_S8_S8_S8_S8_S8_EEEEZZNS1_27merge_sort_block_merge_implIS3_NS6_6detail15normal_iteratorINS6_10device_ptrIjEEEENSD_INSE_IS9_EEEEjNS1_19radix_merge_compareILb0ELb0EjNS0_19identity_decomposerEEEEE10hipError_tT0_T1_T2_jT3_P12ihipStream_tbPNSt15iterator_traitsISN_E10value_typeEPNST_ISO_E10value_typeEPSP_NS1_7vsmem_tEENKUlT_SN_SO_SP_E_clIPjSG_PS9_SI_EESM_S12_SN_SO_SP_EUlS12_E0_NS1_11comp_targetILNS1_3genE9ELNS1_11target_archE1100ELNS1_3gpuE3ELNS1_3repE0EEENS1_38merge_mergepath_config_static_selectorELNS0_4arch9wavefront6targetE0EEEvSO_.num_vgpr, 0
	.set _ZN7rocprim17ROCPRIM_400000_NS6detail17trampoline_kernelINS0_14default_configENS1_38merge_sort_block_merge_config_selectorIjN6thrust23THRUST_200600_302600_NS5tupleIffNS6_9null_typeES8_S8_S8_S8_S8_S8_S8_EEEEZZNS1_27merge_sort_block_merge_implIS3_NS6_6detail15normal_iteratorINS6_10device_ptrIjEEEENSD_INSE_IS9_EEEEjNS1_19radix_merge_compareILb0ELb0EjNS0_19identity_decomposerEEEEE10hipError_tT0_T1_T2_jT3_P12ihipStream_tbPNSt15iterator_traitsISN_E10value_typeEPNST_ISO_E10value_typeEPSP_NS1_7vsmem_tEENKUlT_SN_SO_SP_E_clIPjSG_PS9_SI_EESM_S12_SN_SO_SP_EUlS12_E0_NS1_11comp_targetILNS1_3genE9ELNS1_11target_archE1100ELNS1_3gpuE3ELNS1_3repE0EEENS1_38merge_mergepath_config_static_selectorELNS0_4arch9wavefront6targetE0EEEvSO_.num_agpr, 0
	.set _ZN7rocprim17ROCPRIM_400000_NS6detail17trampoline_kernelINS0_14default_configENS1_38merge_sort_block_merge_config_selectorIjN6thrust23THRUST_200600_302600_NS5tupleIffNS6_9null_typeES8_S8_S8_S8_S8_S8_S8_EEEEZZNS1_27merge_sort_block_merge_implIS3_NS6_6detail15normal_iteratorINS6_10device_ptrIjEEEENSD_INSE_IS9_EEEEjNS1_19radix_merge_compareILb0ELb0EjNS0_19identity_decomposerEEEEE10hipError_tT0_T1_T2_jT3_P12ihipStream_tbPNSt15iterator_traitsISN_E10value_typeEPNST_ISO_E10value_typeEPSP_NS1_7vsmem_tEENKUlT_SN_SO_SP_E_clIPjSG_PS9_SI_EESM_S12_SN_SO_SP_EUlS12_E0_NS1_11comp_targetILNS1_3genE9ELNS1_11target_archE1100ELNS1_3gpuE3ELNS1_3repE0EEENS1_38merge_mergepath_config_static_selectorELNS0_4arch9wavefront6targetE0EEEvSO_.numbered_sgpr, 0
	.set _ZN7rocprim17ROCPRIM_400000_NS6detail17trampoline_kernelINS0_14default_configENS1_38merge_sort_block_merge_config_selectorIjN6thrust23THRUST_200600_302600_NS5tupleIffNS6_9null_typeES8_S8_S8_S8_S8_S8_S8_EEEEZZNS1_27merge_sort_block_merge_implIS3_NS6_6detail15normal_iteratorINS6_10device_ptrIjEEEENSD_INSE_IS9_EEEEjNS1_19radix_merge_compareILb0ELb0EjNS0_19identity_decomposerEEEEE10hipError_tT0_T1_T2_jT3_P12ihipStream_tbPNSt15iterator_traitsISN_E10value_typeEPNST_ISO_E10value_typeEPSP_NS1_7vsmem_tEENKUlT_SN_SO_SP_E_clIPjSG_PS9_SI_EESM_S12_SN_SO_SP_EUlS12_E0_NS1_11comp_targetILNS1_3genE9ELNS1_11target_archE1100ELNS1_3gpuE3ELNS1_3repE0EEENS1_38merge_mergepath_config_static_selectorELNS0_4arch9wavefront6targetE0EEEvSO_.num_named_barrier, 0
	.set _ZN7rocprim17ROCPRIM_400000_NS6detail17trampoline_kernelINS0_14default_configENS1_38merge_sort_block_merge_config_selectorIjN6thrust23THRUST_200600_302600_NS5tupleIffNS6_9null_typeES8_S8_S8_S8_S8_S8_S8_EEEEZZNS1_27merge_sort_block_merge_implIS3_NS6_6detail15normal_iteratorINS6_10device_ptrIjEEEENSD_INSE_IS9_EEEEjNS1_19radix_merge_compareILb0ELb0EjNS0_19identity_decomposerEEEEE10hipError_tT0_T1_T2_jT3_P12ihipStream_tbPNSt15iterator_traitsISN_E10value_typeEPNST_ISO_E10value_typeEPSP_NS1_7vsmem_tEENKUlT_SN_SO_SP_E_clIPjSG_PS9_SI_EESM_S12_SN_SO_SP_EUlS12_E0_NS1_11comp_targetILNS1_3genE9ELNS1_11target_archE1100ELNS1_3gpuE3ELNS1_3repE0EEENS1_38merge_mergepath_config_static_selectorELNS0_4arch9wavefront6targetE0EEEvSO_.private_seg_size, 0
	.set _ZN7rocprim17ROCPRIM_400000_NS6detail17trampoline_kernelINS0_14default_configENS1_38merge_sort_block_merge_config_selectorIjN6thrust23THRUST_200600_302600_NS5tupleIffNS6_9null_typeES8_S8_S8_S8_S8_S8_S8_EEEEZZNS1_27merge_sort_block_merge_implIS3_NS6_6detail15normal_iteratorINS6_10device_ptrIjEEEENSD_INSE_IS9_EEEEjNS1_19radix_merge_compareILb0ELb0EjNS0_19identity_decomposerEEEEE10hipError_tT0_T1_T2_jT3_P12ihipStream_tbPNSt15iterator_traitsISN_E10value_typeEPNST_ISO_E10value_typeEPSP_NS1_7vsmem_tEENKUlT_SN_SO_SP_E_clIPjSG_PS9_SI_EESM_S12_SN_SO_SP_EUlS12_E0_NS1_11comp_targetILNS1_3genE9ELNS1_11target_archE1100ELNS1_3gpuE3ELNS1_3repE0EEENS1_38merge_mergepath_config_static_selectorELNS0_4arch9wavefront6targetE0EEEvSO_.uses_vcc, 0
	.set _ZN7rocprim17ROCPRIM_400000_NS6detail17trampoline_kernelINS0_14default_configENS1_38merge_sort_block_merge_config_selectorIjN6thrust23THRUST_200600_302600_NS5tupleIffNS6_9null_typeES8_S8_S8_S8_S8_S8_S8_EEEEZZNS1_27merge_sort_block_merge_implIS3_NS6_6detail15normal_iteratorINS6_10device_ptrIjEEEENSD_INSE_IS9_EEEEjNS1_19radix_merge_compareILb0ELb0EjNS0_19identity_decomposerEEEEE10hipError_tT0_T1_T2_jT3_P12ihipStream_tbPNSt15iterator_traitsISN_E10value_typeEPNST_ISO_E10value_typeEPSP_NS1_7vsmem_tEENKUlT_SN_SO_SP_E_clIPjSG_PS9_SI_EESM_S12_SN_SO_SP_EUlS12_E0_NS1_11comp_targetILNS1_3genE9ELNS1_11target_archE1100ELNS1_3gpuE3ELNS1_3repE0EEENS1_38merge_mergepath_config_static_selectorELNS0_4arch9wavefront6targetE0EEEvSO_.uses_flat_scratch, 0
	.set _ZN7rocprim17ROCPRIM_400000_NS6detail17trampoline_kernelINS0_14default_configENS1_38merge_sort_block_merge_config_selectorIjN6thrust23THRUST_200600_302600_NS5tupleIffNS6_9null_typeES8_S8_S8_S8_S8_S8_S8_EEEEZZNS1_27merge_sort_block_merge_implIS3_NS6_6detail15normal_iteratorINS6_10device_ptrIjEEEENSD_INSE_IS9_EEEEjNS1_19radix_merge_compareILb0ELb0EjNS0_19identity_decomposerEEEEE10hipError_tT0_T1_T2_jT3_P12ihipStream_tbPNSt15iterator_traitsISN_E10value_typeEPNST_ISO_E10value_typeEPSP_NS1_7vsmem_tEENKUlT_SN_SO_SP_E_clIPjSG_PS9_SI_EESM_S12_SN_SO_SP_EUlS12_E0_NS1_11comp_targetILNS1_3genE9ELNS1_11target_archE1100ELNS1_3gpuE3ELNS1_3repE0EEENS1_38merge_mergepath_config_static_selectorELNS0_4arch9wavefront6targetE0EEEvSO_.has_dyn_sized_stack, 0
	.set _ZN7rocprim17ROCPRIM_400000_NS6detail17trampoline_kernelINS0_14default_configENS1_38merge_sort_block_merge_config_selectorIjN6thrust23THRUST_200600_302600_NS5tupleIffNS6_9null_typeES8_S8_S8_S8_S8_S8_S8_EEEEZZNS1_27merge_sort_block_merge_implIS3_NS6_6detail15normal_iteratorINS6_10device_ptrIjEEEENSD_INSE_IS9_EEEEjNS1_19radix_merge_compareILb0ELb0EjNS0_19identity_decomposerEEEEE10hipError_tT0_T1_T2_jT3_P12ihipStream_tbPNSt15iterator_traitsISN_E10value_typeEPNST_ISO_E10value_typeEPSP_NS1_7vsmem_tEENKUlT_SN_SO_SP_E_clIPjSG_PS9_SI_EESM_S12_SN_SO_SP_EUlS12_E0_NS1_11comp_targetILNS1_3genE9ELNS1_11target_archE1100ELNS1_3gpuE3ELNS1_3repE0EEENS1_38merge_mergepath_config_static_selectorELNS0_4arch9wavefront6targetE0EEEvSO_.has_recursion, 0
	.set _ZN7rocprim17ROCPRIM_400000_NS6detail17trampoline_kernelINS0_14default_configENS1_38merge_sort_block_merge_config_selectorIjN6thrust23THRUST_200600_302600_NS5tupleIffNS6_9null_typeES8_S8_S8_S8_S8_S8_S8_EEEEZZNS1_27merge_sort_block_merge_implIS3_NS6_6detail15normal_iteratorINS6_10device_ptrIjEEEENSD_INSE_IS9_EEEEjNS1_19radix_merge_compareILb0ELb0EjNS0_19identity_decomposerEEEEE10hipError_tT0_T1_T2_jT3_P12ihipStream_tbPNSt15iterator_traitsISN_E10value_typeEPNST_ISO_E10value_typeEPSP_NS1_7vsmem_tEENKUlT_SN_SO_SP_E_clIPjSG_PS9_SI_EESM_S12_SN_SO_SP_EUlS12_E0_NS1_11comp_targetILNS1_3genE9ELNS1_11target_archE1100ELNS1_3gpuE3ELNS1_3repE0EEENS1_38merge_mergepath_config_static_selectorELNS0_4arch9wavefront6targetE0EEEvSO_.has_indirect_call, 0
	.section	.AMDGPU.csdata,"",@progbits
; Kernel info:
; codeLenInByte = 0
; TotalNumSgprs: 0
; NumVgprs: 0
; ScratchSize: 0
; MemoryBound: 0
; FloatMode: 240
; IeeeMode: 1
; LDSByteSize: 0 bytes/workgroup (compile time only)
; SGPRBlocks: 0
; VGPRBlocks: 0
; NumSGPRsForWavesPerEU: 1
; NumVGPRsForWavesPerEU: 1
; NamedBarCnt: 0
; Occupancy: 16
; WaveLimiterHint : 0
; COMPUTE_PGM_RSRC2:SCRATCH_EN: 0
; COMPUTE_PGM_RSRC2:USER_SGPR: 2
; COMPUTE_PGM_RSRC2:TRAP_HANDLER: 0
; COMPUTE_PGM_RSRC2:TGID_X_EN: 1
; COMPUTE_PGM_RSRC2:TGID_Y_EN: 0
; COMPUTE_PGM_RSRC2:TGID_Z_EN: 0
; COMPUTE_PGM_RSRC2:TIDIG_COMP_CNT: 0
	.section	.text._ZN7rocprim17ROCPRIM_400000_NS6detail17trampoline_kernelINS0_14default_configENS1_38merge_sort_block_merge_config_selectorIjN6thrust23THRUST_200600_302600_NS5tupleIffNS6_9null_typeES8_S8_S8_S8_S8_S8_S8_EEEEZZNS1_27merge_sort_block_merge_implIS3_NS6_6detail15normal_iteratorINS6_10device_ptrIjEEEENSD_INSE_IS9_EEEEjNS1_19radix_merge_compareILb0ELb0EjNS0_19identity_decomposerEEEEE10hipError_tT0_T1_T2_jT3_P12ihipStream_tbPNSt15iterator_traitsISN_E10value_typeEPNST_ISO_E10value_typeEPSP_NS1_7vsmem_tEENKUlT_SN_SO_SP_E_clIPjSG_PS9_SI_EESM_S12_SN_SO_SP_EUlS12_E0_NS1_11comp_targetILNS1_3genE8ELNS1_11target_archE1030ELNS1_3gpuE2ELNS1_3repE0EEENS1_38merge_mergepath_config_static_selectorELNS0_4arch9wavefront6targetE0EEEvSO_,"axG",@progbits,_ZN7rocprim17ROCPRIM_400000_NS6detail17trampoline_kernelINS0_14default_configENS1_38merge_sort_block_merge_config_selectorIjN6thrust23THRUST_200600_302600_NS5tupleIffNS6_9null_typeES8_S8_S8_S8_S8_S8_S8_EEEEZZNS1_27merge_sort_block_merge_implIS3_NS6_6detail15normal_iteratorINS6_10device_ptrIjEEEENSD_INSE_IS9_EEEEjNS1_19radix_merge_compareILb0ELb0EjNS0_19identity_decomposerEEEEE10hipError_tT0_T1_T2_jT3_P12ihipStream_tbPNSt15iterator_traitsISN_E10value_typeEPNST_ISO_E10value_typeEPSP_NS1_7vsmem_tEENKUlT_SN_SO_SP_E_clIPjSG_PS9_SI_EESM_S12_SN_SO_SP_EUlS12_E0_NS1_11comp_targetILNS1_3genE8ELNS1_11target_archE1030ELNS1_3gpuE2ELNS1_3repE0EEENS1_38merge_mergepath_config_static_selectorELNS0_4arch9wavefront6targetE0EEEvSO_,comdat
	.protected	_ZN7rocprim17ROCPRIM_400000_NS6detail17trampoline_kernelINS0_14default_configENS1_38merge_sort_block_merge_config_selectorIjN6thrust23THRUST_200600_302600_NS5tupleIffNS6_9null_typeES8_S8_S8_S8_S8_S8_S8_EEEEZZNS1_27merge_sort_block_merge_implIS3_NS6_6detail15normal_iteratorINS6_10device_ptrIjEEEENSD_INSE_IS9_EEEEjNS1_19radix_merge_compareILb0ELb0EjNS0_19identity_decomposerEEEEE10hipError_tT0_T1_T2_jT3_P12ihipStream_tbPNSt15iterator_traitsISN_E10value_typeEPNST_ISO_E10value_typeEPSP_NS1_7vsmem_tEENKUlT_SN_SO_SP_E_clIPjSG_PS9_SI_EESM_S12_SN_SO_SP_EUlS12_E0_NS1_11comp_targetILNS1_3genE8ELNS1_11target_archE1030ELNS1_3gpuE2ELNS1_3repE0EEENS1_38merge_mergepath_config_static_selectorELNS0_4arch9wavefront6targetE0EEEvSO_ ; -- Begin function _ZN7rocprim17ROCPRIM_400000_NS6detail17trampoline_kernelINS0_14default_configENS1_38merge_sort_block_merge_config_selectorIjN6thrust23THRUST_200600_302600_NS5tupleIffNS6_9null_typeES8_S8_S8_S8_S8_S8_S8_EEEEZZNS1_27merge_sort_block_merge_implIS3_NS6_6detail15normal_iteratorINS6_10device_ptrIjEEEENSD_INSE_IS9_EEEEjNS1_19radix_merge_compareILb0ELb0EjNS0_19identity_decomposerEEEEE10hipError_tT0_T1_T2_jT3_P12ihipStream_tbPNSt15iterator_traitsISN_E10value_typeEPNST_ISO_E10value_typeEPSP_NS1_7vsmem_tEENKUlT_SN_SO_SP_E_clIPjSG_PS9_SI_EESM_S12_SN_SO_SP_EUlS12_E0_NS1_11comp_targetILNS1_3genE8ELNS1_11target_archE1030ELNS1_3gpuE2ELNS1_3repE0EEENS1_38merge_mergepath_config_static_selectorELNS0_4arch9wavefront6targetE0EEEvSO_
	.globl	_ZN7rocprim17ROCPRIM_400000_NS6detail17trampoline_kernelINS0_14default_configENS1_38merge_sort_block_merge_config_selectorIjN6thrust23THRUST_200600_302600_NS5tupleIffNS6_9null_typeES8_S8_S8_S8_S8_S8_S8_EEEEZZNS1_27merge_sort_block_merge_implIS3_NS6_6detail15normal_iteratorINS6_10device_ptrIjEEEENSD_INSE_IS9_EEEEjNS1_19radix_merge_compareILb0ELb0EjNS0_19identity_decomposerEEEEE10hipError_tT0_T1_T2_jT3_P12ihipStream_tbPNSt15iterator_traitsISN_E10value_typeEPNST_ISO_E10value_typeEPSP_NS1_7vsmem_tEENKUlT_SN_SO_SP_E_clIPjSG_PS9_SI_EESM_S12_SN_SO_SP_EUlS12_E0_NS1_11comp_targetILNS1_3genE8ELNS1_11target_archE1030ELNS1_3gpuE2ELNS1_3repE0EEENS1_38merge_mergepath_config_static_selectorELNS0_4arch9wavefront6targetE0EEEvSO_
	.p2align	8
	.type	_ZN7rocprim17ROCPRIM_400000_NS6detail17trampoline_kernelINS0_14default_configENS1_38merge_sort_block_merge_config_selectorIjN6thrust23THRUST_200600_302600_NS5tupleIffNS6_9null_typeES8_S8_S8_S8_S8_S8_S8_EEEEZZNS1_27merge_sort_block_merge_implIS3_NS6_6detail15normal_iteratorINS6_10device_ptrIjEEEENSD_INSE_IS9_EEEEjNS1_19radix_merge_compareILb0ELb0EjNS0_19identity_decomposerEEEEE10hipError_tT0_T1_T2_jT3_P12ihipStream_tbPNSt15iterator_traitsISN_E10value_typeEPNST_ISO_E10value_typeEPSP_NS1_7vsmem_tEENKUlT_SN_SO_SP_E_clIPjSG_PS9_SI_EESM_S12_SN_SO_SP_EUlS12_E0_NS1_11comp_targetILNS1_3genE8ELNS1_11target_archE1030ELNS1_3gpuE2ELNS1_3repE0EEENS1_38merge_mergepath_config_static_selectorELNS0_4arch9wavefront6targetE0EEEvSO_,@function
_ZN7rocprim17ROCPRIM_400000_NS6detail17trampoline_kernelINS0_14default_configENS1_38merge_sort_block_merge_config_selectorIjN6thrust23THRUST_200600_302600_NS5tupleIffNS6_9null_typeES8_S8_S8_S8_S8_S8_S8_EEEEZZNS1_27merge_sort_block_merge_implIS3_NS6_6detail15normal_iteratorINS6_10device_ptrIjEEEENSD_INSE_IS9_EEEEjNS1_19radix_merge_compareILb0ELb0EjNS0_19identity_decomposerEEEEE10hipError_tT0_T1_T2_jT3_P12ihipStream_tbPNSt15iterator_traitsISN_E10value_typeEPNST_ISO_E10value_typeEPSP_NS1_7vsmem_tEENKUlT_SN_SO_SP_E_clIPjSG_PS9_SI_EESM_S12_SN_SO_SP_EUlS12_E0_NS1_11comp_targetILNS1_3genE8ELNS1_11target_archE1030ELNS1_3gpuE2ELNS1_3repE0EEENS1_38merge_mergepath_config_static_selectorELNS0_4arch9wavefront6targetE0EEEvSO_: ; @_ZN7rocprim17ROCPRIM_400000_NS6detail17trampoline_kernelINS0_14default_configENS1_38merge_sort_block_merge_config_selectorIjN6thrust23THRUST_200600_302600_NS5tupleIffNS6_9null_typeES8_S8_S8_S8_S8_S8_S8_EEEEZZNS1_27merge_sort_block_merge_implIS3_NS6_6detail15normal_iteratorINS6_10device_ptrIjEEEENSD_INSE_IS9_EEEEjNS1_19radix_merge_compareILb0ELb0EjNS0_19identity_decomposerEEEEE10hipError_tT0_T1_T2_jT3_P12ihipStream_tbPNSt15iterator_traitsISN_E10value_typeEPNST_ISO_E10value_typeEPSP_NS1_7vsmem_tEENKUlT_SN_SO_SP_E_clIPjSG_PS9_SI_EESM_S12_SN_SO_SP_EUlS12_E0_NS1_11comp_targetILNS1_3genE8ELNS1_11target_archE1030ELNS1_3gpuE2ELNS1_3repE0EEENS1_38merge_mergepath_config_static_selectorELNS0_4arch9wavefront6targetE0EEEvSO_
; %bb.0:
	.section	.rodata,"a",@progbits
	.p2align	6, 0x0
	.amdhsa_kernel _ZN7rocprim17ROCPRIM_400000_NS6detail17trampoline_kernelINS0_14default_configENS1_38merge_sort_block_merge_config_selectorIjN6thrust23THRUST_200600_302600_NS5tupleIffNS6_9null_typeES8_S8_S8_S8_S8_S8_S8_EEEEZZNS1_27merge_sort_block_merge_implIS3_NS6_6detail15normal_iteratorINS6_10device_ptrIjEEEENSD_INSE_IS9_EEEEjNS1_19radix_merge_compareILb0ELb0EjNS0_19identity_decomposerEEEEE10hipError_tT0_T1_T2_jT3_P12ihipStream_tbPNSt15iterator_traitsISN_E10value_typeEPNST_ISO_E10value_typeEPSP_NS1_7vsmem_tEENKUlT_SN_SO_SP_E_clIPjSG_PS9_SI_EESM_S12_SN_SO_SP_EUlS12_E0_NS1_11comp_targetILNS1_3genE8ELNS1_11target_archE1030ELNS1_3gpuE2ELNS1_3repE0EEENS1_38merge_mergepath_config_static_selectorELNS0_4arch9wavefront6targetE0EEEvSO_
		.amdhsa_group_segment_fixed_size 0
		.amdhsa_private_segment_fixed_size 0
		.amdhsa_kernarg_size 64
		.amdhsa_user_sgpr_count 2
		.amdhsa_user_sgpr_dispatch_ptr 0
		.amdhsa_user_sgpr_queue_ptr 0
		.amdhsa_user_sgpr_kernarg_segment_ptr 1
		.amdhsa_user_sgpr_dispatch_id 0
		.amdhsa_user_sgpr_kernarg_preload_length 0
		.amdhsa_user_sgpr_kernarg_preload_offset 0
		.amdhsa_user_sgpr_private_segment_size 0
		.amdhsa_wavefront_size32 1
		.amdhsa_uses_dynamic_stack 0
		.amdhsa_enable_private_segment 0
		.amdhsa_system_sgpr_workgroup_id_x 1
		.amdhsa_system_sgpr_workgroup_id_y 0
		.amdhsa_system_sgpr_workgroup_id_z 0
		.amdhsa_system_sgpr_workgroup_info 0
		.amdhsa_system_vgpr_workitem_id 0
		.amdhsa_next_free_vgpr 1
		.amdhsa_next_free_sgpr 1
		.amdhsa_named_barrier_count 0
		.amdhsa_reserve_vcc 0
		.amdhsa_float_round_mode_32 0
		.amdhsa_float_round_mode_16_64 0
		.amdhsa_float_denorm_mode_32 3
		.amdhsa_float_denorm_mode_16_64 3
		.amdhsa_fp16_overflow 0
		.amdhsa_memory_ordered 1
		.amdhsa_forward_progress 1
		.amdhsa_inst_pref_size 0
		.amdhsa_round_robin_scheduling 0
		.amdhsa_exception_fp_ieee_invalid_op 0
		.amdhsa_exception_fp_denorm_src 0
		.amdhsa_exception_fp_ieee_div_zero 0
		.amdhsa_exception_fp_ieee_overflow 0
		.amdhsa_exception_fp_ieee_underflow 0
		.amdhsa_exception_fp_ieee_inexact 0
		.amdhsa_exception_int_div_zero 0
	.end_amdhsa_kernel
	.section	.text._ZN7rocprim17ROCPRIM_400000_NS6detail17trampoline_kernelINS0_14default_configENS1_38merge_sort_block_merge_config_selectorIjN6thrust23THRUST_200600_302600_NS5tupleIffNS6_9null_typeES8_S8_S8_S8_S8_S8_S8_EEEEZZNS1_27merge_sort_block_merge_implIS3_NS6_6detail15normal_iteratorINS6_10device_ptrIjEEEENSD_INSE_IS9_EEEEjNS1_19radix_merge_compareILb0ELb0EjNS0_19identity_decomposerEEEEE10hipError_tT0_T1_T2_jT3_P12ihipStream_tbPNSt15iterator_traitsISN_E10value_typeEPNST_ISO_E10value_typeEPSP_NS1_7vsmem_tEENKUlT_SN_SO_SP_E_clIPjSG_PS9_SI_EESM_S12_SN_SO_SP_EUlS12_E0_NS1_11comp_targetILNS1_3genE8ELNS1_11target_archE1030ELNS1_3gpuE2ELNS1_3repE0EEENS1_38merge_mergepath_config_static_selectorELNS0_4arch9wavefront6targetE0EEEvSO_,"axG",@progbits,_ZN7rocprim17ROCPRIM_400000_NS6detail17trampoline_kernelINS0_14default_configENS1_38merge_sort_block_merge_config_selectorIjN6thrust23THRUST_200600_302600_NS5tupleIffNS6_9null_typeES8_S8_S8_S8_S8_S8_S8_EEEEZZNS1_27merge_sort_block_merge_implIS3_NS6_6detail15normal_iteratorINS6_10device_ptrIjEEEENSD_INSE_IS9_EEEEjNS1_19radix_merge_compareILb0ELb0EjNS0_19identity_decomposerEEEEE10hipError_tT0_T1_T2_jT3_P12ihipStream_tbPNSt15iterator_traitsISN_E10value_typeEPNST_ISO_E10value_typeEPSP_NS1_7vsmem_tEENKUlT_SN_SO_SP_E_clIPjSG_PS9_SI_EESM_S12_SN_SO_SP_EUlS12_E0_NS1_11comp_targetILNS1_3genE8ELNS1_11target_archE1030ELNS1_3gpuE2ELNS1_3repE0EEENS1_38merge_mergepath_config_static_selectorELNS0_4arch9wavefront6targetE0EEEvSO_,comdat
.Lfunc_end40:
	.size	_ZN7rocprim17ROCPRIM_400000_NS6detail17trampoline_kernelINS0_14default_configENS1_38merge_sort_block_merge_config_selectorIjN6thrust23THRUST_200600_302600_NS5tupleIffNS6_9null_typeES8_S8_S8_S8_S8_S8_S8_EEEEZZNS1_27merge_sort_block_merge_implIS3_NS6_6detail15normal_iteratorINS6_10device_ptrIjEEEENSD_INSE_IS9_EEEEjNS1_19radix_merge_compareILb0ELb0EjNS0_19identity_decomposerEEEEE10hipError_tT0_T1_T2_jT3_P12ihipStream_tbPNSt15iterator_traitsISN_E10value_typeEPNST_ISO_E10value_typeEPSP_NS1_7vsmem_tEENKUlT_SN_SO_SP_E_clIPjSG_PS9_SI_EESM_S12_SN_SO_SP_EUlS12_E0_NS1_11comp_targetILNS1_3genE8ELNS1_11target_archE1030ELNS1_3gpuE2ELNS1_3repE0EEENS1_38merge_mergepath_config_static_selectorELNS0_4arch9wavefront6targetE0EEEvSO_, .Lfunc_end40-_ZN7rocprim17ROCPRIM_400000_NS6detail17trampoline_kernelINS0_14default_configENS1_38merge_sort_block_merge_config_selectorIjN6thrust23THRUST_200600_302600_NS5tupleIffNS6_9null_typeES8_S8_S8_S8_S8_S8_S8_EEEEZZNS1_27merge_sort_block_merge_implIS3_NS6_6detail15normal_iteratorINS6_10device_ptrIjEEEENSD_INSE_IS9_EEEEjNS1_19radix_merge_compareILb0ELb0EjNS0_19identity_decomposerEEEEE10hipError_tT0_T1_T2_jT3_P12ihipStream_tbPNSt15iterator_traitsISN_E10value_typeEPNST_ISO_E10value_typeEPSP_NS1_7vsmem_tEENKUlT_SN_SO_SP_E_clIPjSG_PS9_SI_EESM_S12_SN_SO_SP_EUlS12_E0_NS1_11comp_targetILNS1_3genE8ELNS1_11target_archE1030ELNS1_3gpuE2ELNS1_3repE0EEENS1_38merge_mergepath_config_static_selectorELNS0_4arch9wavefront6targetE0EEEvSO_
                                        ; -- End function
	.set _ZN7rocprim17ROCPRIM_400000_NS6detail17trampoline_kernelINS0_14default_configENS1_38merge_sort_block_merge_config_selectorIjN6thrust23THRUST_200600_302600_NS5tupleIffNS6_9null_typeES8_S8_S8_S8_S8_S8_S8_EEEEZZNS1_27merge_sort_block_merge_implIS3_NS6_6detail15normal_iteratorINS6_10device_ptrIjEEEENSD_INSE_IS9_EEEEjNS1_19radix_merge_compareILb0ELb0EjNS0_19identity_decomposerEEEEE10hipError_tT0_T1_T2_jT3_P12ihipStream_tbPNSt15iterator_traitsISN_E10value_typeEPNST_ISO_E10value_typeEPSP_NS1_7vsmem_tEENKUlT_SN_SO_SP_E_clIPjSG_PS9_SI_EESM_S12_SN_SO_SP_EUlS12_E0_NS1_11comp_targetILNS1_3genE8ELNS1_11target_archE1030ELNS1_3gpuE2ELNS1_3repE0EEENS1_38merge_mergepath_config_static_selectorELNS0_4arch9wavefront6targetE0EEEvSO_.num_vgpr, 0
	.set _ZN7rocprim17ROCPRIM_400000_NS6detail17trampoline_kernelINS0_14default_configENS1_38merge_sort_block_merge_config_selectorIjN6thrust23THRUST_200600_302600_NS5tupleIffNS6_9null_typeES8_S8_S8_S8_S8_S8_S8_EEEEZZNS1_27merge_sort_block_merge_implIS3_NS6_6detail15normal_iteratorINS6_10device_ptrIjEEEENSD_INSE_IS9_EEEEjNS1_19radix_merge_compareILb0ELb0EjNS0_19identity_decomposerEEEEE10hipError_tT0_T1_T2_jT3_P12ihipStream_tbPNSt15iterator_traitsISN_E10value_typeEPNST_ISO_E10value_typeEPSP_NS1_7vsmem_tEENKUlT_SN_SO_SP_E_clIPjSG_PS9_SI_EESM_S12_SN_SO_SP_EUlS12_E0_NS1_11comp_targetILNS1_3genE8ELNS1_11target_archE1030ELNS1_3gpuE2ELNS1_3repE0EEENS1_38merge_mergepath_config_static_selectorELNS0_4arch9wavefront6targetE0EEEvSO_.num_agpr, 0
	.set _ZN7rocprim17ROCPRIM_400000_NS6detail17trampoline_kernelINS0_14default_configENS1_38merge_sort_block_merge_config_selectorIjN6thrust23THRUST_200600_302600_NS5tupleIffNS6_9null_typeES8_S8_S8_S8_S8_S8_S8_EEEEZZNS1_27merge_sort_block_merge_implIS3_NS6_6detail15normal_iteratorINS6_10device_ptrIjEEEENSD_INSE_IS9_EEEEjNS1_19radix_merge_compareILb0ELb0EjNS0_19identity_decomposerEEEEE10hipError_tT0_T1_T2_jT3_P12ihipStream_tbPNSt15iterator_traitsISN_E10value_typeEPNST_ISO_E10value_typeEPSP_NS1_7vsmem_tEENKUlT_SN_SO_SP_E_clIPjSG_PS9_SI_EESM_S12_SN_SO_SP_EUlS12_E0_NS1_11comp_targetILNS1_3genE8ELNS1_11target_archE1030ELNS1_3gpuE2ELNS1_3repE0EEENS1_38merge_mergepath_config_static_selectorELNS0_4arch9wavefront6targetE0EEEvSO_.numbered_sgpr, 0
	.set _ZN7rocprim17ROCPRIM_400000_NS6detail17trampoline_kernelINS0_14default_configENS1_38merge_sort_block_merge_config_selectorIjN6thrust23THRUST_200600_302600_NS5tupleIffNS6_9null_typeES8_S8_S8_S8_S8_S8_S8_EEEEZZNS1_27merge_sort_block_merge_implIS3_NS6_6detail15normal_iteratorINS6_10device_ptrIjEEEENSD_INSE_IS9_EEEEjNS1_19radix_merge_compareILb0ELb0EjNS0_19identity_decomposerEEEEE10hipError_tT0_T1_T2_jT3_P12ihipStream_tbPNSt15iterator_traitsISN_E10value_typeEPNST_ISO_E10value_typeEPSP_NS1_7vsmem_tEENKUlT_SN_SO_SP_E_clIPjSG_PS9_SI_EESM_S12_SN_SO_SP_EUlS12_E0_NS1_11comp_targetILNS1_3genE8ELNS1_11target_archE1030ELNS1_3gpuE2ELNS1_3repE0EEENS1_38merge_mergepath_config_static_selectorELNS0_4arch9wavefront6targetE0EEEvSO_.num_named_barrier, 0
	.set _ZN7rocprim17ROCPRIM_400000_NS6detail17trampoline_kernelINS0_14default_configENS1_38merge_sort_block_merge_config_selectorIjN6thrust23THRUST_200600_302600_NS5tupleIffNS6_9null_typeES8_S8_S8_S8_S8_S8_S8_EEEEZZNS1_27merge_sort_block_merge_implIS3_NS6_6detail15normal_iteratorINS6_10device_ptrIjEEEENSD_INSE_IS9_EEEEjNS1_19radix_merge_compareILb0ELb0EjNS0_19identity_decomposerEEEEE10hipError_tT0_T1_T2_jT3_P12ihipStream_tbPNSt15iterator_traitsISN_E10value_typeEPNST_ISO_E10value_typeEPSP_NS1_7vsmem_tEENKUlT_SN_SO_SP_E_clIPjSG_PS9_SI_EESM_S12_SN_SO_SP_EUlS12_E0_NS1_11comp_targetILNS1_3genE8ELNS1_11target_archE1030ELNS1_3gpuE2ELNS1_3repE0EEENS1_38merge_mergepath_config_static_selectorELNS0_4arch9wavefront6targetE0EEEvSO_.private_seg_size, 0
	.set _ZN7rocprim17ROCPRIM_400000_NS6detail17trampoline_kernelINS0_14default_configENS1_38merge_sort_block_merge_config_selectorIjN6thrust23THRUST_200600_302600_NS5tupleIffNS6_9null_typeES8_S8_S8_S8_S8_S8_S8_EEEEZZNS1_27merge_sort_block_merge_implIS3_NS6_6detail15normal_iteratorINS6_10device_ptrIjEEEENSD_INSE_IS9_EEEEjNS1_19radix_merge_compareILb0ELb0EjNS0_19identity_decomposerEEEEE10hipError_tT0_T1_T2_jT3_P12ihipStream_tbPNSt15iterator_traitsISN_E10value_typeEPNST_ISO_E10value_typeEPSP_NS1_7vsmem_tEENKUlT_SN_SO_SP_E_clIPjSG_PS9_SI_EESM_S12_SN_SO_SP_EUlS12_E0_NS1_11comp_targetILNS1_3genE8ELNS1_11target_archE1030ELNS1_3gpuE2ELNS1_3repE0EEENS1_38merge_mergepath_config_static_selectorELNS0_4arch9wavefront6targetE0EEEvSO_.uses_vcc, 0
	.set _ZN7rocprim17ROCPRIM_400000_NS6detail17trampoline_kernelINS0_14default_configENS1_38merge_sort_block_merge_config_selectorIjN6thrust23THRUST_200600_302600_NS5tupleIffNS6_9null_typeES8_S8_S8_S8_S8_S8_S8_EEEEZZNS1_27merge_sort_block_merge_implIS3_NS6_6detail15normal_iteratorINS6_10device_ptrIjEEEENSD_INSE_IS9_EEEEjNS1_19radix_merge_compareILb0ELb0EjNS0_19identity_decomposerEEEEE10hipError_tT0_T1_T2_jT3_P12ihipStream_tbPNSt15iterator_traitsISN_E10value_typeEPNST_ISO_E10value_typeEPSP_NS1_7vsmem_tEENKUlT_SN_SO_SP_E_clIPjSG_PS9_SI_EESM_S12_SN_SO_SP_EUlS12_E0_NS1_11comp_targetILNS1_3genE8ELNS1_11target_archE1030ELNS1_3gpuE2ELNS1_3repE0EEENS1_38merge_mergepath_config_static_selectorELNS0_4arch9wavefront6targetE0EEEvSO_.uses_flat_scratch, 0
	.set _ZN7rocprim17ROCPRIM_400000_NS6detail17trampoline_kernelINS0_14default_configENS1_38merge_sort_block_merge_config_selectorIjN6thrust23THRUST_200600_302600_NS5tupleIffNS6_9null_typeES8_S8_S8_S8_S8_S8_S8_EEEEZZNS1_27merge_sort_block_merge_implIS3_NS6_6detail15normal_iteratorINS6_10device_ptrIjEEEENSD_INSE_IS9_EEEEjNS1_19radix_merge_compareILb0ELb0EjNS0_19identity_decomposerEEEEE10hipError_tT0_T1_T2_jT3_P12ihipStream_tbPNSt15iterator_traitsISN_E10value_typeEPNST_ISO_E10value_typeEPSP_NS1_7vsmem_tEENKUlT_SN_SO_SP_E_clIPjSG_PS9_SI_EESM_S12_SN_SO_SP_EUlS12_E0_NS1_11comp_targetILNS1_3genE8ELNS1_11target_archE1030ELNS1_3gpuE2ELNS1_3repE0EEENS1_38merge_mergepath_config_static_selectorELNS0_4arch9wavefront6targetE0EEEvSO_.has_dyn_sized_stack, 0
	.set _ZN7rocprim17ROCPRIM_400000_NS6detail17trampoline_kernelINS0_14default_configENS1_38merge_sort_block_merge_config_selectorIjN6thrust23THRUST_200600_302600_NS5tupleIffNS6_9null_typeES8_S8_S8_S8_S8_S8_S8_EEEEZZNS1_27merge_sort_block_merge_implIS3_NS6_6detail15normal_iteratorINS6_10device_ptrIjEEEENSD_INSE_IS9_EEEEjNS1_19radix_merge_compareILb0ELb0EjNS0_19identity_decomposerEEEEE10hipError_tT0_T1_T2_jT3_P12ihipStream_tbPNSt15iterator_traitsISN_E10value_typeEPNST_ISO_E10value_typeEPSP_NS1_7vsmem_tEENKUlT_SN_SO_SP_E_clIPjSG_PS9_SI_EESM_S12_SN_SO_SP_EUlS12_E0_NS1_11comp_targetILNS1_3genE8ELNS1_11target_archE1030ELNS1_3gpuE2ELNS1_3repE0EEENS1_38merge_mergepath_config_static_selectorELNS0_4arch9wavefront6targetE0EEEvSO_.has_recursion, 0
	.set _ZN7rocprim17ROCPRIM_400000_NS6detail17trampoline_kernelINS0_14default_configENS1_38merge_sort_block_merge_config_selectorIjN6thrust23THRUST_200600_302600_NS5tupleIffNS6_9null_typeES8_S8_S8_S8_S8_S8_S8_EEEEZZNS1_27merge_sort_block_merge_implIS3_NS6_6detail15normal_iteratorINS6_10device_ptrIjEEEENSD_INSE_IS9_EEEEjNS1_19radix_merge_compareILb0ELb0EjNS0_19identity_decomposerEEEEE10hipError_tT0_T1_T2_jT3_P12ihipStream_tbPNSt15iterator_traitsISN_E10value_typeEPNST_ISO_E10value_typeEPSP_NS1_7vsmem_tEENKUlT_SN_SO_SP_E_clIPjSG_PS9_SI_EESM_S12_SN_SO_SP_EUlS12_E0_NS1_11comp_targetILNS1_3genE8ELNS1_11target_archE1030ELNS1_3gpuE2ELNS1_3repE0EEENS1_38merge_mergepath_config_static_selectorELNS0_4arch9wavefront6targetE0EEEvSO_.has_indirect_call, 0
	.section	.AMDGPU.csdata,"",@progbits
; Kernel info:
; codeLenInByte = 0
; TotalNumSgprs: 0
; NumVgprs: 0
; ScratchSize: 0
; MemoryBound: 0
; FloatMode: 240
; IeeeMode: 1
; LDSByteSize: 0 bytes/workgroup (compile time only)
; SGPRBlocks: 0
; VGPRBlocks: 0
; NumSGPRsForWavesPerEU: 1
; NumVGPRsForWavesPerEU: 1
; NamedBarCnt: 0
; Occupancy: 16
; WaveLimiterHint : 0
; COMPUTE_PGM_RSRC2:SCRATCH_EN: 0
; COMPUTE_PGM_RSRC2:USER_SGPR: 2
; COMPUTE_PGM_RSRC2:TRAP_HANDLER: 0
; COMPUTE_PGM_RSRC2:TGID_X_EN: 1
; COMPUTE_PGM_RSRC2:TGID_Y_EN: 0
; COMPUTE_PGM_RSRC2:TGID_Z_EN: 0
; COMPUTE_PGM_RSRC2:TIDIG_COMP_CNT: 0
	.section	.text._ZN7rocprim17ROCPRIM_400000_NS6detail17trampoline_kernelINS0_14default_configENS1_38merge_sort_block_merge_config_selectorIjN6thrust23THRUST_200600_302600_NS5tupleIffNS6_9null_typeES8_S8_S8_S8_S8_S8_S8_EEEEZZNS1_27merge_sort_block_merge_implIS3_NS6_6detail15normal_iteratorINS6_10device_ptrIjEEEENSD_INSE_IS9_EEEEjNS1_19radix_merge_compareILb0ELb0EjNS0_19identity_decomposerEEEEE10hipError_tT0_T1_T2_jT3_P12ihipStream_tbPNSt15iterator_traitsISN_E10value_typeEPNST_ISO_E10value_typeEPSP_NS1_7vsmem_tEENKUlT_SN_SO_SP_E_clIPjSG_PS9_SI_EESM_S12_SN_SO_SP_EUlS12_E1_NS1_11comp_targetILNS1_3genE0ELNS1_11target_archE4294967295ELNS1_3gpuE0ELNS1_3repE0EEENS1_36merge_oddeven_config_static_selectorELNS0_4arch9wavefront6targetE0EEEvSO_,"axG",@progbits,_ZN7rocprim17ROCPRIM_400000_NS6detail17trampoline_kernelINS0_14default_configENS1_38merge_sort_block_merge_config_selectorIjN6thrust23THRUST_200600_302600_NS5tupleIffNS6_9null_typeES8_S8_S8_S8_S8_S8_S8_EEEEZZNS1_27merge_sort_block_merge_implIS3_NS6_6detail15normal_iteratorINS6_10device_ptrIjEEEENSD_INSE_IS9_EEEEjNS1_19radix_merge_compareILb0ELb0EjNS0_19identity_decomposerEEEEE10hipError_tT0_T1_T2_jT3_P12ihipStream_tbPNSt15iterator_traitsISN_E10value_typeEPNST_ISO_E10value_typeEPSP_NS1_7vsmem_tEENKUlT_SN_SO_SP_E_clIPjSG_PS9_SI_EESM_S12_SN_SO_SP_EUlS12_E1_NS1_11comp_targetILNS1_3genE0ELNS1_11target_archE4294967295ELNS1_3gpuE0ELNS1_3repE0EEENS1_36merge_oddeven_config_static_selectorELNS0_4arch9wavefront6targetE0EEEvSO_,comdat
	.protected	_ZN7rocprim17ROCPRIM_400000_NS6detail17trampoline_kernelINS0_14default_configENS1_38merge_sort_block_merge_config_selectorIjN6thrust23THRUST_200600_302600_NS5tupleIffNS6_9null_typeES8_S8_S8_S8_S8_S8_S8_EEEEZZNS1_27merge_sort_block_merge_implIS3_NS6_6detail15normal_iteratorINS6_10device_ptrIjEEEENSD_INSE_IS9_EEEEjNS1_19radix_merge_compareILb0ELb0EjNS0_19identity_decomposerEEEEE10hipError_tT0_T1_T2_jT3_P12ihipStream_tbPNSt15iterator_traitsISN_E10value_typeEPNST_ISO_E10value_typeEPSP_NS1_7vsmem_tEENKUlT_SN_SO_SP_E_clIPjSG_PS9_SI_EESM_S12_SN_SO_SP_EUlS12_E1_NS1_11comp_targetILNS1_3genE0ELNS1_11target_archE4294967295ELNS1_3gpuE0ELNS1_3repE0EEENS1_36merge_oddeven_config_static_selectorELNS0_4arch9wavefront6targetE0EEEvSO_ ; -- Begin function _ZN7rocprim17ROCPRIM_400000_NS6detail17trampoline_kernelINS0_14default_configENS1_38merge_sort_block_merge_config_selectorIjN6thrust23THRUST_200600_302600_NS5tupleIffNS6_9null_typeES8_S8_S8_S8_S8_S8_S8_EEEEZZNS1_27merge_sort_block_merge_implIS3_NS6_6detail15normal_iteratorINS6_10device_ptrIjEEEENSD_INSE_IS9_EEEEjNS1_19radix_merge_compareILb0ELb0EjNS0_19identity_decomposerEEEEE10hipError_tT0_T1_T2_jT3_P12ihipStream_tbPNSt15iterator_traitsISN_E10value_typeEPNST_ISO_E10value_typeEPSP_NS1_7vsmem_tEENKUlT_SN_SO_SP_E_clIPjSG_PS9_SI_EESM_S12_SN_SO_SP_EUlS12_E1_NS1_11comp_targetILNS1_3genE0ELNS1_11target_archE4294967295ELNS1_3gpuE0ELNS1_3repE0EEENS1_36merge_oddeven_config_static_selectorELNS0_4arch9wavefront6targetE0EEEvSO_
	.globl	_ZN7rocprim17ROCPRIM_400000_NS6detail17trampoline_kernelINS0_14default_configENS1_38merge_sort_block_merge_config_selectorIjN6thrust23THRUST_200600_302600_NS5tupleIffNS6_9null_typeES8_S8_S8_S8_S8_S8_S8_EEEEZZNS1_27merge_sort_block_merge_implIS3_NS6_6detail15normal_iteratorINS6_10device_ptrIjEEEENSD_INSE_IS9_EEEEjNS1_19radix_merge_compareILb0ELb0EjNS0_19identity_decomposerEEEEE10hipError_tT0_T1_T2_jT3_P12ihipStream_tbPNSt15iterator_traitsISN_E10value_typeEPNST_ISO_E10value_typeEPSP_NS1_7vsmem_tEENKUlT_SN_SO_SP_E_clIPjSG_PS9_SI_EESM_S12_SN_SO_SP_EUlS12_E1_NS1_11comp_targetILNS1_3genE0ELNS1_11target_archE4294967295ELNS1_3gpuE0ELNS1_3repE0EEENS1_36merge_oddeven_config_static_selectorELNS0_4arch9wavefront6targetE0EEEvSO_
	.p2align	8
	.type	_ZN7rocprim17ROCPRIM_400000_NS6detail17trampoline_kernelINS0_14default_configENS1_38merge_sort_block_merge_config_selectorIjN6thrust23THRUST_200600_302600_NS5tupleIffNS6_9null_typeES8_S8_S8_S8_S8_S8_S8_EEEEZZNS1_27merge_sort_block_merge_implIS3_NS6_6detail15normal_iteratorINS6_10device_ptrIjEEEENSD_INSE_IS9_EEEEjNS1_19radix_merge_compareILb0ELb0EjNS0_19identity_decomposerEEEEE10hipError_tT0_T1_T2_jT3_P12ihipStream_tbPNSt15iterator_traitsISN_E10value_typeEPNST_ISO_E10value_typeEPSP_NS1_7vsmem_tEENKUlT_SN_SO_SP_E_clIPjSG_PS9_SI_EESM_S12_SN_SO_SP_EUlS12_E1_NS1_11comp_targetILNS1_3genE0ELNS1_11target_archE4294967295ELNS1_3gpuE0ELNS1_3repE0EEENS1_36merge_oddeven_config_static_selectorELNS0_4arch9wavefront6targetE0EEEvSO_,@function
_ZN7rocprim17ROCPRIM_400000_NS6detail17trampoline_kernelINS0_14default_configENS1_38merge_sort_block_merge_config_selectorIjN6thrust23THRUST_200600_302600_NS5tupleIffNS6_9null_typeES8_S8_S8_S8_S8_S8_S8_EEEEZZNS1_27merge_sort_block_merge_implIS3_NS6_6detail15normal_iteratorINS6_10device_ptrIjEEEENSD_INSE_IS9_EEEEjNS1_19radix_merge_compareILb0ELb0EjNS0_19identity_decomposerEEEEE10hipError_tT0_T1_T2_jT3_P12ihipStream_tbPNSt15iterator_traitsISN_E10value_typeEPNST_ISO_E10value_typeEPSP_NS1_7vsmem_tEENKUlT_SN_SO_SP_E_clIPjSG_PS9_SI_EESM_S12_SN_SO_SP_EUlS12_E1_NS1_11comp_targetILNS1_3genE0ELNS1_11target_archE4294967295ELNS1_3gpuE0ELNS1_3repE0EEENS1_36merge_oddeven_config_static_selectorELNS0_4arch9wavefront6targetE0EEEvSO_: ; @_ZN7rocprim17ROCPRIM_400000_NS6detail17trampoline_kernelINS0_14default_configENS1_38merge_sort_block_merge_config_selectorIjN6thrust23THRUST_200600_302600_NS5tupleIffNS6_9null_typeES8_S8_S8_S8_S8_S8_S8_EEEEZZNS1_27merge_sort_block_merge_implIS3_NS6_6detail15normal_iteratorINS6_10device_ptrIjEEEENSD_INSE_IS9_EEEEjNS1_19radix_merge_compareILb0ELb0EjNS0_19identity_decomposerEEEEE10hipError_tT0_T1_T2_jT3_P12ihipStream_tbPNSt15iterator_traitsISN_E10value_typeEPNST_ISO_E10value_typeEPSP_NS1_7vsmem_tEENKUlT_SN_SO_SP_E_clIPjSG_PS9_SI_EESM_S12_SN_SO_SP_EUlS12_E1_NS1_11comp_targetILNS1_3genE0ELNS1_11target_archE4294967295ELNS1_3gpuE0ELNS1_3repE0EEENS1_36merge_oddeven_config_static_selectorELNS0_4arch9wavefront6targetE0EEEvSO_
; %bb.0:
	s_load_b32 s3, s[0:1], 0x20
	s_bfe_u32 s2, ttmp6, 0x4000c
	s_and_b32 s4, ttmp6, 15
	s_add_co_i32 s2, s2, 1
	s_getreg_b32 s5, hwreg(HW_REG_IB_STS2, 6, 4)
	s_mul_i32 s2, ttmp9, s2
	s_mov_b32 s13, 0
	s_add_co_i32 s4, s4, s2
	s_cmp_eq_u32 s5, 0
	s_cselect_b32 s15, ttmp9, s4
	s_delay_alu instid0(SALU_CYCLE_1) | instskip(SKIP_2) | instid1(SALU_CYCLE_1)
	s_lshl_b32 s12, s15, 8
	s_wait_kmcnt 0x0
	s_lshr_b32 s2, s3, 8
	s_cmp_eq_u32 s15, s2
	s_cselect_b32 s14, -1, 0
	s_cmp_lg_u32 s15, s2
	s_cselect_b32 s4, -1, 0
	s_sub_co_i32 s2, s3, s12
	s_delay_alu instid0(SALU_CYCLE_1) | instskip(SKIP_1) | instid1(SALU_CYCLE_1)
	v_cmp_gt_u32_e64 s2, s2, v0
	s_or_b32 s4, s4, s2
	s_and_saveexec_b32 s5, s4
	s_cbranch_execz .LBB41_24
; %bb.1:
	s_load_b256 s[4:11], s[0:1], 0x0
	s_lshl_b64 s[16:17], s[12:13], 2
	s_lshl_b64 s[18:19], s[12:13], 3
	s_wait_kmcnt 0x0
	s_add_nc_u64 s[16:17], s[4:5], s[16:17]
	s_add_nc_u64 s[8:9], s[8:9], s[18:19]
	s_clause 0x1
	global_load_b32 v1, v0, s[16:17] scale_offset
	global_load_b64 v[2:3], v0, s[8:9] scale_offset
	s_wait_xcnt 0x0
	s_load_b32 s9, s[0:1], 0x24
	v_add_nc_u32_e32 v0, s12, v0
	s_wait_kmcnt 0x0
	s_lshr_b32 s0, s9, 8
	s_delay_alu instid0(SALU_CYCLE_1) | instskip(NEXT) | instid1(SALU_CYCLE_1)
	s_sub_co_i32 s1, 0, s0
	s_and_b32 s1, s15, s1
	s_delay_alu instid0(SALU_CYCLE_1) | instskip(SKIP_4) | instid1(SALU_CYCLE_1)
	s_and_b32 s0, s1, s0
	s_lshl_b32 s13, s1, 8
	s_sub_co_i32 s1, 0, s9
	s_cmp_eq_u32 s0, 0
	s_cselect_b32 s0, -1, 0
	s_and_b32 s8, s0, exec_lo
	s_cselect_b32 s1, s9, s1
	s_mov_b32 s8, -1
	s_add_co_i32 s1, s1, s13
	s_delay_alu instid0(SALU_CYCLE_1)
	s_cmp_gt_u32 s3, s1
	s_cbranch_scc1 .LBB41_9
; %bb.2:
	s_and_b32 vcc_lo, exec_lo, s14
	s_cbranch_vccz .LBB41_6
; %bb.3:
	s_mov_b32 s8, exec_lo
	v_cmpx_gt_u32_e64 s3, v0
	s_cbranch_execz .LBB41_5
; %bb.4:
	s_wait_loadcnt 0x1
	global_store_b32 v0, v1, s[6:7] scale_offset
	s_wait_loadcnt 0x0
	global_store_b64 v0, v[2:3], s[10:11] scale_offset
.LBB41_5:
	s_wait_xcnt 0x0
	s_or_b32 exec_lo, exec_lo, s8
	s_mov_b32 s8, 0
.LBB41_6:
	s_delay_alu instid0(SALU_CYCLE_1)
	s_and_not1_b32 vcc_lo, exec_lo, s8
	s_cbranch_vccnz .LBB41_8
; %bb.7:
	s_wait_loadcnt 0x1
	global_store_b32 v0, v1, s[6:7] scale_offset
	s_wait_loadcnt 0x0
	global_store_b64 v0, v[2:3], s[10:11] scale_offset
.LBB41_8:
	s_mov_b32 s8, 0
.LBB41_9:
	s_delay_alu instid0(SALU_CYCLE_1)
	s_and_not1_b32 vcc_lo, exec_lo, s8
	s_cbranch_vccnz .LBB41_24
; %bb.10:
	s_min_u32 s8, s1, s3
	s_and_b32 vcc_lo, exec_lo, s14
	s_add_co_i32 s12, s13, s8
	s_add_co_i32 s9, s8, s9
	s_wait_xcnt 0x0
	v_subrev_nc_u32_e32 v0, s12, v0
	s_min_u32 s12, s13, s8
	s_min_u32 s3, s9, s3
	s_mov_b32 s9, -1
	s_delay_alu instid0(VALU_DEP_1)
	v_add_nc_u32_e32 v0, s12, v0
	s_cbranch_vccz .LBB41_18
; %bb.11:
	s_and_saveexec_b32 s9, s2
	s_cbranch_execz .LBB41_17
; %bb.12:
	v_mov_b32_e32 v4, s8
	s_cmp_ge_u32 s1, s3
	s_cbranch_scc1 .LBB41_16
; %bb.13:
	v_dual_mov_b32 v5, s3 :: v_dual_mov_b32 v4, s8
	s_mov_b32 s2, 0
.LBB41_14:                              ; =>This Inner Loop Header: Depth=1
	s_delay_alu instid0(VALU_DEP_1) | instskip(NEXT) | instid1(VALU_DEP_1)
	v_add_nc_u32_e32 v6, v4, v5
	v_lshrrev_b32_e32 v6, 1, v6
	global_load_b32 v7, v6, s[4:5] scale_offset
	s_wait_loadcnt 0x0
	v_cmp_gt_u32_e32 vcc_lo, v1, v7
	v_cndmask_b32_e64 v8, 0, 1, vcc_lo
	v_cmp_le_u32_e32 vcc_lo, v7, v1
	v_cndmask_b32_e64 v7, 0, 1, vcc_lo
	s_delay_alu instid0(VALU_DEP_1) | instskip(NEXT) | instid1(VALU_DEP_1)
	v_cndmask_b32_e64 v7, v7, v8, s0
	v_and_b32_e32 v7, 1, v7
	s_delay_alu instid0(VALU_DEP_1) | instskip(SKIP_1) | instid1(VALU_DEP_1)
	v_cmp_eq_u32_e32 vcc_lo, 1, v7
	v_dual_cndmask_b32 v5, v6, v5 :: v_dual_add_nc_u32 v8, 1, v6
	v_cndmask_b32_e32 v4, v4, v8, vcc_lo
	s_delay_alu instid0(VALU_DEP_1)
	v_cmp_ge_u32_e32 vcc_lo, v4, v5
	s_or_b32 s2, vcc_lo, s2
	s_wait_xcnt 0x0
	s_and_not1_b32 exec_lo, exec_lo, s2
	s_cbranch_execnz .LBB41_14
; %bb.15:
	s_or_b32 exec_lo, exec_lo, s2
.LBB41_16:
	s_delay_alu instid0(VALU_DEP_1)
	v_add_nc_u32_e32 v4, v4, v0
	s_wait_loadcnt 0x1
	global_store_b32 v4, v1, s[6:7] scale_offset
	s_wait_loadcnt 0x0
	global_store_b64 v4, v[2:3], s[10:11] scale_offset
.LBB41_17:
	s_wait_xcnt 0x0
	s_or_b32 exec_lo, exec_lo, s9
	s_mov_b32 s9, 0
.LBB41_18:
	s_delay_alu instid0(SALU_CYCLE_1)
	s_and_not1_b32 vcc_lo, exec_lo, s9
	s_cbranch_vccnz .LBB41_24
; %bb.19:
	v_mov_b32_e32 v4, s8
	s_cmp_ge_u32 s1, s3
	s_cbranch_scc1 .LBB41_23
; %bb.20:
	v_dual_mov_b32 v5, s3 :: v_dual_mov_b32 v4, s8
	s_mov_b32 s1, 0
.LBB41_21:                              ; =>This Inner Loop Header: Depth=1
	s_delay_alu instid0(VALU_DEP_1) | instskip(NEXT) | instid1(VALU_DEP_1)
	v_add_nc_u32_e32 v6, v4, v5
	v_lshrrev_b32_e32 v6, 1, v6
	global_load_b32 v7, v6, s[4:5] scale_offset
	s_wait_loadcnt 0x0
	v_cmp_gt_u32_e32 vcc_lo, v1, v7
	v_cndmask_b32_e64 v8, 0, 1, vcc_lo
	v_cmp_le_u32_e32 vcc_lo, v7, v1
	v_cndmask_b32_e64 v7, 0, 1, vcc_lo
	s_delay_alu instid0(VALU_DEP_1) | instskip(NEXT) | instid1(VALU_DEP_1)
	v_cndmask_b32_e64 v7, v7, v8, s0
	v_and_b32_e32 v7, 1, v7
	s_delay_alu instid0(VALU_DEP_1) | instskip(SKIP_1) | instid1(VALU_DEP_1)
	v_cmp_eq_u32_e32 vcc_lo, 1, v7
	v_dual_cndmask_b32 v5, v6, v5 :: v_dual_add_nc_u32 v8, 1, v6
	v_cndmask_b32_e32 v4, v4, v8, vcc_lo
	s_delay_alu instid0(VALU_DEP_1)
	v_cmp_ge_u32_e32 vcc_lo, v4, v5
	s_or_b32 s1, vcc_lo, s1
	s_wait_xcnt 0x0
	s_and_not1_b32 exec_lo, exec_lo, s1
	s_cbranch_execnz .LBB41_21
; %bb.22:
	s_or_b32 exec_lo, exec_lo, s1
.LBB41_23:
	s_delay_alu instid0(VALU_DEP_1)
	v_add_nc_u32_e32 v0, v4, v0
	s_wait_loadcnt 0x1
	global_store_b32 v0, v1, s[6:7] scale_offset
	s_wait_loadcnt 0x0
	global_store_b64 v0, v[2:3], s[10:11] scale_offset
.LBB41_24:
	s_endpgm
	.section	.rodata,"a",@progbits
	.p2align	6, 0x0
	.amdhsa_kernel _ZN7rocprim17ROCPRIM_400000_NS6detail17trampoline_kernelINS0_14default_configENS1_38merge_sort_block_merge_config_selectorIjN6thrust23THRUST_200600_302600_NS5tupleIffNS6_9null_typeES8_S8_S8_S8_S8_S8_S8_EEEEZZNS1_27merge_sort_block_merge_implIS3_NS6_6detail15normal_iteratorINS6_10device_ptrIjEEEENSD_INSE_IS9_EEEEjNS1_19radix_merge_compareILb0ELb0EjNS0_19identity_decomposerEEEEE10hipError_tT0_T1_T2_jT3_P12ihipStream_tbPNSt15iterator_traitsISN_E10value_typeEPNST_ISO_E10value_typeEPSP_NS1_7vsmem_tEENKUlT_SN_SO_SP_E_clIPjSG_PS9_SI_EESM_S12_SN_SO_SP_EUlS12_E1_NS1_11comp_targetILNS1_3genE0ELNS1_11target_archE4294967295ELNS1_3gpuE0ELNS1_3repE0EEENS1_36merge_oddeven_config_static_selectorELNS0_4arch9wavefront6targetE0EEEvSO_
		.amdhsa_group_segment_fixed_size 0
		.amdhsa_private_segment_fixed_size 0
		.amdhsa_kernarg_size 48
		.amdhsa_user_sgpr_count 2
		.amdhsa_user_sgpr_dispatch_ptr 0
		.amdhsa_user_sgpr_queue_ptr 0
		.amdhsa_user_sgpr_kernarg_segment_ptr 1
		.amdhsa_user_sgpr_dispatch_id 0
		.amdhsa_user_sgpr_kernarg_preload_length 0
		.amdhsa_user_sgpr_kernarg_preload_offset 0
		.amdhsa_user_sgpr_private_segment_size 0
		.amdhsa_wavefront_size32 1
		.amdhsa_uses_dynamic_stack 0
		.amdhsa_enable_private_segment 0
		.amdhsa_system_sgpr_workgroup_id_x 1
		.amdhsa_system_sgpr_workgroup_id_y 0
		.amdhsa_system_sgpr_workgroup_id_z 0
		.amdhsa_system_sgpr_workgroup_info 0
		.amdhsa_system_vgpr_workitem_id 0
		.amdhsa_next_free_vgpr 9
		.amdhsa_next_free_sgpr 20
		.amdhsa_named_barrier_count 0
		.amdhsa_reserve_vcc 1
		.amdhsa_float_round_mode_32 0
		.amdhsa_float_round_mode_16_64 0
		.amdhsa_float_denorm_mode_32 3
		.amdhsa_float_denorm_mode_16_64 3
		.amdhsa_fp16_overflow 0
		.amdhsa_memory_ordered 1
		.amdhsa_forward_progress 1
		.amdhsa_inst_pref_size 7
		.amdhsa_round_robin_scheduling 0
		.amdhsa_exception_fp_ieee_invalid_op 0
		.amdhsa_exception_fp_denorm_src 0
		.amdhsa_exception_fp_ieee_div_zero 0
		.amdhsa_exception_fp_ieee_overflow 0
		.amdhsa_exception_fp_ieee_underflow 0
		.amdhsa_exception_fp_ieee_inexact 0
		.amdhsa_exception_int_div_zero 0
	.end_amdhsa_kernel
	.section	.text._ZN7rocprim17ROCPRIM_400000_NS6detail17trampoline_kernelINS0_14default_configENS1_38merge_sort_block_merge_config_selectorIjN6thrust23THRUST_200600_302600_NS5tupleIffNS6_9null_typeES8_S8_S8_S8_S8_S8_S8_EEEEZZNS1_27merge_sort_block_merge_implIS3_NS6_6detail15normal_iteratorINS6_10device_ptrIjEEEENSD_INSE_IS9_EEEEjNS1_19radix_merge_compareILb0ELb0EjNS0_19identity_decomposerEEEEE10hipError_tT0_T1_T2_jT3_P12ihipStream_tbPNSt15iterator_traitsISN_E10value_typeEPNST_ISO_E10value_typeEPSP_NS1_7vsmem_tEENKUlT_SN_SO_SP_E_clIPjSG_PS9_SI_EESM_S12_SN_SO_SP_EUlS12_E1_NS1_11comp_targetILNS1_3genE0ELNS1_11target_archE4294967295ELNS1_3gpuE0ELNS1_3repE0EEENS1_36merge_oddeven_config_static_selectorELNS0_4arch9wavefront6targetE0EEEvSO_,"axG",@progbits,_ZN7rocprim17ROCPRIM_400000_NS6detail17trampoline_kernelINS0_14default_configENS1_38merge_sort_block_merge_config_selectorIjN6thrust23THRUST_200600_302600_NS5tupleIffNS6_9null_typeES8_S8_S8_S8_S8_S8_S8_EEEEZZNS1_27merge_sort_block_merge_implIS3_NS6_6detail15normal_iteratorINS6_10device_ptrIjEEEENSD_INSE_IS9_EEEEjNS1_19radix_merge_compareILb0ELb0EjNS0_19identity_decomposerEEEEE10hipError_tT0_T1_T2_jT3_P12ihipStream_tbPNSt15iterator_traitsISN_E10value_typeEPNST_ISO_E10value_typeEPSP_NS1_7vsmem_tEENKUlT_SN_SO_SP_E_clIPjSG_PS9_SI_EESM_S12_SN_SO_SP_EUlS12_E1_NS1_11comp_targetILNS1_3genE0ELNS1_11target_archE4294967295ELNS1_3gpuE0ELNS1_3repE0EEENS1_36merge_oddeven_config_static_selectorELNS0_4arch9wavefront6targetE0EEEvSO_,comdat
.Lfunc_end41:
	.size	_ZN7rocprim17ROCPRIM_400000_NS6detail17trampoline_kernelINS0_14default_configENS1_38merge_sort_block_merge_config_selectorIjN6thrust23THRUST_200600_302600_NS5tupleIffNS6_9null_typeES8_S8_S8_S8_S8_S8_S8_EEEEZZNS1_27merge_sort_block_merge_implIS3_NS6_6detail15normal_iteratorINS6_10device_ptrIjEEEENSD_INSE_IS9_EEEEjNS1_19radix_merge_compareILb0ELb0EjNS0_19identity_decomposerEEEEE10hipError_tT0_T1_T2_jT3_P12ihipStream_tbPNSt15iterator_traitsISN_E10value_typeEPNST_ISO_E10value_typeEPSP_NS1_7vsmem_tEENKUlT_SN_SO_SP_E_clIPjSG_PS9_SI_EESM_S12_SN_SO_SP_EUlS12_E1_NS1_11comp_targetILNS1_3genE0ELNS1_11target_archE4294967295ELNS1_3gpuE0ELNS1_3repE0EEENS1_36merge_oddeven_config_static_selectorELNS0_4arch9wavefront6targetE0EEEvSO_, .Lfunc_end41-_ZN7rocprim17ROCPRIM_400000_NS6detail17trampoline_kernelINS0_14default_configENS1_38merge_sort_block_merge_config_selectorIjN6thrust23THRUST_200600_302600_NS5tupleIffNS6_9null_typeES8_S8_S8_S8_S8_S8_S8_EEEEZZNS1_27merge_sort_block_merge_implIS3_NS6_6detail15normal_iteratorINS6_10device_ptrIjEEEENSD_INSE_IS9_EEEEjNS1_19radix_merge_compareILb0ELb0EjNS0_19identity_decomposerEEEEE10hipError_tT0_T1_T2_jT3_P12ihipStream_tbPNSt15iterator_traitsISN_E10value_typeEPNST_ISO_E10value_typeEPSP_NS1_7vsmem_tEENKUlT_SN_SO_SP_E_clIPjSG_PS9_SI_EESM_S12_SN_SO_SP_EUlS12_E1_NS1_11comp_targetILNS1_3genE0ELNS1_11target_archE4294967295ELNS1_3gpuE0ELNS1_3repE0EEENS1_36merge_oddeven_config_static_selectorELNS0_4arch9wavefront6targetE0EEEvSO_
                                        ; -- End function
	.set _ZN7rocprim17ROCPRIM_400000_NS6detail17trampoline_kernelINS0_14default_configENS1_38merge_sort_block_merge_config_selectorIjN6thrust23THRUST_200600_302600_NS5tupleIffNS6_9null_typeES8_S8_S8_S8_S8_S8_S8_EEEEZZNS1_27merge_sort_block_merge_implIS3_NS6_6detail15normal_iteratorINS6_10device_ptrIjEEEENSD_INSE_IS9_EEEEjNS1_19radix_merge_compareILb0ELb0EjNS0_19identity_decomposerEEEEE10hipError_tT0_T1_T2_jT3_P12ihipStream_tbPNSt15iterator_traitsISN_E10value_typeEPNST_ISO_E10value_typeEPSP_NS1_7vsmem_tEENKUlT_SN_SO_SP_E_clIPjSG_PS9_SI_EESM_S12_SN_SO_SP_EUlS12_E1_NS1_11comp_targetILNS1_3genE0ELNS1_11target_archE4294967295ELNS1_3gpuE0ELNS1_3repE0EEENS1_36merge_oddeven_config_static_selectorELNS0_4arch9wavefront6targetE0EEEvSO_.num_vgpr, 9
	.set _ZN7rocprim17ROCPRIM_400000_NS6detail17trampoline_kernelINS0_14default_configENS1_38merge_sort_block_merge_config_selectorIjN6thrust23THRUST_200600_302600_NS5tupleIffNS6_9null_typeES8_S8_S8_S8_S8_S8_S8_EEEEZZNS1_27merge_sort_block_merge_implIS3_NS6_6detail15normal_iteratorINS6_10device_ptrIjEEEENSD_INSE_IS9_EEEEjNS1_19radix_merge_compareILb0ELb0EjNS0_19identity_decomposerEEEEE10hipError_tT0_T1_T2_jT3_P12ihipStream_tbPNSt15iterator_traitsISN_E10value_typeEPNST_ISO_E10value_typeEPSP_NS1_7vsmem_tEENKUlT_SN_SO_SP_E_clIPjSG_PS9_SI_EESM_S12_SN_SO_SP_EUlS12_E1_NS1_11comp_targetILNS1_3genE0ELNS1_11target_archE4294967295ELNS1_3gpuE0ELNS1_3repE0EEENS1_36merge_oddeven_config_static_selectorELNS0_4arch9wavefront6targetE0EEEvSO_.num_agpr, 0
	.set _ZN7rocprim17ROCPRIM_400000_NS6detail17trampoline_kernelINS0_14default_configENS1_38merge_sort_block_merge_config_selectorIjN6thrust23THRUST_200600_302600_NS5tupleIffNS6_9null_typeES8_S8_S8_S8_S8_S8_S8_EEEEZZNS1_27merge_sort_block_merge_implIS3_NS6_6detail15normal_iteratorINS6_10device_ptrIjEEEENSD_INSE_IS9_EEEEjNS1_19radix_merge_compareILb0ELb0EjNS0_19identity_decomposerEEEEE10hipError_tT0_T1_T2_jT3_P12ihipStream_tbPNSt15iterator_traitsISN_E10value_typeEPNST_ISO_E10value_typeEPSP_NS1_7vsmem_tEENKUlT_SN_SO_SP_E_clIPjSG_PS9_SI_EESM_S12_SN_SO_SP_EUlS12_E1_NS1_11comp_targetILNS1_3genE0ELNS1_11target_archE4294967295ELNS1_3gpuE0ELNS1_3repE0EEENS1_36merge_oddeven_config_static_selectorELNS0_4arch9wavefront6targetE0EEEvSO_.numbered_sgpr, 20
	.set _ZN7rocprim17ROCPRIM_400000_NS6detail17trampoline_kernelINS0_14default_configENS1_38merge_sort_block_merge_config_selectorIjN6thrust23THRUST_200600_302600_NS5tupleIffNS6_9null_typeES8_S8_S8_S8_S8_S8_S8_EEEEZZNS1_27merge_sort_block_merge_implIS3_NS6_6detail15normal_iteratorINS6_10device_ptrIjEEEENSD_INSE_IS9_EEEEjNS1_19radix_merge_compareILb0ELb0EjNS0_19identity_decomposerEEEEE10hipError_tT0_T1_T2_jT3_P12ihipStream_tbPNSt15iterator_traitsISN_E10value_typeEPNST_ISO_E10value_typeEPSP_NS1_7vsmem_tEENKUlT_SN_SO_SP_E_clIPjSG_PS9_SI_EESM_S12_SN_SO_SP_EUlS12_E1_NS1_11comp_targetILNS1_3genE0ELNS1_11target_archE4294967295ELNS1_3gpuE0ELNS1_3repE0EEENS1_36merge_oddeven_config_static_selectorELNS0_4arch9wavefront6targetE0EEEvSO_.num_named_barrier, 0
	.set _ZN7rocprim17ROCPRIM_400000_NS6detail17trampoline_kernelINS0_14default_configENS1_38merge_sort_block_merge_config_selectorIjN6thrust23THRUST_200600_302600_NS5tupleIffNS6_9null_typeES8_S8_S8_S8_S8_S8_S8_EEEEZZNS1_27merge_sort_block_merge_implIS3_NS6_6detail15normal_iteratorINS6_10device_ptrIjEEEENSD_INSE_IS9_EEEEjNS1_19radix_merge_compareILb0ELb0EjNS0_19identity_decomposerEEEEE10hipError_tT0_T1_T2_jT3_P12ihipStream_tbPNSt15iterator_traitsISN_E10value_typeEPNST_ISO_E10value_typeEPSP_NS1_7vsmem_tEENKUlT_SN_SO_SP_E_clIPjSG_PS9_SI_EESM_S12_SN_SO_SP_EUlS12_E1_NS1_11comp_targetILNS1_3genE0ELNS1_11target_archE4294967295ELNS1_3gpuE0ELNS1_3repE0EEENS1_36merge_oddeven_config_static_selectorELNS0_4arch9wavefront6targetE0EEEvSO_.private_seg_size, 0
	.set _ZN7rocprim17ROCPRIM_400000_NS6detail17trampoline_kernelINS0_14default_configENS1_38merge_sort_block_merge_config_selectorIjN6thrust23THRUST_200600_302600_NS5tupleIffNS6_9null_typeES8_S8_S8_S8_S8_S8_S8_EEEEZZNS1_27merge_sort_block_merge_implIS3_NS6_6detail15normal_iteratorINS6_10device_ptrIjEEEENSD_INSE_IS9_EEEEjNS1_19radix_merge_compareILb0ELb0EjNS0_19identity_decomposerEEEEE10hipError_tT0_T1_T2_jT3_P12ihipStream_tbPNSt15iterator_traitsISN_E10value_typeEPNST_ISO_E10value_typeEPSP_NS1_7vsmem_tEENKUlT_SN_SO_SP_E_clIPjSG_PS9_SI_EESM_S12_SN_SO_SP_EUlS12_E1_NS1_11comp_targetILNS1_3genE0ELNS1_11target_archE4294967295ELNS1_3gpuE0ELNS1_3repE0EEENS1_36merge_oddeven_config_static_selectorELNS0_4arch9wavefront6targetE0EEEvSO_.uses_vcc, 1
	.set _ZN7rocprim17ROCPRIM_400000_NS6detail17trampoline_kernelINS0_14default_configENS1_38merge_sort_block_merge_config_selectorIjN6thrust23THRUST_200600_302600_NS5tupleIffNS6_9null_typeES8_S8_S8_S8_S8_S8_S8_EEEEZZNS1_27merge_sort_block_merge_implIS3_NS6_6detail15normal_iteratorINS6_10device_ptrIjEEEENSD_INSE_IS9_EEEEjNS1_19radix_merge_compareILb0ELb0EjNS0_19identity_decomposerEEEEE10hipError_tT0_T1_T2_jT3_P12ihipStream_tbPNSt15iterator_traitsISN_E10value_typeEPNST_ISO_E10value_typeEPSP_NS1_7vsmem_tEENKUlT_SN_SO_SP_E_clIPjSG_PS9_SI_EESM_S12_SN_SO_SP_EUlS12_E1_NS1_11comp_targetILNS1_3genE0ELNS1_11target_archE4294967295ELNS1_3gpuE0ELNS1_3repE0EEENS1_36merge_oddeven_config_static_selectorELNS0_4arch9wavefront6targetE0EEEvSO_.uses_flat_scratch, 0
	.set _ZN7rocprim17ROCPRIM_400000_NS6detail17trampoline_kernelINS0_14default_configENS1_38merge_sort_block_merge_config_selectorIjN6thrust23THRUST_200600_302600_NS5tupleIffNS6_9null_typeES8_S8_S8_S8_S8_S8_S8_EEEEZZNS1_27merge_sort_block_merge_implIS3_NS6_6detail15normal_iteratorINS6_10device_ptrIjEEEENSD_INSE_IS9_EEEEjNS1_19radix_merge_compareILb0ELb0EjNS0_19identity_decomposerEEEEE10hipError_tT0_T1_T2_jT3_P12ihipStream_tbPNSt15iterator_traitsISN_E10value_typeEPNST_ISO_E10value_typeEPSP_NS1_7vsmem_tEENKUlT_SN_SO_SP_E_clIPjSG_PS9_SI_EESM_S12_SN_SO_SP_EUlS12_E1_NS1_11comp_targetILNS1_3genE0ELNS1_11target_archE4294967295ELNS1_3gpuE0ELNS1_3repE0EEENS1_36merge_oddeven_config_static_selectorELNS0_4arch9wavefront6targetE0EEEvSO_.has_dyn_sized_stack, 0
	.set _ZN7rocprim17ROCPRIM_400000_NS6detail17trampoline_kernelINS0_14default_configENS1_38merge_sort_block_merge_config_selectorIjN6thrust23THRUST_200600_302600_NS5tupleIffNS6_9null_typeES8_S8_S8_S8_S8_S8_S8_EEEEZZNS1_27merge_sort_block_merge_implIS3_NS6_6detail15normal_iteratorINS6_10device_ptrIjEEEENSD_INSE_IS9_EEEEjNS1_19radix_merge_compareILb0ELb0EjNS0_19identity_decomposerEEEEE10hipError_tT0_T1_T2_jT3_P12ihipStream_tbPNSt15iterator_traitsISN_E10value_typeEPNST_ISO_E10value_typeEPSP_NS1_7vsmem_tEENKUlT_SN_SO_SP_E_clIPjSG_PS9_SI_EESM_S12_SN_SO_SP_EUlS12_E1_NS1_11comp_targetILNS1_3genE0ELNS1_11target_archE4294967295ELNS1_3gpuE0ELNS1_3repE0EEENS1_36merge_oddeven_config_static_selectorELNS0_4arch9wavefront6targetE0EEEvSO_.has_recursion, 0
	.set _ZN7rocprim17ROCPRIM_400000_NS6detail17trampoline_kernelINS0_14default_configENS1_38merge_sort_block_merge_config_selectorIjN6thrust23THRUST_200600_302600_NS5tupleIffNS6_9null_typeES8_S8_S8_S8_S8_S8_S8_EEEEZZNS1_27merge_sort_block_merge_implIS3_NS6_6detail15normal_iteratorINS6_10device_ptrIjEEEENSD_INSE_IS9_EEEEjNS1_19radix_merge_compareILb0ELb0EjNS0_19identity_decomposerEEEEE10hipError_tT0_T1_T2_jT3_P12ihipStream_tbPNSt15iterator_traitsISN_E10value_typeEPNST_ISO_E10value_typeEPSP_NS1_7vsmem_tEENKUlT_SN_SO_SP_E_clIPjSG_PS9_SI_EESM_S12_SN_SO_SP_EUlS12_E1_NS1_11comp_targetILNS1_3genE0ELNS1_11target_archE4294967295ELNS1_3gpuE0ELNS1_3repE0EEENS1_36merge_oddeven_config_static_selectorELNS0_4arch9wavefront6targetE0EEEvSO_.has_indirect_call, 0
	.section	.AMDGPU.csdata,"",@progbits
; Kernel info:
; codeLenInByte = 824
; TotalNumSgprs: 22
; NumVgprs: 9
; ScratchSize: 0
; MemoryBound: 0
; FloatMode: 240
; IeeeMode: 1
; LDSByteSize: 0 bytes/workgroup (compile time only)
; SGPRBlocks: 0
; VGPRBlocks: 0
; NumSGPRsForWavesPerEU: 22
; NumVGPRsForWavesPerEU: 9
; NamedBarCnt: 0
; Occupancy: 16
; WaveLimiterHint : 0
; COMPUTE_PGM_RSRC2:SCRATCH_EN: 0
; COMPUTE_PGM_RSRC2:USER_SGPR: 2
; COMPUTE_PGM_RSRC2:TRAP_HANDLER: 0
; COMPUTE_PGM_RSRC2:TGID_X_EN: 1
; COMPUTE_PGM_RSRC2:TGID_Y_EN: 0
; COMPUTE_PGM_RSRC2:TGID_Z_EN: 0
; COMPUTE_PGM_RSRC2:TIDIG_COMP_CNT: 0
	.section	.text._ZN7rocprim17ROCPRIM_400000_NS6detail17trampoline_kernelINS0_14default_configENS1_38merge_sort_block_merge_config_selectorIjN6thrust23THRUST_200600_302600_NS5tupleIffNS6_9null_typeES8_S8_S8_S8_S8_S8_S8_EEEEZZNS1_27merge_sort_block_merge_implIS3_NS6_6detail15normal_iteratorINS6_10device_ptrIjEEEENSD_INSE_IS9_EEEEjNS1_19radix_merge_compareILb0ELb0EjNS0_19identity_decomposerEEEEE10hipError_tT0_T1_T2_jT3_P12ihipStream_tbPNSt15iterator_traitsISN_E10value_typeEPNST_ISO_E10value_typeEPSP_NS1_7vsmem_tEENKUlT_SN_SO_SP_E_clIPjSG_PS9_SI_EESM_S12_SN_SO_SP_EUlS12_E1_NS1_11comp_targetILNS1_3genE10ELNS1_11target_archE1201ELNS1_3gpuE5ELNS1_3repE0EEENS1_36merge_oddeven_config_static_selectorELNS0_4arch9wavefront6targetE0EEEvSO_,"axG",@progbits,_ZN7rocprim17ROCPRIM_400000_NS6detail17trampoline_kernelINS0_14default_configENS1_38merge_sort_block_merge_config_selectorIjN6thrust23THRUST_200600_302600_NS5tupleIffNS6_9null_typeES8_S8_S8_S8_S8_S8_S8_EEEEZZNS1_27merge_sort_block_merge_implIS3_NS6_6detail15normal_iteratorINS6_10device_ptrIjEEEENSD_INSE_IS9_EEEEjNS1_19radix_merge_compareILb0ELb0EjNS0_19identity_decomposerEEEEE10hipError_tT0_T1_T2_jT3_P12ihipStream_tbPNSt15iterator_traitsISN_E10value_typeEPNST_ISO_E10value_typeEPSP_NS1_7vsmem_tEENKUlT_SN_SO_SP_E_clIPjSG_PS9_SI_EESM_S12_SN_SO_SP_EUlS12_E1_NS1_11comp_targetILNS1_3genE10ELNS1_11target_archE1201ELNS1_3gpuE5ELNS1_3repE0EEENS1_36merge_oddeven_config_static_selectorELNS0_4arch9wavefront6targetE0EEEvSO_,comdat
	.protected	_ZN7rocprim17ROCPRIM_400000_NS6detail17trampoline_kernelINS0_14default_configENS1_38merge_sort_block_merge_config_selectorIjN6thrust23THRUST_200600_302600_NS5tupleIffNS6_9null_typeES8_S8_S8_S8_S8_S8_S8_EEEEZZNS1_27merge_sort_block_merge_implIS3_NS6_6detail15normal_iteratorINS6_10device_ptrIjEEEENSD_INSE_IS9_EEEEjNS1_19radix_merge_compareILb0ELb0EjNS0_19identity_decomposerEEEEE10hipError_tT0_T1_T2_jT3_P12ihipStream_tbPNSt15iterator_traitsISN_E10value_typeEPNST_ISO_E10value_typeEPSP_NS1_7vsmem_tEENKUlT_SN_SO_SP_E_clIPjSG_PS9_SI_EESM_S12_SN_SO_SP_EUlS12_E1_NS1_11comp_targetILNS1_3genE10ELNS1_11target_archE1201ELNS1_3gpuE5ELNS1_3repE0EEENS1_36merge_oddeven_config_static_selectorELNS0_4arch9wavefront6targetE0EEEvSO_ ; -- Begin function _ZN7rocprim17ROCPRIM_400000_NS6detail17trampoline_kernelINS0_14default_configENS1_38merge_sort_block_merge_config_selectorIjN6thrust23THRUST_200600_302600_NS5tupleIffNS6_9null_typeES8_S8_S8_S8_S8_S8_S8_EEEEZZNS1_27merge_sort_block_merge_implIS3_NS6_6detail15normal_iteratorINS6_10device_ptrIjEEEENSD_INSE_IS9_EEEEjNS1_19radix_merge_compareILb0ELb0EjNS0_19identity_decomposerEEEEE10hipError_tT0_T1_T2_jT3_P12ihipStream_tbPNSt15iterator_traitsISN_E10value_typeEPNST_ISO_E10value_typeEPSP_NS1_7vsmem_tEENKUlT_SN_SO_SP_E_clIPjSG_PS9_SI_EESM_S12_SN_SO_SP_EUlS12_E1_NS1_11comp_targetILNS1_3genE10ELNS1_11target_archE1201ELNS1_3gpuE5ELNS1_3repE0EEENS1_36merge_oddeven_config_static_selectorELNS0_4arch9wavefront6targetE0EEEvSO_
	.globl	_ZN7rocprim17ROCPRIM_400000_NS6detail17trampoline_kernelINS0_14default_configENS1_38merge_sort_block_merge_config_selectorIjN6thrust23THRUST_200600_302600_NS5tupleIffNS6_9null_typeES8_S8_S8_S8_S8_S8_S8_EEEEZZNS1_27merge_sort_block_merge_implIS3_NS6_6detail15normal_iteratorINS6_10device_ptrIjEEEENSD_INSE_IS9_EEEEjNS1_19radix_merge_compareILb0ELb0EjNS0_19identity_decomposerEEEEE10hipError_tT0_T1_T2_jT3_P12ihipStream_tbPNSt15iterator_traitsISN_E10value_typeEPNST_ISO_E10value_typeEPSP_NS1_7vsmem_tEENKUlT_SN_SO_SP_E_clIPjSG_PS9_SI_EESM_S12_SN_SO_SP_EUlS12_E1_NS1_11comp_targetILNS1_3genE10ELNS1_11target_archE1201ELNS1_3gpuE5ELNS1_3repE0EEENS1_36merge_oddeven_config_static_selectorELNS0_4arch9wavefront6targetE0EEEvSO_
	.p2align	8
	.type	_ZN7rocprim17ROCPRIM_400000_NS6detail17trampoline_kernelINS0_14default_configENS1_38merge_sort_block_merge_config_selectorIjN6thrust23THRUST_200600_302600_NS5tupleIffNS6_9null_typeES8_S8_S8_S8_S8_S8_S8_EEEEZZNS1_27merge_sort_block_merge_implIS3_NS6_6detail15normal_iteratorINS6_10device_ptrIjEEEENSD_INSE_IS9_EEEEjNS1_19radix_merge_compareILb0ELb0EjNS0_19identity_decomposerEEEEE10hipError_tT0_T1_T2_jT3_P12ihipStream_tbPNSt15iterator_traitsISN_E10value_typeEPNST_ISO_E10value_typeEPSP_NS1_7vsmem_tEENKUlT_SN_SO_SP_E_clIPjSG_PS9_SI_EESM_S12_SN_SO_SP_EUlS12_E1_NS1_11comp_targetILNS1_3genE10ELNS1_11target_archE1201ELNS1_3gpuE5ELNS1_3repE0EEENS1_36merge_oddeven_config_static_selectorELNS0_4arch9wavefront6targetE0EEEvSO_,@function
_ZN7rocprim17ROCPRIM_400000_NS6detail17trampoline_kernelINS0_14default_configENS1_38merge_sort_block_merge_config_selectorIjN6thrust23THRUST_200600_302600_NS5tupleIffNS6_9null_typeES8_S8_S8_S8_S8_S8_S8_EEEEZZNS1_27merge_sort_block_merge_implIS3_NS6_6detail15normal_iteratorINS6_10device_ptrIjEEEENSD_INSE_IS9_EEEEjNS1_19radix_merge_compareILb0ELb0EjNS0_19identity_decomposerEEEEE10hipError_tT0_T1_T2_jT3_P12ihipStream_tbPNSt15iterator_traitsISN_E10value_typeEPNST_ISO_E10value_typeEPSP_NS1_7vsmem_tEENKUlT_SN_SO_SP_E_clIPjSG_PS9_SI_EESM_S12_SN_SO_SP_EUlS12_E1_NS1_11comp_targetILNS1_3genE10ELNS1_11target_archE1201ELNS1_3gpuE5ELNS1_3repE0EEENS1_36merge_oddeven_config_static_selectorELNS0_4arch9wavefront6targetE0EEEvSO_: ; @_ZN7rocprim17ROCPRIM_400000_NS6detail17trampoline_kernelINS0_14default_configENS1_38merge_sort_block_merge_config_selectorIjN6thrust23THRUST_200600_302600_NS5tupleIffNS6_9null_typeES8_S8_S8_S8_S8_S8_S8_EEEEZZNS1_27merge_sort_block_merge_implIS3_NS6_6detail15normal_iteratorINS6_10device_ptrIjEEEENSD_INSE_IS9_EEEEjNS1_19radix_merge_compareILb0ELb0EjNS0_19identity_decomposerEEEEE10hipError_tT0_T1_T2_jT3_P12ihipStream_tbPNSt15iterator_traitsISN_E10value_typeEPNST_ISO_E10value_typeEPSP_NS1_7vsmem_tEENKUlT_SN_SO_SP_E_clIPjSG_PS9_SI_EESM_S12_SN_SO_SP_EUlS12_E1_NS1_11comp_targetILNS1_3genE10ELNS1_11target_archE1201ELNS1_3gpuE5ELNS1_3repE0EEENS1_36merge_oddeven_config_static_selectorELNS0_4arch9wavefront6targetE0EEEvSO_
; %bb.0:
	.section	.rodata,"a",@progbits
	.p2align	6, 0x0
	.amdhsa_kernel _ZN7rocprim17ROCPRIM_400000_NS6detail17trampoline_kernelINS0_14default_configENS1_38merge_sort_block_merge_config_selectorIjN6thrust23THRUST_200600_302600_NS5tupleIffNS6_9null_typeES8_S8_S8_S8_S8_S8_S8_EEEEZZNS1_27merge_sort_block_merge_implIS3_NS6_6detail15normal_iteratorINS6_10device_ptrIjEEEENSD_INSE_IS9_EEEEjNS1_19radix_merge_compareILb0ELb0EjNS0_19identity_decomposerEEEEE10hipError_tT0_T1_T2_jT3_P12ihipStream_tbPNSt15iterator_traitsISN_E10value_typeEPNST_ISO_E10value_typeEPSP_NS1_7vsmem_tEENKUlT_SN_SO_SP_E_clIPjSG_PS9_SI_EESM_S12_SN_SO_SP_EUlS12_E1_NS1_11comp_targetILNS1_3genE10ELNS1_11target_archE1201ELNS1_3gpuE5ELNS1_3repE0EEENS1_36merge_oddeven_config_static_selectorELNS0_4arch9wavefront6targetE0EEEvSO_
		.amdhsa_group_segment_fixed_size 0
		.amdhsa_private_segment_fixed_size 0
		.amdhsa_kernarg_size 48
		.amdhsa_user_sgpr_count 2
		.amdhsa_user_sgpr_dispatch_ptr 0
		.amdhsa_user_sgpr_queue_ptr 0
		.amdhsa_user_sgpr_kernarg_segment_ptr 1
		.amdhsa_user_sgpr_dispatch_id 0
		.amdhsa_user_sgpr_kernarg_preload_length 0
		.amdhsa_user_sgpr_kernarg_preload_offset 0
		.amdhsa_user_sgpr_private_segment_size 0
		.amdhsa_wavefront_size32 1
		.amdhsa_uses_dynamic_stack 0
		.amdhsa_enable_private_segment 0
		.amdhsa_system_sgpr_workgroup_id_x 1
		.amdhsa_system_sgpr_workgroup_id_y 0
		.amdhsa_system_sgpr_workgroup_id_z 0
		.amdhsa_system_sgpr_workgroup_info 0
		.amdhsa_system_vgpr_workitem_id 0
		.amdhsa_next_free_vgpr 1
		.amdhsa_next_free_sgpr 1
		.amdhsa_named_barrier_count 0
		.amdhsa_reserve_vcc 0
		.amdhsa_float_round_mode_32 0
		.amdhsa_float_round_mode_16_64 0
		.amdhsa_float_denorm_mode_32 3
		.amdhsa_float_denorm_mode_16_64 3
		.amdhsa_fp16_overflow 0
		.amdhsa_memory_ordered 1
		.amdhsa_forward_progress 1
		.amdhsa_inst_pref_size 0
		.amdhsa_round_robin_scheduling 0
		.amdhsa_exception_fp_ieee_invalid_op 0
		.amdhsa_exception_fp_denorm_src 0
		.amdhsa_exception_fp_ieee_div_zero 0
		.amdhsa_exception_fp_ieee_overflow 0
		.amdhsa_exception_fp_ieee_underflow 0
		.amdhsa_exception_fp_ieee_inexact 0
		.amdhsa_exception_int_div_zero 0
	.end_amdhsa_kernel
	.section	.text._ZN7rocprim17ROCPRIM_400000_NS6detail17trampoline_kernelINS0_14default_configENS1_38merge_sort_block_merge_config_selectorIjN6thrust23THRUST_200600_302600_NS5tupleIffNS6_9null_typeES8_S8_S8_S8_S8_S8_S8_EEEEZZNS1_27merge_sort_block_merge_implIS3_NS6_6detail15normal_iteratorINS6_10device_ptrIjEEEENSD_INSE_IS9_EEEEjNS1_19radix_merge_compareILb0ELb0EjNS0_19identity_decomposerEEEEE10hipError_tT0_T1_T2_jT3_P12ihipStream_tbPNSt15iterator_traitsISN_E10value_typeEPNST_ISO_E10value_typeEPSP_NS1_7vsmem_tEENKUlT_SN_SO_SP_E_clIPjSG_PS9_SI_EESM_S12_SN_SO_SP_EUlS12_E1_NS1_11comp_targetILNS1_3genE10ELNS1_11target_archE1201ELNS1_3gpuE5ELNS1_3repE0EEENS1_36merge_oddeven_config_static_selectorELNS0_4arch9wavefront6targetE0EEEvSO_,"axG",@progbits,_ZN7rocprim17ROCPRIM_400000_NS6detail17trampoline_kernelINS0_14default_configENS1_38merge_sort_block_merge_config_selectorIjN6thrust23THRUST_200600_302600_NS5tupleIffNS6_9null_typeES8_S8_S8_S8_S8_S8_S8_EEEEZZNS1_27merge_sort_block_merge_implIS3_NS6_6detail15normal_iteratorINS6_10device_ptrIjEEEENSD_INSE_IS9_EEEEjNS1_19radix_merge_compareILb0ELb0EjNS0_19identity_decomposerEEEEE10hipError_tT0_T1_T2_jT3_P12ihipStream_tbPNSt15iterator_traitsISN_E10value_typeEPNST_ISO_E10value_typeEPSP_NS1_7vsmem_tEENKUlT_SN_SO_SP_E_clIPjSG_PS9_SI_EESM_S12_SN_SO_SP_EUlS12_E1_NS1_11comp_targetILNS1_3genE10ELNS1_11target_archE1201ELNS1_3gpuE5ELNS1_3repE0EEENS1_36merge_oddeven_config_static_selectorELNS0_4arch9wavefront6targetE0EEEvSO_,comdat
.Lfunc_end42:
	.size	_ZN7rocprim17ROCPRIM_400000_NS6detail17trampoline_kernelINS0_14default_configENS1_38merge_sort_block_merge_config_selectorIjN6thrust23THRUST_200600_302600_NS5tupleIffNS6_9null_typeES8_S8_S8_S8_S8_S8_S8_EEEEZZNS1_27merge_sort_block_merge_implIS3_NS6_6detail15normal_iteratorINS6_10device_ptrIjEEEENSD_INSE_IS9_EEEEjNS1_19radix_merge_compareILb0ELb0EjNS0_19identity_decomposerEEEEE10hipError_tT0_T1_T2_jT3_P12ihipStream_tbPNSt15iterator_traitsISN_E10value_typeEPNST_ISO_E10value_typeEPSP_NS1_7vsmem_tEENKUlT_SN_SO_SP_E_clIPjSG_PS9_SI_EESM_S12_SN_SO_SP_EUlS12_E1_NS1_11comp_targetILNS1_3genE10ELNS1_11target_archE1201ELNS1_3gpuE5ELNS1_3repE0EEENS1_36merge_oddeven_config_static_selectorELNS0_4arch9wavefront6targetE0EEEvSO_, .Lfunc_end42-_ZN7rocprim17ROCPRIM_400000_NS6detail17trampoline_kernelINS0_14default_configENS1_38merge_sort_block_merge_config_selectorIjN6thrust23THRUST_200600_302600_NS5tupleIffNS6_9null_typeES8_S8_S8_S8_S8_S8_S8_EEEEZZNS1_27merge_sort_block_merge_implIS3_NS6_6detail15normal_iteratorINS6_10device_ptrIjEEEENSD_INSE_IS9_EEEEjNS1_19radix_merge_compareILb0ELb0EjNS0_19identity_decomposerEEEEE10hipError_tT0_T1_T2_jT3_P12ihipStream_tbPNSt15iterator_traitsISN_E10value_typeEPNST_ISO_E10value_typeEPSP_NS1_7vsmem_tEENKUlT_SN_SO_SP_E_clIPjSG_PS9_SI_EESM_S12_SN_SO_SP_EUlS12_E1_NS1_11comp_targetILNS1_3genE10ELNS1_11target_archE1201ELNS1_3gpuE5ELNS1_3repE0EEENS1_36merge_oddeven_config_static_selectorELNS0_4arch9wavefront6targetE0EEEvSO_
                                        ; -- End function
	.set _ZN7rocprim17ROCPRIM_400000_NS6detail17trampoline_kernelINS0_14default_configENS1_38merge_sort_block_merge_config_selectorIjN6thrust23THRUST_200600_302600_NS5tupleIffNS6_9null_typeES8_S8_S8_S8_S8_S8_S8_EEEEZZNS1_27merge_sort_block_merge_implIS3_NS6_6detail15normal_iteratorINS6_10device_ptrIjEEEENSD_INSE_IS9_EEEEjNS1_19radix_merge_compareILb0ELb0EjNS0_19identity_decomposerEEEEE10hipError_tT0_T1_T2_jT3_P12ihipStream_tbPNSt15iterator_traitsISN_E10value_typeEPNST_ISO_E10value_typeEPSP_NS1_7vsmem_tEENKUlT_SN_SO_SP_E_clIPjSG_PS9_SI_EESM_S12_SN_SO_SP_EUlS12_E1_NS1_11comp_targetILNS1_3genE10ELNS1_11target_archE1201ELNS1_3gpuE5ELNS1_3repE0EEENS1_36merge_oddeven_config_static_selectorELNS0_4arch9wavefront6targetE0EEEvSO_.num_vgpr, 0
	.set _ZN7rocprim17ROCPRIM_400000_NS6detail17trampoline_kernelINS0_14default_configENS1_38merge_sort_block_merge_config_selectorIjN6thrust23THRUST_200600_302600_NS5tupleIffNS6_9null_typeES8_S8_S8_S8_S8_S8_S8_EEEEZZNS1_27merge_sort_block_merge_implIS3_NS6_6detail15normal_iteratorINS6_10device_ptrIjEEEENSD_INSE_IS9_EEEEjNS1_19radix_merge_compareILb0ELb0EjNS0_19identity_decomposerEEEEE10hipError_tT0_T1_T2_jT3_P12ihipStream_tbPNSt15iterator_traitsISN_E10value_typeEPNST_ISO_E10value_typeEPSP_NS1_7vsmem_tEENKUlT_SN_SO_SP_E_clIPjSG_PS9_SI_EESM_S12_SN_SO_SP_EUlS12_E1_NS1_11comp_targetILNS1_3genE10ELNS1_11target_archE1201ELNS1_3gpuE5ELNS1_3repE0EEENS1_36merge_oddeven_config_static_selectorELNS0_4arch9wavefront6targetE0EEEvSO_.num_agpr, 0
	.set _ZN7rocprim17ROCPRIM_400000_NS6detail17trampoline_kernelINS0_14default_configENS1_38merge_sort_block_merge_config_selectorIjN6thrust23THRUST_200600_302600_NS5tupleIffNS6_9null_typeES8_S8_S8_S8_S8_S8_S8_EEEEZZNS1_27merge_sort_block_merge_implIS3_NS6_6detail15normal_iteratorINS6_10device_ptrIjEEEENSD_INSE_IS9_EEEEjNS1_19radix_merge_compareILb0ELb0EjNS0_19identity_decomposerEEEEE10hipError_tT0_T1_T2_jT3_P12ihipStream_tbPNSt15iterator_traitsISN_E10value_typeEPNST_ISO_E10value_typeEPSP_NS1_7vsmem_tEENKUlT_SN_SO_SP_E_clIPjSG_PS9_SI_EESM_S12_SN_SO_SP_EUlS12_E1_NS1_11comp_targetILNS1_3genE10ELNS1_11target_archE1201ELNS1_3gpuE5ELNS1_3repE0EEENS1_36merge_oddeven_config_static_selectorELNS0_4arch9wavefront6targetE0EEEvSO_.numbered_sgpr, 0
	.set _ZN7rocprim17ROCPRIM_400000_NS6detail17trampoline_kernelINS0_14default_configENS1_38merge_sort_block_merge_config_selectorIjN6thrust23THRUST_200600_302600_NS5tupleIffNS6_9null_typeES8_S8_S8_S8_S8_S8_S8_EEEEZZNS1_27merge_sort_block_merge_implIS3_NS6_6detail15normal_iteratorINS6_10device_ptrIjEEEENSD_INSE_IS9_EEEEjNS1_19radix_merge_compareILb0ELb0EjNS0_19identity_decomposerEEEEE10hipError_tT0_T1_T2_jT3_P12ihipStream_tbPNSt15iterator_traitsISN_E10value_typeEPNST_ISO_E10value_typeEPSP_NS1_7vsmem_tEENKUlT_SN_SO_SP_E_clIPjSG_PS9_SI_EESM_S12_SN_SO_SP_EUlS12_E1_NS1_11comp_targetILNS1_3genE10ELNS1_11target_archE1201ELNS1_3gpuE5ELNS1_3repE0EEENS1_36merge_oddeven_config_static_selectorELNS0_4arch9wavefront6targetE0EEEvSO_.num_named_barrier, 0
	.set _ZN7rocprim17ROCPRIM_400000_NS6detail17trampoline_kernelINS0_14default_configENS1_38merge_sort_block_merge_config_selectorIjN6thrust23THRUST_200600_302600_NS5tupleIffNS6_9null_typeES8_S8_S8_S8_S8_S8_S8_EEEEZZNS1_27merge_sort_block_merge_implIS3_NS6_6detail15normal_iteratorINS6_10device_ptrIjEEEENSD_INSE_IS9_EEEEjNS1_19radix_merge_compareILb0ELb0EjNS0_19identity_decomposerEEEEE10hipError_tT0_T1_T2_jT3_P12ihipStream_tbPNSt15iterator_traitsISN_E10value_typeEPNST_ISO_E10value_typeEPSP_NS1_7vsmem_tEENKUlT_SN_SO_SP_E_clIPjSG_PS9_SI_EESM_S12_SN_SO_SP_EUlS12_E1_NS1_11comp_targetILNS1_3genE10ELNS1_11target_archE1201ELNS1_3gpuE5ELNS1_3repE0EEENS1_36merge_oddeven_config_static_selectorELNS0_4arch9wavefront6targetE0EEEvSO_.private_seg_size, 0
	.set _ZN7rocprim17ROCPRIM_400000_NS6detail17trampoline_kernelINS0_14default_configENS1_38merge_sort_block_merge_config_selectorIjN6thrust23THRUST_200600_302600_NS5tupleIffNS6_9null_typeES8_S8_S8_S8_S8_S8_S8_EEEEZZNS1_27merge_sort_block_merge_implIS3_NS6_6detail15normal_iteratorINS6_10device_ptrIjEEEENSD_INSE_IS9_EEEEjNS1_19radix_merge_compareILb0ELb0EjNS0_19identity_decomposerEEEEE10hipError_tT0_T1_T2_jT3_P12ihipStream_tbPNSt15iterator_traitsISN_E10value_typeEPNST_ISO_E10value_typeEPSP_NS1_7vsmem_tEENKUlT_SN_SO_SP_E_clIPjSG_PS9_SI_EESM_S12_SN_SO_SP_EUlS12_E1_NS1_11comp_targetILNS1_3genE10ELNS1_11target_archE1201ELNS1_3gpuE5ELNS1_3repE0EEENS1_36merge_oddeven_config_static_selectorELNS0_4arch9wavefront6targetE0EEEvSO_.uses_vcc, 0
	.set _ZN7rocprim17ROCPRIM_400000_NS6detail17trampoline_kernelINS0_14default_configENS1_38merge_sort_block_merge_config_selectorIjN6thrust23THRUST_200600_302600_NS5tupleIffNS6_9null_typeES8_S8_S8_S8_S8_S8_S8_EEEEZZNS1_27merge_sort_block_merge_implIS3_NS6_6detail15normal_iteratorINS6_10device_ptrIjEEEENSD_INSE_IS9_EEEEjNS1_19radix_merge_compareILb0ELb0EjNS0_19identity_decomposerEEEEE10hipError_tT0_T1_T2_jT3_P12ihipStream_tbPNSt15iterator_traitsISN_E10value_typeEPNST_ISO_E10value_typeEPSP_NS1_7vsmem_tEENKUlT_SN_SO_SP_E_clIPjSG_PS9_SI_EESM_S12_SN_SO_SP_EUlS12_E1_NS1_11comp_targetILNS1_3genE10ELNS1_11target_archE1201ELNS1_3gpuE5ELNS1_3repE0EEENS1_36merge_oddeven_config_static_selectorELNS0_4arch9wavefront6targetE0EEEvSO_.uses_flat_scratch, 0
	.set _ZN7rocprim17ROCPRIM_400000_NS6detail17trampoline_kernelINS0_14default_configENS1_38merge_sort_block_merge_config_selectorIjN6thrust23THRUST_200600_302600_NS5tupleIffNS6_9null_typeES8_S8_S8_S8_S8_S8_S8_EEEEZZNS1_27merge_sort_block_merge_implIS3_NS6_6detail15normal_iteratorINS6_10device_ptrIjEEEENSD_INSE_IS9_EEEEjNS1_19radix_merge_compareILb0ELb0EjNS0_19identity_decomposerEEEEE10hipError_tT0_T1_T2_jT3_P12ihipStream_tbPNSt15iterator_traitsISN_E10value_typeEPNST_ISO_E10value_typeEPSP_NS1_7vsmem_tEENKUlT_SN_SO_SP_E_clIPjSG_PS9_SI_EESM_S12_SN_SO_SP_EUlS12_E1_NS1_11comp_targetILNS1_3genE10ELNS1_11target_archE1201ELNS1_3gpuE5ELNS1_3repE0EEENS1_36merge_oddeven_config_static_selectorELNS0_4arch9wavefront6targetE0EEEvSO_.has_dyn_sized_stack, 0
	.set _ZN7rocprim17ROCPRIM_400000_NS6detail17trampoline_kernelINS0_14default_configENS1_38merge_sort_block_merge_config_selectorIjN6thrust23THRUST_200600_302600_NS5tupleIffNS6_9null_typeES8_S8_S8_S8_S8_S8_S8_EEEEZZNS1_27merge_sort_block_merge_implIS3_NS6_6detail15normal_iteratorINS6_10device_ptrIjEEEENSD_INSE_IS9_EEEEjNS1_19radix_merge_compareILb0ELb0EjNS0_19identity_decomposerEEEEE10hipError_tT0_T1_T2_jT3_P12ihipStream_tbPNSt15iterator_traitsISN_E10value_typeEPNST_ISO_E10value_typeEPSP_NS1_7vsmem_tEENKUlT_SN_SO_SP_E_clIPjSG_PS9_SI_EESM_S12_SN_SO_SP_EUlS12_E1_NS1_11comp_targetILNS1_3genE10ELNS1_11target_archE1201ELNS1_3gpuE5ELNS1_3repE0EEENS1_36merge_oddeven_config_static_selectorELNS0_4arch9wavefront6targetE0EEEvSO_.has_recursion, 0
	.set _ZN7rocprim17ROCPRIM_400000_NS6detail17trampoline_kernelINS0_14default_configENS1_38merge_sort_block_merge_config_selectorIjN6thrust23THRUST_200600_302600_NS5tupleIffNS6_9null_typeES8_S8_S8_S8_S8_S8_S8_EEEEZZNS1_27merge_sort_block_merge_implIS3_NS6_6detail15normal_iteratorINS6_10device_ptrIjEEEENSD_INSE_IS9_EEEEjNS1_19radix_merge_compareILb0ELb0EjNS0_19identity_decomposerEEEEE10hipError_tT0_T1_T2_jT3_P12ihipStream_tbPNSt15iterator_traitsISN_E10value_typeEPNST_ISO_E10value_typeEPSP_NS1_7vsmem_tEENKUlT_SN_SO_SP_E_clIPjSG_PS9_SI_EESM_S12_SN_SO_SP_EUlS12_E1_NS1_11comp_targetILNS1_3genE10ELNS1_11target_archE1201ELNS1_3gpuE5ELNS1_3repE0EEENS1_36merge_oddeven_config_static_selectorELNS0_4arch9wavefront6targetE0EEEvSO_.has_indirect_call, 0
	.section	.AMDGPU.csdata,"",@progbits
; Kernel info:
; codeLenInByte = 0
; TotalNumSgprs: 0
; NumVgprs: 0
; ScratchSize: 0
; MemoryBound: 0
; FloatMode: 240
; IeeeMode: 1
; LDSByteSize: 0 bytes/workgroup (compile time only)
; SGPRBlocks: 0
; VGPRBlocks: 0
; NumSGPRsForWavesPerEU: 1
; NumVGPRsForWavesPerEU: 1
; NamedBarCnt: 0
; Occupancy: 16
; WaveLimiterHint : 0
; COMPUTE_PGM_RSRC2:SCRATCH_EN: 0
; COMPUTE_PGM_RSRC2:USER_SGPR: 2
; COMPUTE_PGM_RSRC2:TRAP_HANDLER: 0
; COMPUTE_PGM_RSRC2:TGID_X_EN: 1
; COMPUTE_PGM_RSRC2:TGID_Y_EN: 0
; COMPUTE_PGM_RSRC2:TGID_Z_EN: 0
; COMPUTE_PGM_RSRC2:TIDIG_COMP_CNT: 0
	.section	.text._ZN7rocprim17ROCPRIM_400000_NS6detail17trampoline_kernelINS0_14default_configENS1_38merge_sort_block_merge_config_selectorIjN6thrust23THRUST_200600_302600_NS5tupleIffNS6_9null_typeES8_S8_S8_S8_S8_S8_S8_EEEEZZNS1_27merge_sort_block_merge_implIS3_NS6_6detail15normal_iteratorINS6_10device_ptrIjEEEENSD_INSE_IS9_EEEEjNS1_19radix_merge_compareILb0ELb0EjNS0_19identity_decomposerEEEEE10hipError_tT0_T1_T2_jT3_P12ihipStream_tbPNSt15iterator_traitsISN_E10value_typeEPNST_ISO_E10value_typeEPSP_NS1_7vsmem_tEENKUlT_SN_SO_SP_E_clIPjSG_PS9_SI_EESM_S12_SN_SO_SP_EUlS12_E1_NS1_11comp_targetILNS1_3genE5ELNS1_11target_archE942ELNS1_3gpuE9ELNS1_3repE0EEENS1_36merge_oddeven_config_static_selectorELNS0_4arch9wavefront6targetE0EEEvSO_,"axG",@progbits,_ZN7rocprim17ROCPRIM_400000_NS6detail17trampoline_kernelINS0_14default_configENS1_38merge_sort_block_merge_config_selectorIjN6thrust23THRUST_200600_302600_NS5tupleIffNS6_9null_typeES8_S8_S8_S8_S8_S8_S8_EEEEZZNS1_27merge_sort_block_merge_implIS3_NS6_6detail15normal_iteratorINS6_10device_ptrIjEEEENSD_INSE_IS9_EEEEjNS1_19radix_merge_compareILb0ELb0EjNS0_19identity_decomposerEEEEE10hipError_tT0_T1_T2_jT3_P12ihipStream_tbPNSt15iterator_traitsISN_E10value_typeEPNST_ISO_E10value_typeEPSP_NS1_7vsmem_tEENKUlT_SN_SO_SP_E_clIPjSG_PS9_SI_EESM_S12_SN_SO_SP_EUlS12_E1_NS1_11comp_targetILNS1_3genE5ELNS1_11target_archE942ELNS1_3gpuE9ELNS1_3repE0EEENS1_36merge_oddeven_config_static_selectorELNS0_4arch9wavefront6targetE0EEEvSO_,comdat
	.protected	_ZN7rocprim17ROCPRIM_400000_NS6detail17trampoline_kernelINS0_14default_configENS1_38merge_sort_block_merge_config_selectorIjN6thrust23THRUST_200600_302600_NS5tupleIffNS6_9null_typeES8_S8_S8_S8_S8_S8_S8_EEEEZZNS1_27merge_sort_block_merge_implIS3_NS6_6detail15normal_iteratorINS6_10device_ptrIjEEEENSD_INSE_IS9_EEEEjNS1_19radix_merge_compareILb0ELb0EjNS0_19identity_decomposerEEEEE10hipError_tT0_T1_T2_jT3_P12ihipStream_tbPNSt15iterator_traitsISN_E10value_typeEPNST_ISO_E10value_typeEPSP_NS1_7vsmem_tEENKUlT_SN_SO_SP_E_clIPjSG_PS9_SI_EESM_S12_SN_SO_SP_EUlS12_E1_NS1_11comp_targetILNS1_3genE5ELNS1_11target_archE942ELNS1_3gpuE9ELNS1_3repE0EEENS1_36merge_oddeven_config_static_selectorELNS0_4arch9wavefront6targetE0EEEvSO_ ; -- Begin function _ZN7rocprim17ROCPRIM_400000_NS6detail17trampoline_kernelINS0_14default_configENS1_38merge_sort_block_merge_config_selectorIjN6thrust23THRUST_200600_302600_NS5tupleIffNS6_9null_typeES8_S8_S8_S8_S8_S8_S8_EEEEZZNS1_27merge_sort_block_merge_implIS3_NS6_6detail15normal_iteratorINS6_10device_ptrIjEEEENSD_INSE_IS9_EEEEjNS1_19radix_merge_compareILb0ELb0EjNS0_19identity_decomposerEEEEE10hipError_tT0_T1_T2_jT3_P12ihipStream_tbPNSt15iterator_traitsISN_E10value_typeEPNST_ISO_E10value_typeEPSP_NS1_7vsmem_tEENKUlT_SN_SO_SP_E_clIPjSG_PS9_SI_EESM_S12_SN_SO_SP_EUlS12_E1_NS1_11comp_targetILNS1_3genE5ELNS1_11target_archE942ELNS1_3gpuE9ELNS1_3repE0EEENS1_36merge_oddeven_config_static_selectorELNS0_4arch9wavefront6targetE0EEEvSO_
	.globl	_ZN7rocprim17ROCPRIM_400000_NS6detail17trampoline_kernelINS0_14default_configENS1_38merge_sort_block_merge_config_selectorIjN6thrust23THRUST_200600_302600_NS5tupleIffNS6_9null_typeES8_S8_S8_S8_S8_S8_S8_EEEEZZNS1_27merge_sort_block_merge_implIS3_NS6_6detail15normal_iteratorINS6_10device_ptrIjEEEENSD_INSE_IS9_EEEEjNS1_19radix_merge_compareILb0ELb0EjNS0_19identity_decomposerEEEEE10hipError_tT0_T1_T2_jT3_P12ihipStream_tbPNSt15iterator_traitsISN_E10value_typeEPNST_ISO_E10value_typeEPSP_NS1_7vsmem_tEENKUlT_SN_SO_SP_E_clIPjSG_PS9_SI_EESM_S12_SN_SO_SP_EUlS12_E1_NS1_11comp_targetILNS1_3genE5ELNS1_11target_archE942ELNS1_3gpuE9ELNS1_3repE0EEENS1_36merge_oddeven_config_static_selectorELNS0_4arch9wavefront6targetE0EEEvSO_
	.p2align	8
	.type	_ZN7rocprim17ROCPRIM_400000_NS6detail17trampoline_kernelINS0_14default_configENS1_38merge_sort_block_merge_config_selectorIjN6thrust23THRUST_200600_302600_NS5tupleIffNS6_9null_typeES8_S8_S8_S8_S8_S8_S8_EEEEZZNS1_27merge_sort_block_merge_implIS3_NS6_6detail15normal_iteratorINS6_10device_ptrIjEEEENSD_INSE_IS9_EEEEjNS1_19radix_merge_compareILb0ELb0EjNS0_19identity_decomposerEEEEE10hipError_tT0_T1_T2_jT3_P12ihipStream_tbPNSt15iterator_traitsISN_E10value_typeEPNST_ISO_E10value_typeEPSP_NS1_7vsmem_tEENKUlT_SN_SO_SP_E_clIPjSG_PS9_SI_EESM_S12_SN_SO_SP_EUlS12_E1_NS1_11comp_targetILNS1_3genE5ELNS1_11target_archE942ELNS1_3gpuE9ELNS1_3repE0EEENS1_36merge_oddeven_config_static_selectorELNS0_4arch9wavefront6targetE0EEEvSO_,@function
_ZN7rocprim17ROCPRIM_400000_NS6detail17trampoline_kernelINS0_14default_configENS1_38merge_sort_block_merge_config_selectorIjN6thrust23THRUST_200600_302600_NS5tupleIffNS6_9null_typeES8_S8_S8_S8_S8_S8_S8_EEEEZZNS1_27merge_sort_block_merge_implIS3_NS6_6detail15normal_iteratorINS6_10device_ptrIjEEEENSD_INSE_IS9_EEEEjNS1_19radix_merge_compareILb0ELb0EjNS0_19identity_decomposerEEEEE10hipError_tT0_T1_T2_jT3_P12ihipStream_tbPNSt15iterator_traitsISN_E10value_typeEPNST_ISO_E10value_typeEPSP_NS1_7vsmem_tEENKUlT_SN_SO_SP_E_clIPjSG_PS9_SI_EESM_S12_SN_SO_SP_EUlS12_E1_NS1_11comp_targetILNS1_3genE5ELNS1_11target_archE942ELNS1_3gpuE9ELNS1_3repE0EEENS1_36merge_oddeven_config_static_selectorELNS0_4arch9wavefront6targetE0EEEvSO_: ; @_ZN7rocprim17ROCPRIM_400000_NS6detail17trampoline_kernelINS0_14default_configENS1_38merge_sort_block_merge_config_selectorIjN6thrust23THRUST_200600_302600_NS5tupleIffNS6_9null_typeES8_S8_S8_S8_S8_S8_S8_EEEEZZNS1_27merge_sort_block_merge_implIS3_NS6_6detail15normal_iteratorINS6_10device_ptrIjEEEENSD_INSE_IS9_EEEEjNS1_19radix_merge_compareILb0ELb0EjNS0_19identity_decomposerEEEEE10hipError_tT0_T1_T2_jT3_P12ihipStream_tbPNSt15iterator_traitsISN_E10value_typeEPNST_ISO_E10value_typeEPSP_NS1_7vsmem_tEENKUlT_SN_SO_SP_E_clIPjSG_PS9_SI_EESM_S12_SN_SO_SP_EUlS12_E1_NS1_11comp_targetILNS1_3genE5ELNS1_11target_archE942ELNS1_3gpuE9ELNS1_3repE0EEENS1_36merge_oddeven_config_static_selectorELNS0_4arch9wavefront6targetE0EEEvSO_
; %bb.0:
	.section	.rodata,"a",@progbits
	.p2align	6, 0x0
	.amdhsa_kernel _ZN7rocprim17ROCPRIM_400000_NS6detail17trampoline_kernelINS0_14default_configENS1_38merge_sort_block_merge_config_selectorIjN6thrust23THRUST_200600_302600_NS5tupleIffNS6_9null_typeES8_S8_S8_S8_S8_S8_S8_EEEEZZNS1_27merge_sort_block_merge_implIS3_NS6_6detail15normal_iteratorINS6_10device_ptrIjEEEENSD_INSE_IS9_EEEEjNS1_19radix_merge_compareILb0ELb0EjNS0_19identity_decomposerEEEEE10hipError_tT0_T1_T2_jT3_P12ihipStream_tbPNSt15iterator_traitsISN_E10value_typeEPNST_ISO_E10value_typeEPSP_NS1_7vsmem_tEENKUlT_SN_SO_SP_E_clIPjSG_PS9_SI_EESM_S12_SN_SO_SP_EUlS12_E1_NS1_11comp_targetILNS1_3genE5ELNS1_11target_archE942ELNS1_3gpuE9ELNS1_3repE0EEENS1_36merge_oddeven_config_static_selectorELNS0_4arch9wavefront6targetE0EEEvSO_
		.amdhsa_group_segment_fixed_size 0
		.amdhsa_private_segment_fixed_size 0
		.amdhsa_kernarg_size 48
		.amdhsa_user_sgpr_count 2
		.amdhsa_user_sgpr_dispatch_ptr 0
		.amdhsa_user_sgpr_queue_ptr 0
		.amdhsa_user_sgpr_kernarg_segment_ptr 1
		.amdhsa_user_sgpr_dispatch_id 0
		.amdhsa_user_sgpr_kernarg_preload_length 0
		.amdhsa_user_sgpr_kernarg_preload_offset 0
		.amdhsa_user_sgpr_private_segment_size 0
		.amdhsa_wavefront_size32 1
		.amdhsa_uses_dynamic_stack 0
		.amdhsa_enable_private_segment 0
		.amdhsa_system_sgpr_workgroup_id_x 1
		.amdhsa_system_sgpr_workgroup_id_y 0
		.amdhsa_system_sgpr_workgroup_id_z 0
		.amdhsa_system_sgpr_workgroup_info 0
		.amdhsa_system_vgpr_workitem_id 0
		.amdhsa_next_free_vgpr 1
		.amdhsa_next_free_sgpr 1
		.amdhsa_named_barrier_count 0
		.amdhsa_reserve_vcc 0
		.amdhsa_float_round_mode_32 0
		.amdhsa_float_round_mode_16_64 0
		.amdhsa_float_denorm_mode_32 3
		.amdhsa_float_denorm_mode_16_64 3
		.amdhsa_fp16_overflow 0
		.amdhsa_memory_ordered 1
		.amdhsa_forward_progress 1
		.amdhsa_inst_pref_size 0
		.amdhsa_round_robin_scheduling 0
		.amdhsa_exception_fp_ieee_invalid_op 0
		.amdhsa_exception_fp_denorm_src 0
		.amdhsa_exception_fp_ieee_div_zero 0
		.amdhsa_exception_fp_ieee_overflow 0
		.amdhsa_exception_fp_ieee_underflow 0
		.amdhsa_exception_fp_ieee_inexact 0
		.amdhsa_exception_int_div_zero 0
	.end_amdhsa_kernel
	.section	.text._ZN7rocprim17ROCPRIM_400000_NS6detail17trampoline_kernelINS0_14default_configENS1_38merge_sort_block_merge_config_selectorIjN6thrust23THRUST_200600_302600_NS5tupleIffNS6_9null_typeES8_S8_S8_S8_S8_S8_S8_EEEEZZNS1_27merge_sort_block_merge_implIS3_NS6_6detail15normal_iteratorINS6_10device_ptrIjEEEENSD_INSE_IS9_EEEEjNS1_19radix_merge_compareILb0ELb0EjNS0_19identity_decomposerEEEEE10hipError_tT0_T1_T2_jT3_P12ihipStream_tbPNSt15iterator_traitsISN_E10value_typeEPNST_ISO_E10value_typeEPSP_NS1_7vsmem_tEENKUlT_SN_SO_SP_E_clIPjSG_PS9_SI_EESM_S12_SN_SO_SP_EUlS12_E1_NS1_11comp_targetILNS1_3genE5ELNS1_11target_archE942ELNS1_3gpuE9ELNS1_3repE0EEENS1_36merge_oddeven_config_static_selectorELNS0_4arch9wavefront6targetE0EEEvSO_,"axG",@progbits,_ZN7rocprim17ROCPRIM_400000_NS6detail17trampoline_kernelINS0_14default_configENS1_38merge_sort_block_merge_config_selectorIjN6thrust23THRUST_200600_302600_NS5tupleIffNS6_9null_typeES8_S8_S8_S8_S8_S8_S8_EEEEZZNS1_27merge_sort_block_merge_implIS3_NS6_6detail15normal_iteratorINS6_10device_ptrIjEEEENSD_INSE_IS9_EEEEjNS1_19radix_merge_compareILb0ELb0EjNS0_19identity_decomposerEEEEE10hipError_tT0_T1_T2_jT3_P12ihipStream_tbPNSt15iterator_traitsISN_E10value_typeEPNST_ISO_E10value_typeEPSP_NS1_7vsmem_tEENKUlT_SN_SO_SP_E_clIPjSG_PS9_SI_EESM_S12_SN_SO_SP_EUlS12_E1_NS1_11comp_targetILNS1_3genE5ELNS1_11target_archE942ELNS1_3gpuE9ELNS1_3repE0EEENS1_36merge_oddeven_config_static_selectorELNS0_4arch9wavefront6targetE0EEEvSO_,comdat
.Lfunc_end43:
	.size	_ZN7rocprim17ROCPRIM_400000_NS6detail17trampoline_kernelINS0_14default_configENS1_38merge_sort_block_merge_config_selectorIjN6thrust23THRUST_200600_302600_NS5tupleIffNS6_9null_typeES8_S8_S8_S8_S8_S8_S8_EEEEZZNS1_27merge_sort_block_merge_implIS3_NS6_6detail15normal_iteratorINS6_10device_ptrIjEEEENSD_INSE_IS9_EEEEjNS1_19radix_merge_compareILb0ELb0EjNS0_19identity_decomposerEEEEE10hipError_tT0_T1_T2_jT3_P12ihipStream_tbPNSt15iterator_traitsISN_E10value_typeEPNST_ISO_E10value_typeEPSP_NS1_7vsmem_tEENKUlT_SN_SO_SP_E_clIPjSG_PS9_SI_EESM_S12_SN_SO_SP_EUlS12_E1_NS1_11comp_targetILNS1_3genE5ELNS1_11target_archE942ELNS1_3gpuE9ELNS1_3repE0EEENS1_36merge_oddeven_config_static_selectorELNS0_4arch9wavefront6targetE0EEEvSO_, .Lfunc_end43-_ZN7rocprim17ROCPRIM_400000_NS6detail17trampoline_kernelINS0_14default_configENS1_38merge_sort_block_merge_config_selectorIjN6thrust23THRUST_200600_302600_NS5tupleIffNS6_9null_typeES8_S8_S8_S8_S8_S8_S8_EEEEZZNS1_27merge_sort_block_merge_implIS3_NS6_6detail15normal_iteratorINS6_10device_ptrIjEEEENSD_INSE_IS9_EEEEjNS1_19radix_merge_compareILb0ELb0EjNS0_19identity_decomposerEEEEE10hipError_tT0_T1_T2_jT3_P12ihipStream_tbPNSt15iterator_traitsISN_E10value_typeEPNST_ISO_E10value_typeEPSP_NS1_7vsmem_tEENKUlT_SN_SO_SP_E_clIPjSG_PS9_SI_EESM_S12_SN_SO_SP_EUlS12_E1_NS1_11comp_targetILNS1_3genE5ELNS1_11target_archE942ELNS1_3gpuE9ELNS1_3repE0EEENS1_36merge_oddeven_config_static_selectorELNS0_4arch9wavefront6targetE0EEEvSO_
                                        ; -- End function
	.set _ZN7rocprim17ROCPRIM_400000_NS6detail17trampoline_kernelINS0_14default_configENS1_38merge_sort_block_merge_config_selectorIjN6thrust23THRUST_200600_302600_NS5tupleIffNS6_9null_typeES8_S8_S8_S8_S8_S8_S8_EEEEZZNS1_27merge_sort_block_merge_implIS3_NS6_6detail15normal_iteratorINS6_10device_ptrIjEEEENSD_INSE_IS9_EEEEjNS1_19radix_merge_compareILb0ELb0EjNS0_19identity_decomposerEEEEE10hipError_tT0_T1_T2_jT3_P12ihipStream_tbPNSt15iterator_traitsISN_E10value_typeEPNST_ISO_E10value_typeEPSP_NS1_7vsmem_tEENKUlT_SN_SO_SP_E_clIPjSG_PS9_SI_EESM_S12_SN_SO_SP_EUlS12_E1_NS1_11comp_targetILNS1_3genE5ELNS1_11target_archE942ELNS1_3gpuE9ELNS1_3repE0EEENS1_36merge_oddeven_config_static_selectorELNS0_4arch9wavefront6targetE0EEEvSO_.num_vgpr, 0
	.set _ZN7rocprim17ROCPRIM_400000_NS6detail17trampoline_kernelINS0_14default_configENS1_38merge_sort_block_merge_config_selectorIjN6thrust23THRUST_200600_302600_NS5tupleIffNS6_9null_typeES8_S8_S8_S8_S8_S8_S8_EEEEZZNS1_27merge_sort_block_merge_implIS3_NS6_6detail15normal_iteratorINS6_10device_ptrIjEEEENSD_INSE_IS9_EEEEjNS1_19radix_merge_compareILb0ELb0EjNS0_19identity_decomposerEEEEE10hipError_tT0_T1_T2_jT3_P12ihipStream_tbPNSt15iterator_traitsISN_E10value_typeEPNST_ISO_E10value_typeEPSP_NS1_7vsmem_tEENKUlT_SN_SO_SP_E_clIPjSG_PS9_SI_EESM_S12_SN_SO_SP_EUlS12_E1_NS1_11comp_targetILNS1_3genE5ELNS1_11target_archE942ELNS1_3gpuE9ELNS1_3repE0EEENS1_36merge_oddeven_config_static_selectorELNS0_4arch9wavefront6targetE0EEEvSO_.num_agpr, 0
	.set _ZN7rocprim17ROCPRIM_400000_NS6detail17trampoline_kernelINS0_14default_configENS1_38merge_sort_block_merge_config_selectorIjN6thrust23THRUST_200600_302600_NS5tupleIffNS6_9null_typeES8_S8_S8_S8_S8_S8_S8_EEEEZZNS1_27merge_sort_block_merge_implIS3_NS6_6detail15normal_iteratorINS6_10device_ptrIjEEEENSD_INSE_IS9_EEEEjNS1_19radix_merge_compareILb0ELb0EjNS0_19identity_decomposerEEEEE10hipError_tT0_T1_T2_jT3_P12ihipStream_tbPNSt15iterator_traitsISN_E10value_typeEPNST_ISO_E10value_typeEPSP_NS1_7vsmem_tEENKUlT_SN_SO_SP_E_clIPjSG_PS9_SI_EESM_S12_SN_SO_SP_EUlS12_E1_NS1_11comp_targetILNS1_3genE5ELNS1_11target_archE942ELNS1_3gpuE9ELNS1_3repE0EEENS1_36merge_oddeven_config_static_selectorELNS0_4arch9wavefront6targetE0EEEvSO_.numbered_sgpr, 0
	.set _ZN7rocprim17ROCPRIM_400000_NS6detail17trampoline_kernelINS0_14default_configENS1_38merge_sort_block_merge_config_selectorIjN6thrust23THRUST_200600_302600_NS5tupleIffNS6_9null_typeES8_S8_S8_S8_S8_S8_S8_EEEEZZNS1_27merge_sort_block_merge_implIS3_NS6_6detail15normal_iteratorINS6_10device_ptrIjEEEENSD_INSE_IS9_EEEEjNS1_19radix_merge_compareILb0ELb0EjNS0_19identity_decomposerEEEEE10hipError_tT0_T1_T2_jT3_P12ihipStream_tbPNSt15iterator_traitsISN_E10value_typeEPNST_ISO_E10value_typeEPSP_NS1_7vsmem_tEENKUlT_SN_SO_SP_E_clIPjSG_PS9_SI_EESM_S12_SN_SO_SP_EUlS12_E1_NS1_11comp_targetILNS1_3genE5ELNS1_11target_archE942ELNS1_3gpuE9ELNS1_3repE0EEENS1_36merge_oddeven_config_static_selectorELNS0_4arch9wavefront6targetE0EEEvSO_.num_named_barrier, 0
	.set _ZN7rocprim17ROCPRIM_400000_NS6detail17trampoline_kernelINS0_14default_configENS1_38merge_sort_block_merge_config_selectorIjN6thrust23THRUST_200600_302600_NS5tupleIffNS6_9null_typeES8_S8_S8_S8_S8_S8_S8_EEEEZZNS1_27merge_sort_block_merge_implIS3_NS6_6detail15normal_iteratorINS6_10device_ptrIjEEEENSD_INSE_IS9_EEEEjNS1_19radix_merge_compareILb0ELb0EjNS0_19identity_decomposerEEEEE10hipError_tT0_T1_T2_jT3_P12ihipStream_tbPNSt15iterator_traitsISN_E10value_typeEPNST_ISO_E10value_typeEPSP_NS1_7vsmem_tEENKUlT_SN_SO_SP_E_clIPjSG_PS9_SI_EESM_S12_SN_SO_SP_EUlS12_E1_NS1_11comp_targetILNS1_3genE5ELNS1_11target_archE942ELNS1_3gpuE9ELNS1_3repE0EEENS1_36merge_oddeven_config_static_selectorELNS0_4arch9wavefront6targetE0EEEvSO_.private_seg_size, 0
	.set _ZN7rocprim17ROCPRIM_400000_NS6detail17trampoline_kernelINS0_14default_configENS1_38merge_sort_block_merge_config_selectorIjN6thrust23THRUST_200600_302600_NS5tupleIffNS6_9null_typeES8_S8_S8_S8_S8_S8_S8_EEEEZZNS1_27merge_sort_block_merge_implIS3_NS6_6detail15normal_iteratorINS6_10device_ptrIjEEEENSD_INSE_IS9_EEEEjNS1_19radix_merge_compareILb0ELb0EjNS0_19identity_decomposerEEEEE10hipError_tT0_T1_T2_jT3_P12ihipStream_tbPNSt15iterator_traitsISN_E10value_typeEPNST_ISO_E10value_typeEPSP_NS1_7vsmem_tEENKUlT_SN_SO_SP_E_clIPjSG_PS9_SI_EESM_S12_SN_SO_SP_EUlS12_E1_NS1_11comp_targetILNS1_3genE5ELNS1_11target_archE942ELNS1_3gpuE9ELNS1_3repE0EEENS1_36merge_oddeven_config_static_selectorELNS0_4arch9wavefront6targetE0EEEvSO_.uses_vcc, 0
	.set _ZN7rocprim17ROCPRIM_400000_NS6detail17trampoline_kernelINS0_14default_configENS1_38merge_sort_block_merge_config_selectorIjN6thrust23THRUST_200600_302600_NS5tupleIffNS6_9null_typeES8_S8_S8_S8_S8_S8_S8_EEEEZZNS1_27merge_sort_block_merge_implIS3_NS6_6detail15normal_iteratorINS6_10device_ptrIjEEEENSD_INSE_IS9_EEEEjNS1_19radix_merge_compareILb0ELb0EjNS0_19identity_decomposerEEEEE10hipError_tT0_T1_T2_jT3_P12ihipStream_tbPNSt15iterator_traitsISN_E10value_typeEPNST_ISO_E10value_typeEPSP_NS1_7vsmem_tEENKUlT_SN_SO_SP_E_clIPjSG_PS9_SI_EESM_S12_SN_SO_SP_EUlS12_E1_NS1_11comp_targetILNS1_3genE5ELNS1_11target_archE942ELNS1_3gpuE9ELNS1_3repE0EEENS1_36merge_oddeven_config_static_selectorELNS0_4arch9wavefront6targetE0EEEvSO_.uses_flat_scratch, 0
	.set _ZN7rocprim17ROCPRIM_400000_NS6detail17trampoline_kernelINS0_14default_configENS1_38merge_sort_block_merge_config_selectorIjN6thrust23THRUST_200600_302600_NS5tupleIffNS6_9null_typeES8_S8_S8_S8_S8_S8_S8_EEEEZZNS1_27merge_sort_block_merge_implIS3_NS6_6detail15normal_iteratorINS6_10device_ptrIjEEEENSD_INSE_IS9_EEEEjNS1_19radix_merge_compareILb0ELb0EjNS0_19identity_decomposerEEEEE10hipError_tT0_T1_T2_jT3_P12ihipStream_tbPNSt15iterator_traitsISN_E10value_typeEPNST_ISO_E10value_typeEPSP_NS1_7vsmem_tEENKUlT_SN_SO_SP_E_clIPjSG_PS9_SI_EESM_S12_SN_SO_SP_EUlS12_E1_NS1_11comp_targetILNS1_3genE5ELNS1_11target_archE942ELNS1_3gpuE9ELNS1_3repE0EEENS1_36merge_oddeven_config_static_selectorELNS0_4arch9wavefront6targetE0EEEvSO_.has_dyn_sized_stack, 0
	.set _ZN7rocprim17ROCPRIM_400000_NS6detail17trampoline_kernelINS0_14default_configENS1_38merge_sort_block_merge_config_selectorIjN6thrust23THRUST_200600_302600_NS5tupleIffNS6_9null_typeES8_S8_S8_S8_S8_S8_S8_EEEEZZNS1_27merge_sort_block_merge_implIS3_NS6_6detail15normal_iteratorINS6_10device_ptrIjEEEENSD_INSE_IS9_EEEEjNS1_19radix_merge_compareILb0ELb0EjNS0_19identity_decomposerEEEEE10hipError_tT0_T1_T2_jT3_P12ihipStream_tbPNSt15iterator_traitsISN_E10value_typeEPNST_ISO_E10value_typeEPSP_NS1_7vsmem_tEENKUlT_SN_SO_SP_E_clIPjSG_PS9_SI_EESM_S12_SN_SO_SP_EUlS12_E1_NS1_11comp_targetILNS1_3genE5ELNS1_11target_archE942ELNS1_3gpuE9ELNS1_3repE0EEENS1_36merge_oddeven_config_static_selectorELNS0_4arch9wavefront6targetE0EEEvSO_.has_recursion, 0
	.set _ZN7rocprim17ROCPRIM_400000_NS6detail17trampoline_kernelINS0_14default_configENS1_38merge_sort_block_merge_config_selectorIjN6thrust23THRUST_200600_302600_NS5tupleIffNS6_9null_typeES8_S8_S8_S8_S8_S8_S8_EEEEZZNS1_27merge_sort_block_merge_implIS3_NS6_6detail15normal_iteratorINS6_10device_ptrIjEEEENSD_INSE_IS9_EEEEjNS1_19radix_merge_compareILb0ELb0EjNS0_19identity_decomposerEEEEE10hipError_tT0_T1_T2_jT3_P12ihipStream_tbPNSt15iterator_traitsISN_E10value_typeEPNST_ISO_E10value_typeEPSP_NS1_7vsmem_tEENKUlT_SN_SO_SP_E_clIPjSG_PS9_SI_EESM_S12_SN_SO_SP_EUlS12_E1_NS1_11comp_targetILNS1_3genE5ELNS1_11target_archE942ELNS1_3gpuE9ELNS1_3repE0EEENS1_36merge_oddeven_config_static_selectorELNS0_4arch9wavefront6targetE0EEEvSO_.has_indirect_call, 0
	.section	.AMDGPU.csdata,"",@progbits
; Kernel info:
; codeLenInByte = 0
; TotalNumSgprs: 0
; NumVgprs: 0
; ScratchSize: 0
; MemoryBound: 0
; FloatMode: 240
; IeeeMode: 1
; LDSByteSize: 0 bytes/workgroup (compile time only)
; SGPRBlocks: 0
; VGPRBlocks: 0
; NumSGPRsForWavesPerEU: 1
; NumVGPRsForWavesPerEU: 1
; NamedBarCnt: 0
; Occupancy: 16
; WaveLimiterHint : 0
; COMPUTE_PGM_RSRC2:SCRATCH_EN: 0
; COMPUTE_PGM_RSRC2:USER_SGPR: 2
; COMPUTE_PGM_RSRC2:TRAP_HANDLER: 0
; COMPUTE_PGM_RSRC2:TGID_X_EN: 1
; COMPUTE_PGM_RSRC2:TGID_Y_EN: 0
; COMPUTE_PGM_RSRC2:TGID_Z_EN: 0
; COMPUTE_PGM_RSRC2:TIDIG_COMP_CNT: 0
	.section	.text._ZN7rocprim17ROCPRIM_400000_NS6detail17trampoline_kernelINS0_14default_configENS1_38merge_sort_block_merge_config_selectorIjN6thrust23THRUST_200600_302600_NS5tupleIffNS6_9null_typeES8_S8_S8_S8_S8_S8_S8_EEEEZZNS1_27merge_sort_block_merge_implIS3_NS6_6detail15normal_iteratorINS6_10device_ptrIjEEEENSD_INSE_IS9_EEEEjNS1_19radix_merge_compareILb0ELb0EjNS0_19identity_decomposerEEEEE10hipError_tT0_T1_T2_jT3_P12ihipStream_tbPNSt15iterator_traitsISN_E10value_typeEPNST_ISO_E10value_typeEPSP_NS1_7vsmem_tEENKUlT_SN_SO_SP_E_clIPjSG_PS9_SI_EESM_S12_SN_SO_SP_EUlS12_E1_NS1_11comp_targetILNS1_3genE4ELNS1_11target_archE910ELNS1_3gpuE8ELNS1_3repE0EEENS1_36merge_oddeven_config_static_selectorELNS0_4arch9wavefront6targetE0EEEvSO_,"axG",@progbits,_ZN7rocprim17ROCPRIM_400000_NS6detail17trampoline_kernelINS0_14default_configENS1_38merge_sort_block_merge_config_selectorIjN6thrust23THRUST_200600_302600_NS5tupleIffNS6_9null_typeES8_S8_S8_S8_S8_S8_S8_EEEEZZNS1_27merge_sort_block_merge_implIS3_NS6_6detail15normal_iteratorINS6_10device_ptrIjEEEENSD_INSE_IS9_EEEEjNS1_19radix_merge_compareILb0ELb0EjNS0_19identity_decomposerEEEEE10hipError_tT0_T1_T2_jT3_P12ihipStream_tbPNSt15iterator_traitsISN_E10value_typeEPNST_ISO_E10value_typeEPSP_NS1_7vsmem_tEENKUlT_SN_SO_SP_E_clIPjSG_PS9_SI_EESM_S12_SN_SO_SP_EUlS12_E1_NS1_11comp_targetILNS1_3genE4ELNS1_11target_archE910ELNS1_3gpuE8ELNS1_3repE0EEENS1_36merge_oddeven_config_static_selectorELNS0_4arch9wavefront6targetE0EEEvSO_,comdat
	.protected	_ZN7rocprim17ROCPRIM_400000_NS6detail17trampoline_kernelINS0_14default_configENS1_38merge_sort_block_merge_config_selectorIjN6thrust23THRUST_200600_302600_NS5tupleIffNS6_9null_typeES8_S8_S8_S8_S8_S8_S8_EEEEZZNS1_27merge_sort_block_merge_implIS3_NS6_6detail15normal_iteratorINS6_10device_ptrIjEEEENSD_INSE_IS9_EEEEjNS1_19radix_merge_compareILb0ELb0EjNS0_19identity_decomposerEEEEE10hipError_tT0_T1_T2_jT3_P12ihipStream_tbPNSt15iterator_traitsISN_E10value_typeEPNST_ISO_E10value_typeEPSP_NS1_7vsmem_tEENKUlT_SN_SO_SP_E_clIPjSG_PS9_SI_EESM_S12_SN_SO_SP_EUlS12_E1_NS1_11comp_targetILNS1_3genE4ELNS1_11target_archE910ELNS1_3gpuE8ELNS1_3repE0EEENS1_36merge_oddeven_config_static_selectorELNS0_4arch9wavefront6targetE0EEEvSO_ ; -- Begin function _ZN7rocprim17ROCPRIM_400000_NS6detail17trampoline_kernelINS0_14default_configENS1_38merge_sort_block_merge_config_selectorIjN6thrust23THRUST_200600_302600_NS5tupleIffNS6_9null_typeES8_S8_S8_S8_S8_S8_S8_EEEEZZNS1_27merge_sort_block_merge_implIS3_NS6_6detail15normal_iteratorINS6_10device_ptrIjEEEENSD_INSE_IS9_EEEEjNS1_19radix_merge_compareILb0ELb0EjNS0_19identity_decomposerEEEEE10hipError_tT0_T1_T2_jT3_P12ihipStream_tbPNSt15iterator_traitsISN_E10value_typeEPNST_ISO_E10value_typeEPSP_NS1_7vsmem_tEENKUlT_SN_SO_SP_E_clIPjSG_PS9_SI_EESM_S12_SN_SO_SP_EUlS12_E1_NS1_11comp_targetILNS1_3genE4ELNS1_11target_archE910ELNS1_3gpuE8ELNS1_3repE0EEENS1_36merge_oddeven_config_static_selectorELNS0_4arch9wavefront6targetE0EEEvSO_
	.globl	_ZN7rocprim17ROCPRIM_400000_NS6detail17trampoline_kernelINS0_14default_configENS1_38merge_sort_block_merge_config_selectorIjN6thrust23THRUST_200600_302600_NS5tupleIffNS6_9null_typeES8_S8_S8_S8_S8_S8_S8_EEEEZZNS1_27merge_sort_block_merge_implIS3_NS6_6detail15normal_iteratorINS6_10device_ptrIjEEEENSD_INSE_IS9_EEEEjNS1_19radix_merge_compareILb0ELb0EjNS0_19identity_decomposerEEEEE10hipError_tT0_T1_T2_jT3_P12ihipStream_tbPNSt15iterator_traitsISN_E10value_typeEPNST_ISO_E10value_typeEPSP_NS1_7vsmem_tEENKUlT_SN_SO_SP_E_clIPjSG_PS9_SI_EESM_S12_SN_SO_SP_EUlS12_E1_NS1_11comp_targetILNS1_3genE4ELNS1_11target_archE910ELNS1_3gpuE8ELNS1_3repE0EEENS1_36merge_oddeven_config_static_selectorELNS0_4arch9wavefront6targetE0EEEvSO_
	.p2align	8
	.type	_ZN7rocprim17ROCPRIM_400000_NS6detail17trampoline_kernelINS0_14default_configENS1_38merge_sort_block_merge_config_selectorIjN6thrust23THRUST_200600_302600_NS5tupleIffNS6_9null_typeES8_S8_S8_S8_S8_S8_S8_EEEEZZNS1_27merge_sort_block_merge_implIS3_NS6_6detail15normal_iteratorINS6_10device_ptrIjEEEENSD_INSE_IS9_EEEEjNS1_19radix_merge_compareILb0ELb0EjNS0_19identity_decomposerEEEEE10hipError_tT0_T1_T2_jT3_P12ihipStream_tbPNSt15iterator_traitsISN_E10value_typeEPNST_ISO_E10value_typeEPSP_NS1_7vsmem_tEENKUlT_SN_SO_SP_E_clIPjSG_PS9_SI_EESM_S12_SN_SO_SP_EUlS12_E1_NS1_11comp_targetILNS1_3genE4ELNS1_11target_archE910ELNS1_3gpuE8ELNS1_3repE0EEENS1_36merge_oddeven_config_static_selectorELNS0_4arch9wavefront6targetE0EEEvSO_,@function
_ZN7rocprim17ROCPRIM_400000_NS6detail17trampoline_kernelINS0_14default_configENS1_38merge_sort_block_merge_config_selectorIjN6thrust23THRUST_200600_302600_NS5tupleIffNS6_9null_typeES8_S8_S8_S8_S8_S8_S8_EEEEZZNS1_27merge_sort_block_merge_implIS3_NS6_6detail15normal_iteratorINS6_10device_ptrIjEEEENSD_INSE_IS9_EEEEjNS1_19radix_merge_compareILb0ELb0EjNS0_19identity_decomposerEEEEE10hipError_tT0_T1_T2_jT3_P12ihipStream_tbPNSt15iterator_traitsISN_E10value_typeEPNST_ISO_E10value_typeEPSP_NS1_7vsmem_tEENKUlT_SN_SO_SP_E_clIPjSG_PS9_SI_EESM_S12_SN_SO_SP_EUlS12_E1_NS1_11comp_targetILNS1_3genE4ELNS1_11target_archE910ELNS1_3gpuE8ELNS1_3repE0EEENS1_36merge_oddeven_config_static_selectorELNS0_4arch9wavefront6targetE0EEEvSO_: ; @_ZN7rocprim17ROCPRIM_400000_NS6detail17trampoline_kernelINS0_14default_configENS1_38merge_sort_block_merge_config_selectorIjN6thrust23THRUST_200600_302600_NS5tupleIffNS6_9null_typeES8_S8_S8_S8_S8_S8_S8_EEEEZZNS1_27merge_sort_block_merge_implIS3_NS6_6detail15normal_iteratorINS6_10device_ptrIjEEEENSD_INSE_IS9_EEEEjNS1_19radix_merge_compareILb0ELb0EjNS0_19identity_decomposerEEEEE10hipError_tT0_T1_T2_jT3_P12ihipStream_tbPNSt15iterator_traitsISN_E10value_typeEPNST_ISO_E10value_typeEPSP_NS1_7vsmem_tEENKUlT_SN_SO_SP_E_clIPjSG_PS9_SI_EESM_S12_SN_SO_SP_EUlS12_E1_NS1_11comp_targetILNS1_3genE4ELNS1_11target_archE910ELNS1_3gpuE8ELNS1_3repE0EEENS1_36merge_oddeven_config_static_selectorELNS0_4arch9wavefront6targetE0EEEvSO_
; %bb.0:
	.section	.rodata,"a",@progbits
	.p2align	6, 0x0
	.amdhsa_kernel _ZN7rocprim17ROCPRIM_400000_NS6detail17trampoline_kernelINS0_14default_configENS1_38merge_sort_block_merge_config_selectorIjN6thrust23THRUST_200600_302600_NS5tupleIffNS6_9null_typeES8_S8_S8_S8_S8_S8_S8_EEEEZZNS1_27merge_sort_block_merge_implIS3_NS6_6detail15normal_iteratorINS6_10device_ptrIjEEEENSD_INSE_IS9_EEEEjNS1_19radix_merge_compareILb0ELb0EjNS0_19identity_decomposerEEEEE10hipError_tT0_T1_T2_jT3_P12ihipStream_tbPNSt15iterator_traitsISN_E10value_typeEPNST_ISO_E10value_typeEPSP_NS1_7vsmem_tEENKUlT_SN_SO_SP_E_clIPjSG_PS9_SI_EESM_S12_SN_SO_SP_EUlS12_E1_NS1_11comp_targetILNS1_3genE4ELNS1_11target_archE910ELNS1_3gpuE8ELNS1_3repE0EEENS1_36merge_oddeven_config_static_selectorELNS0_4arch9wavefront6targetE0EEEvSO_
		.amdhsa_group_segment_fixed_size 0
		.amdhsa_private_segment_fixed_size 0
		.amdhsa_kernarg_size 48
		.amdhsa_user_sgpr_count 2
		.amdhsa_user_sgpr_dispatch_ptr 0
		.amdhsa_user_sgpr_queue_ptr 0
		.amdhsa_user_sgpr_kernarg_segment_ptr 1
		.amdhsa_user_sgpr_dispatch_id 0
		.amdhsa_user_sgpr_kernarg_preload_length 0
		.amdhsa_user_sgpr_kernarg_preload_offset 0
		.amdhsa_user_sgpr_private_segment_size 0
		.amdhsa_wavefront_size32 1
		.amdhsa_uses_dynamic_stack 0
		.amdhsa_enable_private_segment 0
		.amdhsa_system_sgpr_workgroup_id_x 1
		.amdhsa_system_sgpr_workgroup_id_y 0
		.amdhsa_system_sgpr_workgroup_id_z 0
		.amdhsa_system_sgpr_workgroup_info 0
		.amdhsa_system_vgpr_workitem_id 0
		.amdhsa_next_free_vgpr 1
		.amdhsa_next_free_sgpr 1
		.amdhsa_named_barrier_count 0
		.amdhsa_reserve_vcc 0
		.amdhsa_float_round_mode_32 0
		.amdhsa_float_round_mode_16_64 0
		.amdhsa_float_denorm_mode_32 3
		.amdhsa_float_denorm_mode_16_64 3
		.amdhsa_fp16_overflow 0
		.amdhsa_memory_ordered 1
		.amdhsa_forward_progress 1
		.amdhsa_inst_pref_size 0
		.amdhsa_round_robin_scheduling 0
		.amdhsa_exception_fp_ieee_invalid_op 0
		.amdhsa_exception_fp_denorm_src 0
		.amdhsa_exception_fp_ieee_div_zero 0
		.amdhsa_exception_fp_ieee_overflow 0
		.amdhsa_exception_fp_ieee_underflow 0
		.amdhsa_exception_fp_ieee_inexact 0
		.amdhsa_exception_int_div_zero 0
	.end_amdhsa_kernel
	.section	.text._ZN7rocprim17ROCPRIM_400000_NS6detail17trampoline_kernelINS0_14default_configENS1_38merge_sort_block_merge_config_selectorIjN6thrust23THRUST_200600_302600_NS5tupleIffNS6_9null_typeES8_S8_S8_S8_S8_S8_S8_EEEEZZNS1_27merge_sort_block_merge_implIS3_NS6_6detail15normal_iteratorINS6_10device_ptrIjEEEENSD_INSE_IS9_EEEEjNS1_19radix_merge_compareILb0ELb0EjNS0_19identity_decomposerEEEEE10hipError_tT0_T1_T2_jT3_P12ihipStream_tbPNSt15iterator_traitsISN_E10value_typeEPNST_ISO_E10value_typeEPSP_NS1_7vsmem_tEENKUlT_SN_SO_SP_E_clIPjSG_PS9_SI_EESM_S12_SN_SO_SP_EUlS12_E1_NS1_11comp_targetILNS1_3genE4ELNS1_11target_archE910ELNS1_3gpuE8ELNS1_3repE0EEENS1_36merge_oddeven_config_static_selectorELNS0_4arch9wavefront6targetE0EEEvSO_,"axG",@progbits,_ZN7rocprim17ROCPRIM_400000_NS6detail17trampoline_kernelINS0_14default_configENS1_38merge_sort_block_merge_config_selectorIjN6thrust23THRUST_200600_302600_NS5tupleIffNS6_9null_typeES8_S8_S8_S8_S8_S8_S8_EEEEZZNS1_27merge_sort_block_merge_implIS3_NS6_6detail15normal_iteratorINS6_10device_ptrIjEEEENSD_INSE_IS9_EEEEjNS1_19radix_merge_compareILb0ELb0EjNS0_19identity_decomposerEEEEE10hipError_tT0_T1_T2_jT3_P12ihipStream_tbPNSt15iterator_traitsISN_E10value_typeEPNST_ISO_E10value_typeEPSP_NS1_7vsmem_tEENKUlT_SN_SO_SP_E_clIPjSG_PS9_SI_EESM_S12_SN_SO_SP_EUlS12_E1_NS1_11comp_targetILNS1_3genE4ELNS1_11target_archE910ELNS1_3gpuE8ELNS1_3repE0EEENS1_36merge_oddeven_config_static_selectorELNS0_4arch9wavefront6targetE0EEEvSO_,comdat
.Lfunc_end44:
	.size	_ZN7rocprim17ROCPRIM_400000_NS6detail17trampoline_kernelINS0_14default_configENS1_38merge_sort_block_merge_config_selectorIjN6thrust23THRUST_200600_302600_NS5tupleIffNS6_9null_typeES8_S8_S8_S8_S8_S8_S8_EEEEZZNS1_27merge_sort_block_merge_implIS3_NS6_6detail15normal_iteratorINS6_10device_ptrIjEEEENSD_INSE_IS9_EEEEjNS1_19radix_merge_compareILb0ELb0EjNS0_19identity_decomposerEEEEE10hipError_tT0_T1_T2_jT3_P12ihipStream_tbPNSt15iterator_traitsISN_E10value_typeEPNST_ISO_E10value_typeEPSP_NS1_7vsmem_tEENKUlT_SN_SO_SP_E_clIPjSG_PS9_SI_EESM_S12_SN_SO_SP_EUlS12_E1_NS1_11comp_targetILNS1_3genE4ELNS1_11target_archE910ELNS1_3gpuE8ELNS1_3repE0EEENS1_36merge_oddeven_config_static_selectorELNS0_4arch9wavefront6targetE0EEEvSO_, .Lfunc_end44-_ZN7rocprim17ROCPRIM_400000_NS6detail17trampoline_kernelINS0_14default_configENS1_38merge_sort_block_merge_config_selectorIjN6thrust23THRUST_200600_302600_NS5tupleIffNS6_9null_typeES8_S8_S8_S8_S8_S8_S8_EEEEZZNS1_27merge_sort_block_merge_implIS3_NS6_6detail15normal_iteratorINS6_10device_ptrIjEEEENSD_INSE_IS9_EEEEjNS1_19radix_merge_compareILb0ELb0EjNS0_19identity_decomposerEEEEE10hipError_tT0_T1_T2_jT3_P12ihipStream_tbPNSt15iterator_traitsISN_E10value_typeEPNST_ISO_E10value_typeEPSP_NS1_7vsmem_tEENKUlT_SN_SO_SP_E_clIPjSG_PS9_SI_EESM_S12_SN_SO_SP_EUlS12_E1_NS1_11comp_targetILNS1_3genE4ELNS1_11target_archE910ELNS1_3gpuE8ELNS1_3repE0EEENS1_36merge_oddeven_config_static_selectorELNS0_4arch9wavefront6targetE0EEEvSO_
                                        ; -- End function
	.set _ZN7rocprim17ROCPRIM_400000_NS6detail17trampoline_kernelINS0_14default_configENS1_38merge_sort_block_merge_config_selectorIjN6thrust23THRUST_200600_302600_NS5tupleIffNS6_9null_typeES8_S8_S8_S8_S8_S8_S8_EEEEZZNS1_27merge_sort_block_merge_implIS3_NS6_6detail15normal_iteratorINS6_10device_ptrIjEEEENSD_INSE_IS9_EEEEjNS1_19radix_merge_compareILb0ELb0EjNS0_19identity_decomposerEEEEE10hipError_tT0_T1_T2_jT3_P12ihipStream_tbPNSt15iterator_traitsISN_E10value_typeEPNST_ISO_E10value_typeEPSP_NS1_7vsmem_tEENKUlT_SN_SO_SP_E_clIPjSG_PS9_SI_EESM_S12_SN_SO_SP_EUlS12_E1_NS1_11comp_targetILNS1_3genE4ELNS1_11target_archE910ELNS1_3gpuE8ELNS1_3repE0EEENS1_36merge_oddeven_config_static_selectorELNS0_4arch9wavefront6targetE0EEEvSO_.num_vgpr, 0
	.set _ZN7rocprim17ROCPRIM_400000_NS6detail17trampoline_kernelINS0_14default_configENS1_38merge_sort_block_merge_config_selectorIjN6thrust23THRUST_200600_302600_NS5tupleIffNS6_9null_typeES8_S8_S8_S8_S8_S8_S8_EEEEZZNS1_27merge_sort_block_merge_implIS3_NS6_6detail15normal_iteratorINS6_10device_ptrIjEEEENSD_INSE_IS9_EEEEjNS1_19radix_merge_compareILb0ELb0EjNS0_19identity_decomposerEEEEE10hipError_tT0_T1_T2_jT3_P12ihipStream_tbPNSt15iterator_traitsISN_E10value_typeEPNST_ISO_E10value_typeEPSP_NS1_7vsmem_tEENKUlT_SN_SO_SP_E_clIPjSG_PS9_SI_EESM_S12_SN_SO_SP_EUlS12_E1_NS1_11comp_targetILNS1_3genE4ELNS1_11target_archE910ELNS1_3gpuE8ELNS1_3repE0EEENS1_36merge_oddeven_config_static_selectorELNS0_4arch9wavefront6targetE0EEEvSO_.num_agpr, 0
	.set _ZN7rocprim17ROCPRIM_400000_NS6detail17trampoline_kernelINS0_14default_configENS1_38merge_sort_block_merge_config_selectorIjN6thrust23THRUST_200600_302600_NS5tupleIffNS6_9null_typeES8_S8_S8_S8_S8_S8_S8_EEEEZZNS1_27merge_sort_block_merge_implIS3_NS6_6detail15normal_iteratorINS6_10device_ptrIjEEEENSD_INSE_IS9_EEEEjNS1_19radix_merge_compareILb0ELb0EjNS0_19identity_decomposerEEEEE10hipError_tT0_T1_T2_jT3_P12ihipStream_tbPNSt15iterator_traitsISN_E10value_typeEPNST_ISO_E10value_typeEPSP_NS1_7vsmem_tEENKUlT_SN_SO_SP_E_clIPjSG_PS9_SI_EESM_S12_SN_SO_SP_EUlS12_E1_NS1_11comp_targetILNS1_3genE4ELNS1_11target_archE910ELNS1_3gpuE8ELNS1_3repE0EEENS1_36merge_oddeven_config_static_selectorELNS0_4arch9wavefront6targetE0EEEvSO_.numbered_sgpr, 0
	.set _ZN7rocprim17ROCPRIM_400000_NS6detail17trampoline_kernelINS0_14default_configENS1_38merge_sort_block_merge_config_selectorIjN6thrust23THRUST_200600_302600_NS5tupleIffNS6_9null_typeES8_S8_S8_S8_S8_S8_S8_EEEEZZNS1_27merge_sort_block_merge_implIS3_NS6_6detail15normal_iteratorINS6_10device_ptrIjEEEENSD_INSE_IS9_EEEEjNS1_19radix_merge_compareILb0ELb0EjNS0_19identity_decomposerEEEEE10hipError_tT0_T1_T2_jT3_P12ihipStream_tbPNSt15iterator_traitsISN_E10value_typeEPNST_ISO_E10value_typeEPSP_NS1_7vsmem_tEENKUlT_SN_SO_SP_E_clIPjSG_PS9_SI_EESM_S12_SN_SO_SP_EUlS12_E1_NS1_11comp_targetILNS1_3genE4ELNS1_11target_archE910ELNS1_3gpuE8ELNS1_3repE0EEENS1_36merge_oddeven_config_static_selectorELNS0_4arch9wavefront6targetE0EEEvSO_.num_named_barrier, 0
	.set _ZN7rocprim17ROCPRIM_400000_NS6detail17trampoline_kernelINS0_14default_configENS1_38merge_sort_block_merge_config_selectorIjN6thrust23THRUST_200600_302600_NS5tupleIffNS6_9null_typeES8_S8_S8_S8_S8_S8_S8_EEEEZZNS1_27merge_sort_block_merge_implIS3_NS6_6detail15normal_iteratorINS6_10device_ptrIjEEEENSD_INSE_IS9_EEEEjNS1_19radix_merge_compareILb0ELb0EjNS0_19identity_decomposerEEEEE10hipError_tT0_T1_T2_jT3_P12ihipStream_tbPNSt15iterator_traitsISN_E10value_typeEPNST_ISO_E10value_typeEPSP_NS1_7vsmem_tEENKUlT_SN_SO_SP_E_clIPjSG_PS9_SI_EESM_S12_SN_SO_SP_EUlS12_E1_NS1_11comp_targetILNS1_3genE4ELNS1_11target_archE910ELNS1_3gpuE8ELNS1_3repE0EEENS1_36merge_oddeven_config_static_selectorELNS0_4arch9wavefront6targetE0EEEvSO_.private_seg_size, 0
	.set _ZN7rocprim17ROCPRIM_400000_NS6detail17trampoline_kernelINS0_14default_configENS1_38merge_sort_block_merge_config_selectorIjN6thrust23THRUST_200600_302600_NS5tupleIffNS6_9null_typeES8_S8_S8_S8_S8_S8_S8_EEEEZZNS1_27merge_sort_block_merge_implIS3_NS6_6detail15normal_iteratorINS6_10device_ptrIjEEEENSD_INSE_IS9_EEEEjNS1_19radix_merge_compareILb0ELb0EjNS0_19identity_decomposerEEEEE10hipError_tT0_T1_T2_jT3_P12ihipStream_tbPNSt15iterator_traitsISN_E10value_typeEPNST_ISO_E10value_typeEPSP_NS1_7vsmem_tEENKUlT_SN_SO_SP_E_clIPjSG_PS9_SI_EESM_S12_SN_SO_SP_EUlS12_E1_NS1_11comp_targetILNS1_3genE4ELNS1_11target_archE910ELNS1_3gpuE8ELNS1_3repE0EEENS1_36merge_oddeven_config_static_selectorELNS0_4arch9wavefront6targetE0EEEvSO_.uses_vcc, 0
	.set _ZN7rocprim17ROCPRIM_400000_NS6detail17trampoline_kernelINS0_14default_configENS1_38merge_sort_block_merge_config_selectorIjN6thrust23THRUST_200600_302600_NS5tupleIffNS6_9null_typeES8_S8_S8_S8_S8_S8_S8_EEEEZZNS1_27merge_sort_block_merge_implIS3_NS6_6detail15normal_iteratorINS6_10device_ptrIjEEEENSD_INSE_IS9_EEEEjNS1_19radix_merge_compareILb0ELb0EjNS0_19identity_decomposerEEEEE10hipError_tT0_T1_T2_jT3_P12ihipStream_tbPNSt15iterator_traitsISN_E10value_typeEPNST_ISO_E10value_typeEPSP_NS1_7vsmem_tEENKUlT_SN_SO_SP_E_clIPjSG_PS9_SI_EESM_S12_SN_SO_SP_EUlS12_E1_NS1_11comp_targetILNS1_3genE4ELNS1_11target_archE910ELNS1_3gpuE8ELNS1_3repE0EEENS1_36merge_oddeven_config_static_selectorELNS0_4arch9wavefront6targetE0EEEvSO_.uses_flat_scratch, 0
	.set _ZN7rocprim17ROCPRIM_400000_NS6detail17trampoline_kernelINS0_14default_configENS1_38merge_sort_block_merge_config_selectorIjN6thrust23THRUST_200600_302600_NS5tupleIffNS6_9null_typeES8_S8_S8_S8_S8_S8_S8_EEEEZZNS1_27merge_sort_block_merge_implIS3_NS6_6detail15normal_iteratorINS6_10device_ptrIjEEEENSD_INSE_IS9_EEEEjNS1_19radix_merge_compareILb0ELb0EjNS0_19identity_decomposerEEEEE10hipError_tT0_T1_T2_jT3_P12ihipStream_tbPNSt15iterator_traitsISN_E10value_typeEPNST_ISO_E10value_typeEPSP_NS1_7vsmem_tEENKUlT_SN_SO_SP_E_clIPjSG_PS9_SI_EESM_S12_SN_SO_SP_EUlS12_E1_NS1_11comp_targetILNS1_3genE4ELNS1_11target_archE910ELNS1_3gpuE8ELNS1_3repE0EEENS1_36merge_oddeven_config_static_selectorELNS0_4arch9wavefront6targetE0EEEvSO_.has_dyn_sized_stack, 0
	.set _ZN7rocprim17ROCPRIM_400000_NS6detail17trampoline_kernelINS0_14default_configENS1_38merge_sort_block_merge_config_selectorIjN6thrust23THRUST_200600_302600_NS5tupleIffNS6_9null_typeES8_S8_S8_S8_S8_S8_S8_EEEEZZNS1_27merge_sort_block_merge_implIS3_NS6_6detail15normal_iteratorINS6_10device_ptrIjEEEENSD_INSE_IS9_EEEEjNS1_19radix_merge_compareILb0ELb0EjNS0_19identity_decomposerEEEEE10hipError_tT0_T1_T2_jT3_P12ihipStream_tbPNSt15iterator_traitsISN_E10value_typeEPNST_ISO_E10value_typeEPSP_NS1_7vsmem_tEENKUlT_SN_SO_SP_E_clIPjSG_PS9_SI_EESM_S12_SN_SO_SP_EUlS12_E1_NS1_11comp_targetILNS1_3genE4ELNS1_11target_archE910ELNS1_3gpuE8ELNS1_3repE0EEENS1_36merge_oddeven_config_static_selectorELNS0_4arch9wavefront6targetE0EEEvSO_.has_recursion, 0
	.set _ZN7rocprim17ROCPRIM_400000_NS6detail17trampoline_kernelINS0_14default_configENS1_38merge_sort_block_merge_config_selectorIjN6thrust23THRUST_200600_302600_NS5tupleIffNS6_9null_typeES8_S8_S8_S8_S8_S8_S8_EEEEZZNS1_27merge_sort_block_merge_implIS3_NS6_6detail15normal_iteratorINS6_10device_ptrIjEEEENSD_INSE_IS9_EEEEjNS1_19radix_merge_compareILb0ELb0EjNS0_19identity_decomposerEEEEE10hipError_tT0_T1_T2_jT3_P12ihipStream_tbPNSt15iterator_traitsISN_E10value_typeEPNST_ISO_E10value_typeEPSP_NS1_7vsmem_tEENKUlT_SN_SO_SP_E_clIPjSG_PS9_SI_EESM_S12_SN_SO_SP_EUlS12_E1_NS1_11comp_targetILNS1_3genE4ELNS1_11target_archE910ELNS1_3gpuE8ELNS1_3repE0EEENS1_36merge_oddeven_config_static_selectorELNS0_4arch9wavefront6targetE0EEEvSO_.has_indirect_call, 0
	.section	.AMDGPU.csdata,"",@progbits
; Kernel info:
; codeLenInByte = 0
; TotalNumSgprs: 0
; NumVgprs: 0
; ScratchSize: 0
; MemoryBound: 0
; FloatMode: 240
; IeeeMode: 1
; LDSByteSize: 0 bytes/workgroup (compile time only)
; SGPRBlocks: 0
; VGPRBlocks: 0
; NumSGPRsForWavesPerEU: 1
; NumVGPRsForWavesPerEU: 1
; NamedBarCnt: 0
; Occupancy: 16
; WaveLimiterHint : 0
; COMPUTE_PGM_RSRC2:SCRATCH_EN: 0
; COMPUTE_PGM_RSRC2:USER_SGPR: 2
; COMPUTE_PGM_RSRC2:TRAP_HANDLER: 0
; COMPUTE_PGM_RSRC2:TGID_X_EN: 1
; COMPUTE_PGM_RSRC2:TGID_Y_EN: 0
; COMPUTE_PGM_RSRC2:TGID_Z_EN: 0
; COMPUTE_PGM_RSRC2:TIDIG_COMP_CNT: 0
	.section	.text._ZN7rocprim17ROCPRIM_400000_NS6detail17trampoline_kernelINS0_14default_configENS1_38merge_sort_block_merge_config_selectorIjN6thrust23THRUST_200600_302600_NS5tupleIffNS6_9null_typeES8_S8_S8_S8_S8_S8_S8_EEEEZZNS1_27merge_sort_block_merge_implIS3_NS6_6detail15normal_iteratorINS6_10device_ptrIjEEEENSD_INSE_IS9_EEEEjNS1_19radix_merge_compareILb0ELb0EjNS0_19identity_decomposerEEEEE10hipError_tT0_T1_T2_jT3_P12ihipStream_tbPNSt15iterator_traitsISN_E10value_typeEPNST_ISO_E10value_typeEPSP_NS1_7vsmem_tEENKUlT_SN_SO_SP_E_clIPjSG_PS9_SI_EESM_S12_SN_SO_SP_EUlS12_E1_NS1_11comp_targetILNS1_3genE3ELNS1_11target_archE908ELNS1_3gpuE7ELNS1_3repE0EEENS1_36merge_oddeven_config_static_selectorELNS0_4arch9wavefront6targetE0EEEvSO_,"axG",@progbits,_ZN7rocprim17ROCPRIM_400000_NS6detail17trampoline_kernelINS0_14default_configENS1_38merge_sort_block_merge_config_selectorIjN6thrust23THRUST_200600_302600_NS5tupleIffNS6_9null_typeES8_S8_S8_S8_S8_S8_S8_EEEEZZNS1_27merge_sort_block_merge_implIS3_NS6_6detail15normal_iteratorINS6_10device_ptrIjEEEENSD_INSE_IS9_EEEEjNS1_19radix_merge_compareILb0ELb0EjNS0_19identity_decomposerEEEEE10hipError_tT0_T1_T2_jT3_P12ihipStream_tbPNSt15iterator_traitsISN_E10value_typeEPNST_ISO_E10value_typeEPSP_NS1_7vsmem_tEENKUlT_SN_SO_SP_E_clIPjSG_PS9_SI_EESM_S12_SN_SO_SP_EUlS12_E1_NS1_11comp_targetILNS1_3genE3ELNS1_11target_archE908ELNS1_3gpuE7ELNS1_3repE0EEENS1_36merge_oddeven_config_static_selectorELNS0_4arch9wavefront6targetE0EEEvSO_,comdat
	.protected	_ZN7rocprim17ROCPRIM_400000_NS6detail17trampoline_kernelINS0_14default_configENS1_38merge_sort_block_merge_config_selectorIjN6thrust23THRUST_200600_302600_NS5tupleIffNS6_9null_typeES8_S8_S8_S8_S8_S8_S8_EEEEZZNS1_27merge_sort_block_merge_implIS3_NS6_6detail15normal_iteratorINS6_10device_ptrIjEEEENSD_INSE_IS9_EEEEjNS1_19radix_merge_compareILb0ELb0EjNS0_19identity_decomposerEEEEE10hipError_tT0_T1_T2_jT3_P12ihipStream_tbPNSt15iterator_traitsISN_E10value_typeEPNST_ISO_E10value_typeEPSP_NS1_7vsmem_tEENKUlT_SN_SO_SP_E_clIPjSG_PS9_SI_EESM_S12_SN_SO_SP_EUlS12_E1_NS1_11comp_targetILNS1_3genE3ELNS1_11target_archE908ELNS1_3gpuE7ELNS1_3repE0EEENS1_36merge_oddeven_config_static_selectorELNS0_4arch9wavefront6targetE0EEEvSO_ ; -- Begin function _ZN7rocprim17ROCPRIM_400000_NS6detail17trampoline_kernelINS0_14default_configENS1_38merge_sort_block_merge_config_selectorIjN6thrust23THRUST_200600_302600_NS5tupleIffNS6_9null_typeES8_S8_S8_S8_S8_S8_S8_EEEEZZNS1_27merge_sort_block_merge_implIS3_NS6_6detail15normal_iteratorINS6_10device_ptrIjEEEENSD_INSE_IS9_EEEEjNS1_19radix_merge_compareILb0ELb0EjNS0_19identity_decomposerEEEEE10hipError_tT0_T1_T2_jT3_P12ihipStream_tbPNSt15iterator_traitsISN_E10value_typeEPNST_ISO_E10value_typeEPSP_NS1_7vsmem_tEENKUlT_SN_SO_SP_E_clIPjSG_PS9_SI_EESM_S12_SN_SO_SP_EUlS12_E1_NS1_11comp_targetILNS1_3genE3ELNS1_11target_archE908ELNS1_3gpuE7ELNS1_3repE0EEENS1_36merge_oddeven_config_static_selectorELNS0_4arch9wavefront6targetE0EEEvSO_
	.globl	_ZN7rocprim17ROCPRIM_400000_NS6detail17trampoline_kernelINS0_14default_configENS1_38merge_sort_block_merge_config_selectorIjN6thrust23THRUST_200600_302600_NS5tupleIffNS6_9null_typeES8_S8_S8_S8_S8_S8_S8_EEEEZZNS1_27merge_sort_block_merge_implIS3_NS6_6detail15normal_iteratorINS6_10device_ptrIjEEEENSD_INSE_IS9_EEEEjNS1_19radix_merge_compareILb0ELb0EjNS0_19identity_decomposerEEEEE10hipError_tT0_T1_T2_jT3_P12ihipStream_tbPNSt15iterator_traitsISN_E10value_typeEPNST_ISO_E10value_typeEPSP_NS1_7vsmem_tEENKUlT_SN_SO_SP_E_clIPjSG_PS9_SI_EESM_S12_SN_SO_SP_EUlS12_E1_NS1_11comp_targetILNS1_3genE3ELNS1_11target_archE908ELNS1_3gpuE7ELNS1_3repE0EEENS1_36merge_oddeven_config_static_selectorELNS0_4arch9wavefront6targetE0EEEvSO_
	.p2align	8
	.type	_ZN7rocprim17ROCPRIM_400000_NS6detail17trampoline_kernelINS0_14default_configENS1_38merge_sort_block_merge_config_selectorIjN6thrust23THRUST_200600_302600_NS5tupleIffNS6_9null_typeES8_S8_S8_S8_S8_S8_S8_EEEEZZNS1_27merge_sort_block_merge_implIS3_NS6_6detail15normal_iteratorINS6_10device_ptrIjEEEENSD_INSE_IS9_EEEEjNS1_19radix_merge_compareILb0ELb0EjNS0_19identity_decomposerEEEEE10hipError_tT0_T1_T2_jT3_P12ihipStream_tbPNSt15iterator_traitsISN_E10value_typeEPNST_ISO_E10value_typeEPSP_NS1_7vsmem_tEENKUlT_SN_SO_SP_E_clIPjSG_PS9_SI_EESM_S12_SN_SO_SP_EUlS12_E1_NS1_11comp_targetILNS1_3genE3ELNS1_11target_archE908ELNS1_3gpuE7ELNS1_3repE0EEENS1_36merge_oddeven_config_static_selectorELNS0_4arch9wavefront6targetE0EEEvSO_,@function
_ZN7rocprim17ROCPRIM_400000_NS6detail17trampoline_kernelINS0_14default_configENS1_38merge_sort_block_merge_config_selectorIjN6thrust23THRUST_200600_302600_NS5tupleIffNS6_9null_typeES8_S8_S8_S8_S8_S8_S8_EEEEZZNS1_27merge_sort_block_merge_implIS3_NS6_6detail15normal_iteratorINS6_10device_ptrIjEEEENSD_INSE_IS9_EEEEjNS1_19radix_merge_compareILb0ELb0EjNS0_19identity_decomposerEEEEE10hipError_tT0_T1_T2_jT3_P12ihipStream_tbPNSt15iterator_traitsISN_E10value_typeEPNST_ISO_E10value_typeEPSP_NS1_7vsmem_tEENKUlT_SN_SO_SP_E_clIPjSG_PS9_SI_EESM_S12_SN_SO_SP_EUlS12_E1_NS1_11comp_targetILNS1_3genE3ELNS1_11target_archE908ELNS1_3gpuE7ELNS1_3repE0EEENS1_36merge_oddeven_config_static_selectorELNS0_4arch9wavefront6targetE0EEEvSO_: ; @_ZN7rocprim17ROCPRIM_400000_NS6detail17trampoline_kernelINS0_14default_configENS1_38merge_sort_block_merge_config_selectorIjN6thrust23THRUST_200600_302600_NS5tupleIffNS6_9null_typeES8_S8_S8_S8_S8_S8_S8_EEEEZZNS1_27merge_sort_block_merge_implIS3_NS6_6detail15normal_iteratorINS6_10device_ptrIjEEEENSD_INSE_IS9_EEEEjNS1_19radix_merge_compareILb0ELb0EjNS0_19identity_decomposerEEEEE10hipError_tT0_T1_T2_jT3_P12ihipStream_tbPNSt15iterator_traitsISN_E10value_typeEPNST_ISO_E10value_typeEPSP_NS1_7vsmem_tEENKUlT_SN_SO_SP_E_clIPjSG_PS9_SI_EESM_S12_SN_SO_SP_EUlS12_E1_NS1_11comp_targetILNS1_3genE3ELNS1_11target_archE908ELNS1_3gpuE7ELNS1_3repE0EEENS1_36merge_oddeven_config_static_selectorELNS0_4arch9wavefront6targetE0EEEvSO_
; %bb.0:
	.section	.rodata,"a",@progbits
	.p2align	6, 0x0
	.amdhsa_kernel _ZN7rocprim17ROCPRIM_400000_NS6detail17trampoline_kernelINS0_14default_configENS1_38merge_sort_block_merge_config_selectorIjN6thrust23THRUST_200600_302600_NS5tupleIffNS6_9null_typeES8_S8_S8_S8_S8_S8_S8_EEEEZZNS1_27merge_sort_block_merge_implIS3_NS6_6detail15normal_iteratorINS6_10device_ptrIjEEEENSD_INSE_IS9_EEEEjNS1_19radix_merge_compareILb0ELb0EjNS0_19identity_decomposerEEEEE10hipError_tT0_T1_T2_jT3_P12ihipStream_tbPNSt15iterator_traitsISN_E10value_typeEPNST_ISO_E10value_typeEPSP_NS1_7vsmem_tEENKUlT_SN_SO_SP_E_clIPjSG_PS9_SI_EESM_S12_SN_SO_SP_EUlS12_E1_NS1_11comp_targetILNS1_3genE3ELNS1_11target_archE908ELNS1_3gpuE7ELNS1_3repE0EEENS1_36merge_oddeven_config_static_selectorELNS0_4arch9wavefront6targetE0EEEvSO_
		.amdhsa_group_segment_fixed_size 0
		.amdhsa_private_segment_fixed_size 0
		.amdhsa_kernarg_size 48
		.amdhsa_user_sgpr_count 2
		.amdhsa_user_sgpr_dispatch_ptr 0
		.amdhsa_user_sgpr_queue_ptr 0
		.amdhsa_user_sgpr_kernarg_segment_ptr 1
		.amdhsa_user_sgpr_dispatch_id 0
		.amdhsa_user_sgpr_kernarg_preload_length 0
		.amdhsa_user_sgpr_kernarg_preload_offset 0
		.amdhsa_user_sgpr_private_segment_size 0
		.amdhsa_wavefront_size32 1
		.amdhsa_uses_dynamic_stack 0
		.amdhsa_enable_private_segment 0
		.amdhsa_system_sgpr_workgroup_id_x 1
		.amdhsa_system_sgpr_workgroup_id_y 0
		.amdhsa_system_sgpr_workgroup_id_z 0
		.amdhsa_system_sgpr_workgroup_info 0
		.amdhsa_system_vgpr_workitem_id 0
		.amdhsa_next_free_vgpr 1
		.amdhsa_next_free_sgpr 1
		.amdhsa_named_barrier_count 0
		.amdhsa_reserve_vcc 0
		.amdhsa_float_round_mode_32 0
		.amdhsa_float_round_mode_16_64 0
		.amdhsa_float_denorm_mode_32 3
		.amdhsa_float_denorm_mode_16_64 3
		.amdhsa_fp16_overflow 0
		.amdhsa_memory_ordered 1
		.amdhsa_forward_progress 1
		.amdhsa_inst_pref_size 0
		.amdhsa_round_robin_scheduling 0
		.amdhsa_exception_fp_ieee_invalid_op 0
		.amdhsa_exception_fp_denorm_src 0
		.amdhsa_exception_fp_ieee_div_zero 0
		.amdhsa_exception_fp_ieee_overflow 0
		.amdhsa_exception_fp_ieee_underflow 0
		.amdhsa_exception_fp_ieee_inexact 0
		.amdhsa_exception_int_div_zero 0
	.end_amdhsa_kernel
	.section	.text._ZN7rocprim17ROCPRIM_400000_NS6detail17trampoline_kernelINS0_14default_configENS1_38merge_sort_block_merge_config_selectorIjN6thrust23THRUST_200600_302600_NS5tupleIffNS6_9null_typeES8_S8_S8_S8_S8_S8_S8_EEEEZZNS1_27merge_sort_block_merge_implIS3_NS6_6detail15normal_iteratorINS6_10device_ptrIjEEEENSD_INSE_IS9_EEEEjNS1_19radix_merge_compareILb0ELb0EjNS0_19identity_decomposerEEEEE10hipError_tT0_T1_T2_jT3_P12ihipStream_tbPNSt15iterator_traitsISN_E10value_typeEPNST_ISO_E10value_typeEPSP_NS1_7vsmem_tEENKUlT_SN_SO_SP_E_clIPjSG_PS9_SI_EESM_S12_SN_SO_SP_EUlS12_E1_NS1_11comp_targetILNS1_3genE3ELNS1_11target_archE908ELNS1_3gpuE7ELNS1_3repE0EEENS1_36merge_oddeven_config_static_selectorELNS0_4arch9wavefront6targetE0EEEvSO_,"axG",@progbits,_ZN7rocprim17ROCPRIM_400000_NS6detail17trampoline_kernelINS0_14default_configENS1_38merge_sort_block_merge_config_selectorIjN6thrust23THRUST_200600_302600_NS5tupleIffNS6_9null_typeES8_S8_S8_S8_S8_S8_S8_EEEEZZNS1_27merge_sort_block_merge_implIS3_NS6_6detail15normal_iteratorINS6_10device_ptrIjEEEENSD_INSE_IS9_EEEEjNS1_19radix_merge_compareILb0ELb0EjNS0_19identity_decomposerEEEEE10hipError_tT0_T1_T2_jT3_P12ihipStream_tbPNSt15iterator_traitsISN_E10value_typeEPNST_ISO_E10value_typeEPSP_NS1_7vsmem_tEENKUlT_SN_SO_SP_E_clIPjSG_PS9_SI_EESM_S12_SN_SO_SP_EUlS12_E1_NS1_11comp_targetILNS1_3genE3ELNS1_11target_archE908ELNS1_3gpuE7ELNS1_3repE0EEENS1_36merge_oddeven_config_static_selectorELNS0_4arch9wavefront6targetE0EEEvSO_,comdat
.Lfunc_end45:
	.size	_ZN7rocprim17ROCPRIM_400000_NS6detail17trampoline_kernelINS0_14default_configENS1_38merge_sort_block_merge_config_selectorIjN6thrust23THRUST_200600_302600_NS5tupleIffNS6_9null_typeES8_S8_S8_S8_S8_S8_S8_EEEEZZNS1_27merge_sort_block_merge_implIS3_NS6_6detail15normal_iteratorINS6_10device_ptrIjEEEENSD_INSE_IS9_EEEEjNS1_19radix_merge_compareILb0ELb0EjNS0_19identity_decomposerEEEEE10hipError_tT0_T1_T2_jT3_P12ihipStream_tbPNSt15iterator_traitsISN_E10value_typeEPNST_ISO_E10value_typeEPSP_NS1_7vsmem_tEENKUlT_SN_SO_SP_E_clIPjSG_PS9_SI_EESM_S12_SN_SO_SP_EUlS12_E1_NS1_11comp_targetILNS1_3genE3ELNS1_11target_archE908ELNS1_3gpuE7ELNS1_3repE0EEENS1_36merge_oddeven_config_static_selectorELNS0_4arch9wavefront6targetE0EEEvSO_, .Lfunc_end45-_ZN7rocprim17ROCPRIM_400000_NS6detail17trampoline_kernelINS0_14default_configENS1_38merge_sort_block_merge_config_selectorIjN6thrust23THRUST_200600_302600_NS5tupleIffNS6_9null_typeES8_S8_S8_S8_S8_S8_S8_EEEEZZNS1_27merge_sort_block_merge_implIS3_NS6_6detail15normal_iteratorINS6_10device_ptrIjEEEENSD_INSE_IS9_EEEEjNS1_19radix_merge_compareILb0ELb0EjNS0_19identity_decomposerEEEEE10hipError_tT0_T1_T2_jT3_P12ihipStream_tbPNSt15iterator_traitsISN_E10value_typeEPNST_ISO_E10value_typeEPSP_NS1_7vsmem_tEENKUlT_SN_SO_SP_E_clIPjSG_PS9_SI_EESM_S12_SN_SO_SP_EUlS12_E1_NS1_11comp_targetILNS1_3genE3ELNS1_11target_archE908ELNS1_3gpuE7ELNS1_3repE0EEENS1_36merge_oddeven_config_static_selectorELNS0_4arch9wavefront6targetE0EEEvSO_
                                        ; -- End function
	.set _ZN7rocprim17ROCPRIM_400000_NS6detail17trampoline_kernelINS0_14default_configENS1_38merge_sort_block_merge_config_selectorIjN6thrust23THRUST_200600_302600_NS5tupleIffNS6_9null_typeES8_S8_S8_S8_S8_S8_S8_EEEEZZNS1_27merge_sort_block_merge_implIS3_NS6_6detail15normal_iteratorINS6_10device_ptrIjEEEENSD_INSE_IS9_EEEEjNS1_19radix_merge_compareILb0ELb0EjNS0_19identity_decomposerEEEEE10hipError_tT0_T1_T2_jT3_P12ihipStream_tbPNSt15iterator_traitsISN_E10value_typeEPNST_ISO_E10value_typeEPSP_NS1_7vsmem_tEENKUlT_SN_SO_SP_E_clIPjSG_PS9_SI_EESM_S12_SN_SO_SP_EUlS12_E1_NS1_11comp_targetILNS1_3genE3ELNS1_11target_archE908ELNS1_3gpuE7ELNS1_3repE0EEENS1_36merge_oddeven_config_static_selectorELNS0_4arch9wavefront6targetE0EEEvSO_.num_vgpr, 0
	.set _ZN7rocprim17ROCPRIM_400000_NS6detail17trampoline_kernelINS0_14default_configENS1_38merge_sort_block_merge_config_selectorIjN6thrust23THRUST_200600_302600_NS5tupleIffNS6_9null_typeES8_S8_S8_S8_S8_S8_S8_EEEEZZNS1_27merge_sort_block_merge_implIS3_NS6_6detail15normal_iteratorINS6_10device_ptrIjEEEENSD_INSE_IS9_EEEEjNS1_19radix_merge_compareILb0ELb0EjNS0_19identity_decomposerEEEEE10hipError_tT0_T1_T2_jT3_P12ihipStream_tbPNSt15iterator_traitsISN_E10value_typeEPNST_ISO_E10value_typeEPSP_NS1_7vsmem_tEENKUlT_SN_SO_SP_E_clIPjSG_PS9_SI_EESM_S12_SN_SO_SP_EUlS12_E1_NS1_11comp_targetILNS1_3genE3ELNS1_11target_archE908ELNS1_3gpuE7ELNS1_3repE0EEENS1_36merge_oddeven_config_static_selectorELNS0_4arch9wavefront6targetE0EEEvSO_.num_agpr, 0
	.set _ZN7rocprim17ROCPRIM_400000_NS6detail17trampoline_kernelINS0_14default_configENS1_38merge_sort_block_merge_config_selectorIjN6thrust23THRUST_200600_302600_NS5tupleIffNS6_9null_typeES8_S8_S8_S8_S8_S8_S8_EEEEZZNS1_27merge_sort_block_merge_implIS3_NS6_6detail15normal_iteratorINS6_10device_ptrIjEEEENSD_INSE_IS9_EEEEjNS1_19radix_merge_compareILb0ELb0EjNS0_19identity_decomposerEEEEE10hipError_tT0_T1_T2_jT3_P12ihipStream_tbPNSt15iterator_traitsISN_E10value_typeEPNST_ISO_E10value_typeEPSP_NS1_7vsmem_tEENKUlT_SN_SO_SP_E_clIPjSG_PS9_SI_EESM_S12_SN_SO_SP_EUlS12_E1_NS1_11comp_targetILNS1_3genE3ELNS1_11target_archE908ELNS1_3gpuE7ELNS1_3repE0EEENS1_36merge_oddeven_config_static_selectorELNS0_4arch9wavefront6targetE0EEEvSO_.numbered_sgpr, 0
	.set _ZN7rocprim17ROCPRIM_400000_NS6detail17trampoline_kernelINS0_14default_configENS1_38merge_sort_block_merge_config_selectorIjN6thrust23THRUST_200600_302600_NS5tupleIffNS6_9null_typeES8_S8_S8_S8_S8_S8_S8_EEEEZZNS1_27merge_sort_block_merge_implIS3_NS6_6detail15normal_iteratorINS6_10device_ptrIjEEEENSD_INSE_IS9_EEEEjNS1_19radix_merge_compareILb0ELb0EjNS0_19identity_decomposerEEEEE10hipError_tT0_T1_T2_jT3_P12ihipStream_tbPNSt15iterator_traitsISN_E10value_typeEPNST_ISO_E10value_typeEPSP_NS1_7vsmem_tEENKUlT_SN_SO_SP_E_clIPjSG_PS9_SI_EESM_S12_SN_SO_SP_EUlS12_E1_NS1_11comp_targetILNS1_3genE3ELNS1_11target_archE908ELNS1_3gpuE7ELNS1_3repE0EEENS1_36merge_oddeven_config_static_selectorELNS0_4arch9wavefront6targetE0EEEvSO_.num_named_barrier, 0
	.set _ZN7rocprim17ROCPRIM_400000_NS6detail17trampoline_kernelINS0_14default_configENS1_38merge_sort_block_merge_config_selectorIjN6thrust23THRUST_200600_302600_NS5tupleIffNS6_9null_typeES8_S8_S8_S8_S8_S8_S8_EEEEZZNS1_27merge_sort_block_merge_implIS3_NS6_6detail15normal_iteratorINS6_10device_ptrIjEEEENSD_INSE_IS9_EEEEjNS1_19radix_merge_compareILb0ELb0EjNS0_19identity_decomposerEEEEE10hipError_tT0_T1_T2_jT3_P12ihipStream_tbPNSt15iterator_traitsISN_E10value_typeEPNST_ISO_E10value_typeEPSP_NS1_7vsmem_tEENKUlT_SN_SO_SP_E_clIPjSG_PS9_SI_EESM_S12_SN_SO_SP_EUlS12_E1_NS1_11comp_targetILNS1_3genE3ELNS1_11target_archE908ELNS1_3gpuE7ELNS1_3repE0EEENS1_36merge_oddeven_config_static_selectorELNS0_4arch9wavefront6targetE0EEEvSO_.private_seg_size, 0
	.set _ZN7rocprim17ROCPRIM_400000_NS6detail17trampoline_kernelINS0_14default_configENS1_38merge_sort_block_merge_config_selectorIjN6thrust23THRUST_200600_302600_NS5tupleIffNS6_9null_typeES8_S8_S8_S8_S8_S8_S8_EEEEZZNS1_27merge_sort_block_merge_implIS3_NS6_6detail15normal_iteratorINS6_10device_ptrIjEEEENSD_INSE_IS9_EEEEjNS1_19radix_merge_compareILb0ELb0EjNS0_19identity_decomposerEEEEE10hipError_tT0_T1_T2_jT3_P12ihipStream_tbPNSt15iterator_traitsISN_E10value_typeEPNST_ISO_E10value_typeEPSP_NS1_7vsmem_tEENKUlT_SN_SO_SP_E_clIPjSG_PS9_SI_EESM_S12_SN_SO_SP_EUlS12_E1_NS1_11comp_targetILNS1_3genE3ELNS1_11target_archE908ELNS1_3gpuE7ELNS1_3repE0EEENS1_36merge_oddeven_config_static_selectorELNS0_4arch9wavefront6targetE0EEEvSO_.uses_vcc, 0
	.set _ZN7rocprim17ROCPRIM_400000_NS6detail17trampoline_kernelINS0_14default_configENS1_38merge_sort_block_merge_config_selectorIjN6thrust23THRUST_200600_302600_NS5tupleIffNS6_9null_typeES8_S8_S8_S8_S8_S8_S8_EEEEZZNS1_27merge_sort_block_merge_implIS3_NS6_6detail15normal_iteratorINS6_10device_ptrIjEEEENSD_INSE_IS9_EEEEjNS1_19radix_merge_compareILb0ELb0EjNS0_19identity_decomposerEEEEE10hipError_tT0_T1_T2_jT3_P12ihipStream_tbPNSt15iterator_traitsISN_E10value_typeEPNST_ISO_E10value_typeEPSP_NS1_7vsmem_tEENKUlT_SN_SO_SP_E_clIPjSG_PS9_SI_EESM_S12_SN_SO_SP_EUlS12_E1_NS1_11comp_targetILNS1_3genE3ELNS1_11target_archE908ELNS1_3gpuE7ELNS1_3repE0EEENS1_36merge_oddeven_config_static_selectorELNS0_4arch9wavefront6targetE0EEEvSO_.uses_flat_scratch, 0
	.set _ZN7rocprim17ROCPRIM_400000_NS6detail17trampoline_kernelINS0_14default_configENS1_38merge_sort_block_merge_config_selectorIjN6thrust23THRUST_200600_302600_NS5tupleIffNS6_9null_typeES8_S8_S8_S8_S8_S8_S8_EEEEZZNS1_27merge_sort_block_merge_implIS3_NS6_6detail15normal_iteratorINS6_10device_ptrIjEEEENSD_INSE_IS9_EEEEjNS1_19radix_merge_compareILb0ELb0EjNS0_19identity_decomposerEEEEE10hipError_tT0_T1_T2_jT3_P12ihipStream_tbPNSt15iterator_traitsISN_E10value_typeEPNST_ISO_E10value_typeEPSP_NS1_7vsmem_tEENKUlT_SN_SO_SP_E_clIPjSG_PS9_SI_EESM_S12_SN_SO_SP_EUlS12_E1_NS1_11comp_targetILNS1_3genE3ELNS1_11target_archE908ELNS1_3gpuE7ELNS1_3repE0EEENS1_36merge_oddeven_config_static_selectorELNS0_4arch9wavefront6targetE0EEEvSO_.has_dyn_sized_stack, 0
	.set _ZN7rocprim17ROCPRIM_400000_NS6detail17trampoline_kernelINS0_14default_configENS1_38merge_sort_block_merge_config_selectorIjN6thrust23THRUST_200600_302600_NS5tupleIffNS6_9null_typeES8_S8_S8_S8_S8_S8_S8_EEEEZZNS1_27merge_sort_block_merge_implIS3_NS6_6detail15normal_iteratorINS6_10device_ptrIjEEEENSD_INSE_IS9_EEEEjNS1_19radix_merge_compareILb0ELb0EjNS0_19identity_decomposerEEEEE10hipError_tT0_T1_T2_jT3_P12ihipStream_tbPNSt15iterator_traitsISN_E10value_typeEPNST_ISO_E10value_typeEPSP_NS1_7vsmem_tEENKUlT_SN_SO_SP_E_clIPjSG_PS9_SI_EESM_S12_SN_SO_SP_EUlS12_E1_NS1_11comp_targetILNS1_3genE3ELNS1_11target_archE908ELNS1_3gpuE7ELNS1_3repE0EEENS1_36merge_oddeven_config_static_selectorELNS0_4arch9wavefront6targetE0EEEvSO_.has_recursion, 0
	.set _ZN7rocprim17ROCPRIM_400000_NS6detail17trampoline_kernelINS0_14default_configENS1_38merge_sort_block_merge_config_selectorIjN6thrust23THRUST_200600_302600_NS5tupleIffNS6_9null_typeES8_S8_S8_S8_S8_S8_S8_EEEEZZNS1_27merge_sort_block_merge_implIS3_NS6_6detail15normal_iteratorINS6_10device_ptrIjEEEENSD_INSE_IS9_EEEEjNS1_19radix_merge_compareILb0ELb0EjNS0_19identity_decomposerEEEEE10hipError_tT0_T1_T2_jT3_P12ihipStream_tbPNSt15iterator_traitsISN_E10value_typeEPNST_ISO_E10value_typeEPSP_NS1_7vsmem_tEENKUlT_SN_SO_SP_E_clIPjSG_PS9_SI_EESM_S12_SN_SO_SP_EUlS12_E1_NS1_11comp_targetILNS1_3genE3ELNS1_11target_archE908ELNS1_3gpuE7ELNS1_3repE0EEENS1_36merge_oddeven_config_static_selectorELNS0_4arch9wavefront6targetE0EEEvSO_.has_indirect_call, 0
	.section	.AMDGPU.csdata,"",@progbits
; Kernel info:
; codeLenInByte = 0
; TotalNumSgprs: 0
; NumVgprs: 0
; ScratchSize: 0
; MemoryBound: 0
; FloatMode: 240
; IeeeMode: 1
; LDSByteSize: 0 bytes/workgroup (compile time only)
; SGPRBlocks: 0
; VGPRBlocks: 0
; NumSGPRsForWavesPerEU: 1
; NumVGPRsForWavesPerEU: 1
; NamedBarCnt: 0
; Occupancy: 16
; WaveLimiterHint : 0
; COMPUTE_PGM_RSRC2:SCRATCH_EN: 0
; COMPUTE_PGM_RSRC2:USER_SGPR: 2
; COMPUTE_PGM_RSRC2:TRAP_HANDLER: 0
; COMPUTE_PGM_RSRC2:TGID_X_EN: 1
; COMPUTE_PGM_RSRC2:TGID_Y_EN: 0
; COMPUTE_PGM_RSRC2:TGID_Z_EN: 0
; COMPUTE_PGM_RSRC2:TIDIG_COMP_CNT: 0
	.section	.text._ZN7rocprim17ROCPRIM_400000_NS6detail17trampoline_kernelINS0_14default_configENS1_38merge_sort_block_merge_config_selectorIjN6thrust23THRUST_200600_302600_NS5tupleIffNS6_9null_typeES8_S8_S8_S8_S8_S8_S8_EEEEZZNS1_27merge_sort_block_merge_implIS3_NS6_6detail15normal_iteratorINS6_10device_ptrIjEEEENSD_INSE_IS9_EEEEjNS1_19radix_merge_compareILb0ELb0EjNS0_19identity_decomposerEEEEE10hipError_tT0_T1_T2_jT3_P12ihipStream_tbPNSt15iterator_traitsISN_E10value_typeEPNST_ISO_E10value_typeEPSP_NS1_7vsmem_tEENKUlT_SN_SO_SP_E_clIPjSG_PS9_SI_EESM_S12_SN_SO_SP_EUlS12_E1_NS1_11comp_targetILNS1_3genE2ELNS1_11target_archE906ELNS1_3gpuE6ELNS1_3repE0EEENS1_36merge_oddeven_config_static_selectorELNS0_4arch9wavefront6targetE0EEEvSO_,"axG",@progbits,_ZN7rocprim17ROCPRIM_400000_NS6detail17trampoline_kernelINS0_14default_configENS1_38merge_sort_block_merge_config_selectorIjN6thrust23THRUST_200600_302600_NS5tupleIffNS6_9null_typeES8_S8_S8_S8_S8_S8_S8_EEEEZZNS1_27merge_sort_block_merge_implIS3_NS6_6detail15normal_iteratorINS6_10device_ptrIjEEEENSD_INSE_IS9_EEEEjNS1_19radix_merge_compareILb0ELb0EjNS0_19identity_decomposerEEEEE10hipError_tT0_T1_T2_jT3_P12ihipStream_tbPNSt15iterator_traitsISN_E10value_typeEPNST_ISO_E10value_typeEPSP_NS1_7vsmem_tEENKUlT_SN_SO_SP_E_clIPjSG_PS9_SI_EESM_S12_SN_SO_SP_EUlS12_E1_NS1_11comp_targetILNS1_3genE2ELNS1_11target_archE906ELNS1_3gpuE6ELNS1_3repE0EEENS1_36merge_oddeven_config_static_selectorELNS0_4arch9wavefront6targetE0EEEvSO_,comdat
	.protected	_ZN7rocprim17ROCPRIM_400000_NS6detail17trampoline_kernelINS0_14default_configENS1_38merge_sort_block_merge_config_selectorIjN6thrust23THRUST_200600_302600_NS5tupleIffNS6_9null_typeES8_S8_S8_S8_S8_S8_S8_EEEEZZNS1_27merge_sort_block_merge_implIS3_NS6_6detail15normal_iteratorINS6_10device_ptrIjEEEENSD_INSE_IS9_EEEEjNS1_19radix_merge_compareILb0ELb0EjNS0_19identity_decomposerEEEEE10hipError_tT0_T1_T2_jT3_P12ihipStream_tbPNSt15iterator_traitsISN_E10value_typeEPNST_ISO_E10value_typeEPSP_NS1_7vsmem_tEENKUlT_SN_SO_SP_E_clIPjSG_PS9_SI_EESM_S12_SN_SO_SP_EUlS12_E1_NS1_11comp_targetILNS1_3genE2ELNS1_11target_archE906ELNS1_3gpuE6ELNS1_3repE0EEENS1_36merge_oddeven_config_static_selectorELNS0_4arch9wavefront6targetE0EEEvSO_ ; -- Begin function _ZN7rocprim17ROCPRIM_400000_NS6detail17trampoline_kernelINS0_14default_configENS1_38merge_sort_block_merge_config_selectorIjN6thrust23THRUST_200600_302600_NS5tupleIffNS6_9null_typeES8_S8_S8_S8_S8_S8_S8_EEEEZZNS1_27merge_sort_block_merge_implIS3_NS6_6detail15normal_iteratorINS6_10device_ptrIjEEEENSD_INSE_IS9_EEEEjNS1_19radix_merge_compareILb0ELb0EjNS0_19identity_decomposerEEEEE10hipError_tT0_T1_T2_jT3_P12ihipStream_tbPNSt15iterator_traitsISN_E10value_typeEPNST_ISO_E10value_typeEPSP_NS1_7vsmem_tEENKUlT_SN_SO_SP_E_clIPjSG_PS9_SI_EESM_S12_SN_SO_SP_EUlS12_E1_NS1_11comp_targetILNS1_3genE2ELNS1_11target_archE906ELNS1_3gpuE6ELNS1_3repE0EEENS1_36merge_oddeven_config_static_selectorELNS0_4arch9wavefront6targetE0EEEvSO_
	.globl	_ZN7rocprim17ROCPRIM_400000_NS6detail17trampoline_kernelINS0_14default_configENS1_38merge_sort_block_merge_config_selectorIjN6thrust23THRUST_200600_302600_NS5tupleIffNS6_9null_typeES8_S8_S8_S8_S8_S8_S8_EEEEZZNS1_27merge_sort_block_merge_implIS3_NS6_6detail15normal_iteratorINS6_10device_ptrIjEEEENSD_INSE_IS9_EEEEjNS1_19radix_merge_compareILb0ELb0EjNS0_19identity_decomposerEEEEE10hipError_tT0_T1_T2_jT3_P12ihipStream_tbPNSt15iterator_traitsISN_E10value_typeEPNST_ISO_E10value_typeEPSP_NS1_7vsmem_tEENKUlT_SN_SO_SP_E_clIPjSG_PS9_SI_EESM_S12_SN_SO_SP_EUlS12_E1_NS1_11comp_targetILNS1_3genE2ELNS1_11target_archE906ELNS1_3gpuE6ELNS1_3repE0EEENS1_36merge_oddeven_config_static_selectorELNS0_4arch9wavefront6targetE0EEEvSO_
	.p2align	8
	.type	_ZN7rocprim17ROCPRIM_400000_NS6detail17trampoline_kernelINS0_14default_configENS1_38merge_sort_block_merge_config_selectorIjN6thrust23THRUST_200600_302600_NS5tupleIffNS6_9null_typeES8_S8_S8_S8_S8_S8_S8_EEEEZZNS1_27merge_sort_block_merge_implIS3_NS6_6detail15normal_iteratorINS6_10device_ptrIjEEEENSD_INSE_IS9_EEEEjNS1_19radix_merge_compareILb0ELb0EjNS0_19identity_decomposerEEEEE10hipError_tT0_T1_T2_jT3_P12ihipStream_tbPNSt15iterator_traitsISN_E10value_typeEPNST_ISO_E10value_typeEPSP_NS1_7vsmem_tEENKUlT_SN_SO_SP_E_clIPjSG_PS9_SI_EESM_S12_SN_SO_SP_EUlS12_E1_NS1_11comp_targetILNS1_3genE2ELNS1_11target_archE906ELNS1_3gpuE6ELNS1_3repE0EEENS1_36merge_oddeven_config_static_selectorELNS0_4arch9wavefront6targetE0EEEvSO_,@function
_ZN7rocprim17ROCPRIM_400000_NS6detail17trampoline_kernelINS0_14default_configENS1_38merge_sort_block_merge_config_selectorIjN6thrust23THRUST_200600_302600_NS5tupleIffNS6_9null_typeES8_S8_S8_S8_S8_S8_S8_EEEEZZNS1_27merge_sort_block_merge_implIS3_NS6_6detail15normal_iteratorINS6_10device_ptrIjEEEENSD_INSE_IS9_EEEEjNS1_19radix_merge_compareILb0ELb0EjNS0_19identity_decomposerEEEEE10hipError_tT0_T1_T2_jT3_P12ihipStream_tbPNSt15iterator_traitsISN_E10value_typeEPNST_ISO_E10value_typeEPSP_NS1_7vsmem_tEENKUlT_SN_SO_SP_E_clIPjSG_PS9_SI_EESM_S12_SN_SO_SP_EUlS12_E1_NS1_11comp_targetILNS1_3genE2ELNS1_11target_archE906ELNS1_3gpuE6ELNS1_3repE0EEENS1_36merge_oddeven_config_static_selectorELNS0_4arch9wavefront6targetE0EEEvSO_: ; @_ZN7rocprim17ROCPRIM_400000_NS6detail17trampoline_kernelINS0_14default_configENS1_38merge_sort_block_merge_config_selectorIjN6thrust23THRUST_200600_302600_NS5tupleIffNS6_9null_typeES8_S8_S8_S8_S8_S8_S8_EEEEZZNS1_27merge_sort_block_merge_implIS3_NS6_6detail15normal_iteratorINS6_10device_ptrIjEEEENSD_INSE_IS9_EEEEjNS1_19radix_merge_compareILb0ELb0EjNS0_19identity_decomposerEEEEE10hipError_tT0_T1_T2_jT3_P12ihipStream_tbPNSt15iterator_traitsISN_E10value_typeEPNST_ISO_E10value_typeEPSP_NS1_7vsmem_tEENKUlT_SN_SO_SP_E_clIPjSG_PS9_SI_EESM_S12_SN_SO_SP_EUlS12_E1_NS1_11comp_targetILNS1_3genE2ELNS1_11target_archE906ELNS1_3gpuE6ELNS1_3repE0EEENS1_36merge_oddeven_config_static_selectorELNS0_4arch9wavefront6targetE0EEEvSO_
; %bb.0:
	.section	.rodata,"a",@progbits
	.p2align	6, 0x0
	.amdhsa_kernel _ZN7rocprim17ROCPRIM_400000_NS6detail17trampoline_kernelINS0_14default_configENS1_38merge_sort_block_merge_config_selectorIjN6thrust23THRUST_200600_302600_NS5tupleIffNS6_9null_typeES8_S8_S8_S8_S8_S8_S8_EEEEZZNS1_27merge_sort_block_merge_implIS3_NS6_6detail15normal_iteratorINS6_10device_ptrIjEEEENSD_INSE_IS9_EEEEjNS1_19radix_merge_compareILb0ELb0EjNS0_19identity_decomposerEEEEE10hipError_tT0_T1_T2_jT3_P12ihipStream_tbPNSt15iterator_traitsISN_E10value_typeEPNST_ISO_E10value_typeEPSP_NS1_7vsmem_tEENKUlT_SN_SO_SP_E_clIPjSG_PS9_SI_EESM_S12_SN_SO_SP_EUlS12_E1_NS1_11comp_targetILNS1_3genE2ELNS1_11target_archE906ELNS1_3gpuE6ELNS1_3repE0EEENS1_36merge_oddeven_config_static_selectorELNS0_4arch9wavefront6targetE0EEEvSO_
		.amdhsa_group_segment_fixed_size 0
		.amdhsa_private_segment_fixed_size 0
		.amdhsa_kernarg_size 48
		.amdhsa_user_sgpr_count 2
		.amdhsa_user_sgpr_dispatch_ptr 0
		.amdhsa_user_sgpr_queue_ptr 0
		.amdhsa_user_sgpr_kernarg_segment_ptr 1
		.amdhsa_user_sgpr_dispatch_id 0
		.amdhsa_user_sgpr_kernarg_preload_length 0
		.amdhsa_user_sgpr_kernarg_preload_offset 0
		.amdhsa_user_sgpr_private_segment_size 0
		.amdhsa_wavefront_size32 1
		.amdhsa_uses_dynamic_stack 0
		.amdhsa_enable_private_segment 0
		.amdhsa_system_sgpr_workgroup_id_x 1
		.amdhsa_system_sgpr_workgroup_id_y 0
		.amdhsa_system_sgpr_workgroup_id_z 0
		.amdhsa_system_sgpr_workgroup_info 0
		.amdhsa_system_vgpr_workitem_id 0
		.amdhsa_next_free_vgpr 1
		.amdhsa_next_free_sgpr 1
		.amdhsa_named_barrier_count 0
		.amdhsa_reserve_vcc 0
		.amdhsa_float_round_mode_32 0
		.amdhsa_float_round_mode_16_64 0
		.amdhsa_float_denorm_mode_32 3
		.amdhsa_float_denorm_mode_16_64 3
		.amdhsa_fp16_overflow 0
		.amdhsa_memory_ordered 1
		.amdhsa_forward_progress 1
		.amdhsa_inst_pref_size 0
		.amdhsa_round_robin_scheduling 0
		.amdhsa_exception_fp_ieee_invalid_op 0
		.amdhsa_exception_fp_denorm_src 0
		.amdhsa_exception_fp_ieee_div_zero 0
		.amdhsa_exception_fp_ieee_overflow 0
		.amdhsa_exception_fp_ieee_underflow 0
		.amdhsa_exception_fp_ieee_inexact 0
		.amdhsa_exception_int_div_zero 0
	.end_amdhsa_kernel
	.section	.text._ZN7rocprim17ROCPRIM_400000_NS6detail17trampoline_kernelINS0_14default_configENS1_38merge_sort_block_merge_config_selectorIjN6thrust23THRUST_200600_302600_NS5tupleIffNS6_9null_typeES8_S8_S8_S8_S8_S8_S8_EEEEZZNS1_27merge_sort_block_merge_implIS3_NS6_6detail15normal_iteratorINS6_10device_ptrIjEEEENSD_INSE_IS9_EEEEjNS1_19radix_merge_compareILb0ELb0EjNS0_19identity_decomposerEEEEE10hipError_tT0_T1_T2_jT3_P12ihipStream_tbPNSt15iterator_traitsISN_E10value_typeEPNST_ISO_E10value_typeEPSP_NS1_7vsmem_tEENKUlT_SN_SO_SP_E_clIPjSG_PS9_SI_EESM_S12_SN_SO_SP_EUlS12_E1_NS1_11comp_targetILNS1_3genE2ELNS1_11target_archE906ELNS1_3gpuE6ELNS1_3repE0EEENS1_36merge_oddeven_config_static_selectorELNS0_4arch9wavefront6targetE0EEEvSO_,"axG",@progbits,_ZN7rocprim17ROCPRIM_400000_NS6detail17trampoline_kernelINS0_14default_configENS1_38merge_sort_block_merge_config_selectorIjN6thrust23THRUST_200600_302600_NS5tupleIffNS6_9null_typeES8_S8_S8_S8_S8_S8_S8_EEEEZZNS1_27merge_sort_block_merge_implIS3_NS6_6detail15normal_iteratorINS6_10device_ptrIjEEEENSD_INSE_IS9_EEEEjNS1_19radix_merge_compareILb0ELb0EjNS0_19identity_decomposerEEEEE10hipError_tT0_T1_T2_jT3_P12ihipStream_tbPNSt15iterator_traitsISN_E10value_typeEPNST_ISO_E10value_typeEPSP_NS1_7vsmem_tEENKUlT_SN_SO_SP_E_clIPjSG_PS9_SI_EESM_S12_SN_SO_SP_EUlS12_E1_NS1_11comp_targetILNS1_3genE2ELNS1_11target_archE906ELNS1_3gpuE6ELNS1_3repE0EEENS1_36merge_oddeven_config_static_selectorELNS0_4arch9wavefront6targetE0EEEvSO_,comdat
.Lfunc_end46:
	.size	_ZN7rocprim17ROCPRIM_400000_NS6detail17trampoline_kernelINS0_14default_configENS1_38merge_sort_block_merge_config_selectorIjN6thrust23THRUST_200600_302600_NS5tupleIffNS6_9null_typeES8_S8_S8_S8_S8_S8_S8_EEEEZZNS1_27merge_sort_block_merge_implIS3_NS6_6detail15normal_iteratorINS6_10device_ptrIjEEEENSD_INSE_IS9_EEEEjNS1_19radix_merge_compareILb0ELb0EjNS0_19identity_decomposerEEEEE10hipError_tT0_T1_T2_jT3_P12ihipStream_tbPNSt15iterator_traitsISN_E10value_typeEPNST_ISO_E10value_typeEPSP_NS1_7vsmem_tEENKUlT_SN_SO_SP_E_clIPjSG_PS9_SI_EESM_S12_SN_SO_SP_EUlS12_E1_NS1_11comp_targetILNS1_3genE2ELNS1_11target_archE906ELNS1_3gpuE6ELNS1_3repE0EEENS1_36merge_oddeven_config_static_selectorELNS0_4arch9wavefront6targetE0EEEvSO_, .Lfunc_end46-_ZN7rocprim17ROCPRIM_400000_NS6detail17trampoline_kernelINS0_14default_configENS1_38merge_sort_block_merge_config_selectorIjN6thrust23THRUST_200600_302600_NS5tupleIffNS6_9null_typeES8_S8_S8_S8_S8_S8_S8_EEEEZZNS1_27merge_sort_block_merge_implIS3_NS6_6detail15normal_iteratorINS6_10device_ptrIjEEEENSD_INSE_IS9_EEEEjNS1_19radix_merge_compareILb0ELb0EjNS0_19identity_decomposerEEEEE10hipError_tT0_T1_T2_jT3_P12ihipStream_tbPNSt15iterator_traitsISN_E10value_typeEPNST_ISO_E10value_typeEPSP_NS1_7vsmem_tEENKUlT_SN_SO_SP_E_clIPjSG_PS9_SI_EESM_S12_SN_SO_SP_EUlS12_E1_NS1_11comp_targetILNS1_3genE2ELNS1_11target_archE906ELNS1_3gpuE6ELNS1_3repE0EEENS1_36merge_oddeven_config_static_selectorELNS0_4arch9wavefront6targetE0EEEvSO_
                                        ; -- End function
	.set _ZN7rocprim17ROCPRIM_400000_NS6detail17trampoline_kernelINS0_14default_configENS1_38merge_sort_block_merge_config_selectorIjN6thrust23THRUST_200600_302600_NS5tupleIffNS6_9null_typeES8_S8_S8_S8_S8_S8_S8_EEEEZZNS1_27merge_sort_block_merge_implIS3_NS6_6detail15normal_iteratorINS6_10device_ptrIjEEEENSD_INSE_IS9_EEEEjNS1_19radix_merge_compareILb0ELb0EjNS0_19identity_decomposerEEEEE10hipError_tT0_T1_T2_jT3_P12ihipStream_tbPNSt15iterator_traitsISN_E10value_typeEPNST_ISO_E10value_typeEPSP_NS1_7vsmem_tEENKUlT_SN_SO_SP_E_clIPjSG_PS9_SI_EESM_S12_SN_SO_SP_EUlS12_E1_NS1_11comp_targetILNS1_3genE2ELNS1_11target_archE906ELNS1_3gpuE6ELNS1_3repE0EEENS1_36merge_oddeven_config_static_selectorELNS0_4arch9wavefront6targetE0EEEvSO_.num_vgpr, 0
	.set _ZN7rocprim17ROCPRIM_400000_NS6detail17trampoline_kernelINS0_14default_configENS1_38merge_sort_block_merge_config_selectorIjN6thrust23THRUST_200600_302600_NS5tupleIffNS6_9null_typeES8_S8_S8_S8_S8_S8_S8_EEEEZZNS1_27merge_sort_block_merge_implIS3_NS6_6detail15normal_iteratorINS6_10device_ptrIjEEEENSD_INSE_IS9_EEEEjNS1_19radix_merge_compareILb0ELb0EjNS0_19identity_decomposerEEEEE10hipError_tT0_T1_T2_jT3_P12ihipStream_tbPNSt15iterator_traitsISN_E10value_typeEPNST_ISO_E10value_typeEPSP_NS1_7vsmem_tEENKUlT_SN_SO_SP_E_clIPjSG_PS9_SI_EESM_S12_SN_SO_SP_EUlS12_E1_NS1_11comp_targetILNS1_3genE2ELNS1_11target_archE906ELNS1_3gpuE6ELNS1_3repE0EEENS1_36merge_oddeven_config_static_selectorELNS0_4arch9wavefront6targetE0EEEvSO_.num_agpr, 0
	.set _ZN7rocprim17ROCPRIM_400000_NS6detail17trampoline_kernelINS0_14default_configENS1_38merge_sort_block_merge_config_selectorIjN6thrust23THRUST_200600_302600_NS5tupleIffNS6_9null_typeES8_S8_S8_S8_S8_S8_S8_EEEEZZNS1_27merge_sort_block_merge_implIS3_NS6_6detail15normal_iteratorINS6_10device_ptrIjEEEENSD_INSE_IS9_EEEEjNS1_19radix_merge_compareILb0ELb0EjNS0_19identity_decomposerEEEEE10hipError_tT0_T1_T2_jT3_P12ihipStream_tbPNSt15iterator_traitsISN_E10value_typeEPNST_ISO_E10value_typeEPSP_NS1_7vsmem_tEENKUlT_SN_SO_SP_E_clIPjSG_PS9_SI_EESM_S12_SN_SO_SP_EUlS12_E1_NS1_11comp_targetILNS1_3genE2ELNS1_11target_archE906ELNS1_3gpuE6ELNS1_3repE0EEENS1_36merge_oddeven_config_static_selectorELNS0_4arch9wavefront6targetE0EEEvSO_.numbered_sgpr, 0
	.set _ZN7rocprim17ROCPRIM_400000_NS6detail17trampoline_kernelINS0_14default_configENS1_38merge_sort_block_merge_config_selectorIjN6thrust23THRUST_200600_302600_NS5tupleIffNS6_9null_typeES8_S8_S8_S8_S8_S8_S8_EEEEZZNS1_27merge_sort_block_merge_implIS3_NS6_6detail15normal_iteratorINS6_10device_ptrIjEEEENSD_INSE_IS9_EEEEjNS1_19radix_merge_compareILb0ELb0EjNS0_19identity_decomposerEEEEE10hipError_tT0_T1_T2_jT3_P12ihipStream_tbPNSt15iterator_traitsISN_E10value_typeEPNST_ISO_E10value_typeEPSP_NS1_7vsmem_tEENKUlT_SN_SO_SP_E_clIPjSG_PS9_SI_EESM_S12_SN_SO_SP_EUlS12_E1_NS1_11comp_targetILNS1_3genE2ELNS1_11target_archE906ELNS1_3gpuE6ELNS1_3repE0EEENS1_36merge_oddeven_config_static_selectorELNS0_4arch9wavefront6targetE0EEEvSO_.num_named_barrier, 0
	.set _ZN7rocprim17ROCPRIM_400000_NS6detail17trampoline_kernelINS0_14default_configENS1_38merge_sort_block_merge_config_selectorIjN6thrust23THRUST_200600_302600_NS5tupleIffNS6_9null_typeES8_S8_S8_S8_S8_S8_S8_EEEEZZNS1_27merge_sort_block_merge_implIS3_NS6_6detail15normal_iteratorINS6_10device_ptrIjEEEENSD_INSE_IS9_EEEEjNS1_19radix_merge_compareILb0ELb0EjNS0_19identity_decomposerEEEEE10hipError_tT0_T1_T2_jT3_P12ihipStream_tbPNSt15iterator_traitsISN_E10value_typeEPNST_ISO_E10value_typeEPSP_NS1_7vsmem_tEENKUlT_SN_SO_SP_E_clIPjSG_PS9_SI_EESM_S12_SN_SO_SP_EUlS12_E1_NS1_11comp_targetILNS1_3genE2ELNS1_11target_archE906ELNS1_3gpuE6ELNS1_3repE0EEENS1_36merge_oddeven_config_static_selectorELNS0_4arch9wavefront6targetE0EEEvSO_.private_seg_size, 0
	.set _ZN7rocprim17ROCPRIM_400000_NS6detail17trampoline_kernelINS0_14default_configENS1_38merge_sort_block_merge_config_selectorIjN6thrust23THRUST_200600_302600_NS5tupleIffNS6_9null_typeES8_S8_S8_S8_S8_S8_S8_EEEEZZNS1_27merge_sort_block_merge_implIS3_NS6_6detail15normal_iteratorINS6_10device_ptrIjEEEENSD_INSE_IS9_EEEEjNS1_19radix_merge_compareILb0ELb0EjNS0_19identity_decomposerEEEEE10hipError_tT0_T1_T2_jT3_P12ihipStream_tbPNSt15iterator_traitsISN_E10value_typeEPNST_ISO_E10value_typeEPSP_NS1_7vsmem_tEENKUlT_SN_SO_SP_E_clIPjSG_PS9_SI_EESM_S12_SN_SO_SP_EUlS12_E1_NS1_11comp_targetILNS1_3genE2ELNS1_11target_archE906ELNS1_3gpuE6ELNS1_3repE0EEENS1_36merge_oddeven_config_static_selectorELNS0_4arch9wavefront6targetE0EEEvSO_.uses_vcc, 0
	.set _ZN7rocprim17ROCPRIM_400000_NS6detail17trampoline_kernelINS0_14default_configENS1_38merge_sort_block_merge_config_selectorIjN6thrust23THRUST_200600_302600_NS5tupleIffNS6_9null_typeES8_S8_S8_S8_S8_S8_S8_EEEEZZNS1_27merge_sort_block_merge_implIS3_NS6_6detail15normal_iteratorINS6_10device_ptrIjEEEENSD_INSE_IS9_EEEEjNS1_19radix_merge_compareILb0ELb0EjNS0_19identity_decomposerEEEEE10hipError_tT0_T1_T2_jT3_P12ihipStream_tbPNSt15iterator_traitsISN_E10value_typeEPNST_ISO_E10value_typeEPSP_NS1_7vsmem_tEENKUlT_SN_SO_SP_E_clIPjSG_PS9_SI_EESM_S12_SN_SO_SP_EUlS12_E1_NS1_11comp_targetILNS1_3genE2ELNS1_11target_archE906ELNS1_3gpuE6ELNS1_3repE0EEENS1_36merge_oddeven_config_static_selectorELNS0_4arch9wavefront6targetE0EEEvSO_.uses_flat_scratch, 0
	.set _ZN7rocprim17ROCPRIM_400000_NS6detail17trampoline_kernelINS0_14default_configENS1_38merge_sort_block_merge_config_selectorIjN6thrust23THRUST_200600_302600_NS5tupleIffNS6_9null_typeES8_S8_S8_S8_S8_S8_S8_EEEEZZNS1_27merge_sort_block_merge_implIS3_NS6_6detail15normal_iteratorINS6_10device_ptrIjEEEENSD_INSE_IS9_EEEEjNS1_19radix_merge_compareILb0ELb0EjNS0_19identity_decomposerEEEEE10hipError_tT0_T1_T2_jT3_P12ihipStream_tbPNSt15iterator_traitsISN_E10value_typeEPNST_ISO_E10value_typeEPSP_NS1_7vsmem_tEENKUlT_SN_SO_SP_E_clIPjSG_PS9_SI_EESM_S12_SN_SO_SP_EUlS12_E1_NS1_11comp_targetILNS1_3genE2ELNS1_11target_archE906ELNS1_3gpuE6ELNS1_3repE0EEENS1_36merge_oddeven_config_static_selectorELNS0_4arch9wavefront6targetE0EEEvSO_.has_dyn_sized_stack, 0
	.set _ZN7rocprim17ROCPRIM_400000_NS6detail17trampoline_kernelINS0_14default_configENS1_38merge_sort_block_merge_config_selectorIjN6thrust23THRUST_200600_302600_NS5tupleIffNS6_9null_typeES8_S8_S8_S8_S8_S8_S8_EEEEZZNS1_27merge_sort_block_merge_implIS3_NS6_6detail15normal_iteratorINS6_10device_ptrIjEEEENSD_INSE_IS9_EEEEjNS1_19radix_merge_compareILb0ELb0EjNS0_19identity_decomposerEEEEE10hipError_tT0_T1_T2_jT3_P12ihipStream_tbPNSt15iterator_traitsISN_E10value_typeEPNST_ISO_E10value_typeEPSP_NS1_7vsmem_tEENKUlT_SN_SO_SP_E_clIPjSG_PS9_SI_EESM_S12_SN_SO_SP_EUlS12_E1_NS1_11comp_targetILNS1_3genE2ELNS1_11target_archE906ELNS1_3gpuE6ELNS1_3repE0EEENS1_36merge_oddeven_config_static_selectorELNS0_4arch9wavefront6targetE0EEEvSO_.has_recursion, 0
	.set _ZN7rocprim17ROCPRIM_400000_NS6detail17trampoline_kernelINS0_14default_configENS1_38merge_sort_block_merge_config_selectorIjN6thrust23THRUST_200600_302600_NS5tupleIffNS6_9null_typeES8_S8_S8_S8_S8_S8_S8_EEEEZZNS1_27merge_sort_block_merge_implIS3_NS6_6detail15normal_iteratorINS6_10device_ptrIjEEEENSD_INSE_IS9_EEEEjNS1_19radix_merge_compareILb0ELb0EjNS0_19identity_decomposerEEEEE10hipError_tT0_T1_T2_jT3_P12ihipStream_tbPNSt15iterator_traitsISN_E10value_typeEPNST_ISO_E10value_typeEPSP_NS1_7vsmem_tEENKUlT_SN_SO_SP_E_clIPjSG_PS9_SI_EESM_S12_SN_SO_SP_EUlS12_E1_NS1_11comp_targetILNS1_3genE2ELNS1_11target_archE906ELNS1_3gpuE6ELNS1_3repE0EEENS1_36merge_oddeven_config_static_selectorELNS0_4arch9wavefront6targetE0EEEvSO_.has_indirect_call, 0
	.section	.AMDGPU.csdata,"",@progbits
; Kernel info:
; codeLenInByte = 0
; TotalNumSgprs: 0
; NumVgprs: 0
; ScratchSize: 0
; MemoryBound: 0
; FloatMode: 240
; IeeeMode: 1
; LDSByteSize: 0 bytes/workgroup (compile time only)
; SGPRBlocks: 0
; VGPRBlocks: 0
; NumSGPRsForWavesPerEU: 1
; NumVGPRsForWavesPerEU: 1
; NamedBarCnt: 0
; Occupancy: 16
; WaveLimiterHint : 0
; COMPUTE_PGM_RSRC2:SCRATCH_EN: 0
; COMPUTE_PGM_RSRC2:USER_SGPR: 2
; COMPUTE_PGM_RSRC2:TRAP_HANDLER: 0
; COMPUTE_PGM_RSRC2:TGID_X_EN: 1
; COMPUTE_PGM_RSRC2:TGID_Y_EN: 0
; COMPUTE_PGM_RSRC2:TGID_Z_EN: 0
; COMPUTE_PGM_RSRC2:TIDIG_COMP_CNT: 0
	.section	.text._ZN7rocprim17ROCPRIM_400000_NS6detail17trampoline_kernelINS0_14default_configENS1_38merge_sort_block_merge_config_selectorIjN6thrust23THRUST_200600_302600_NS5tupleIffNS6_9null_typeES8_S8_S8_S8_S8_S8_S8_EEEEZZNS1_27merge_sort_block_merge_implIS3_NS6_6detail15normal_iteratorINS6_10device_ptrIjEEEENSD_INSE_IS9_EEEEjNS1_19radix_merge_compareILb0ELb0EjNS0_19identity_decomposerEEEEE10hipError_tT0_T1_T2_jT3_P12ihipStream_tbPNSt15iterator_traitsISN_E10value_typeEPNST_ISO_E10value_typeEPSP_NS1_7vsmem_tEENKUlT_SN_SO_SP_E_clIPjSG_PS9_SI_EESM_S12_SN_SO_SP_EUlS12_E1_NS1_11comp_targetILNS1_3genE9ELNS1_11target_archE1100ELNS1_3gpuE3ELNS1_3repE0EEENS1_36merge_oddeven_config_static_selectorELNS0_4arch9wavefront6targetE0EEEvSO_,"axG",@progbits,_ZN7rocprim17ROCPRIM_400000_NS6detail17trampoline_kernelINS0_14default_configENS1_38merge_sort_block_merge_config_selectorIjN6thrust23THRUST_200600_302600_NS5tupleIffNS6_9null_typeES8_S8_S8_S8_S8_S8_S8_EEEEZZNS1_27merge_sort_block_merge_implIS3_NS6_6detail15normal_iteratorINS6_10device_ptrIjEEEENSD_INSE_IS9_EEEEjNS1_19radix_merge_compareILb0ELb0EjNS0_19identity_decomposerEEEEE10hipError_tT0_T1_T2_jT3_P12ihipStream_tbPNSt15iterator_traitsISN_E10value_typeEPNST_ISO_E10value_typeEPSP_NS1_7vsmem_tEENKUlT_SN_SO_SP_E_clIPjSG_PS9_SI_EESM_S12_SN_SO_SP_EUlS12_E1_NS1_11comp_targetILNS1_3genE9ELNS1_11target_archE1100ELNS1_3gpuE3ELNS1_3repE0EEENS1_36merge_oddeven_config_static_selectorELNS0_4arch9wavefront6targetE0EEEvSO_,comdat
	.protected	_ZN7rocprim17ROCPRIM_400000_NS6detail17trampoline_kernelINS0_14default_configENS1_38merge_sort_block_merge_config_selectorIjN6thrust23THRUST_200600_302600_NS5tupleIffNS6_9null_typeES8_S8_S8_S8_S8_S8_S8_EEEEZZNS1_27merge_sort_block_merge_implIS3_NS6_6detail15normal_iteratorINS6_10device_ptrIjEEEENSD_INSE_IS9_EEEEjNS1_19radix_merge_compareILb0ELb0EjNS0_19identity_decomposerEEEEE10hipError_tT0_T1_T2_jT3_P12ihipStream_tbPNSt15iterator_traitsISN_E10value_typeEPNST_ISO_E10value_typeEPSP_NS1_7vsmem_tEENKUlT_SN_SO_SP_E_clIPjSG_PS9_SI_EESM_S12_SN_SO_SP_EUlS12_E1_NS1_11comp_targetILNS1_3genE9ELNS1_11target_archE1100ELNS1_3gpuE3ELNS1_3repE0EEENS1_36merge_oddeven_config_static_selectorELNS0_4arch9wavefront6targetE0EEEvSO_ ; -- Begin function _ZN7rocprim17ROCPRIM_400000_NS6detail17trampoline_kernelINS0_14default_configENS1_38merge_sort_block_merge_config_selectorIjN6thrust23THRUST_200600_302600_NS5tupleIffNS6_9null_typeES8_S8_S8_S8_S8_S8_S8_EEEEZZNS1_27merge_sort_block_merge_implIS3_NS6_6detail15normal_iteratorINS6_10device_ptrIjEEEENSD_INSE_IS9_EEEEjNS1_19radix_merge_compareILb0ELb0EjNS0_19identity_decomposerEEEEE10hipError_tT0_T1_T2_jT3_P12ihipStream_tbPNSt15iterator_traitsISN_E10value_typeEPNST_ISO_E10value_typeEPSP_NS1_7vsmem_tEENKUlT_SN_SO_SP_E_clIPjSG_PS9_SI_EESM_S12_SN_SO_SP_EUlS12_E1_NS1_11comp_targetILNS1_3genE9ELNS1_11target_archE1100ELNS1_3gpuE3ELNS1_3repE0EEENS1_36merge_oddeven_config_static_selectorELNS0_4arch9wavefront6targetE0EEEvSO_
	.globl	_ZN7rocprim17ROCPRIM_400000_NS6detail17trampoline_kernelINS0_14default_configENS1_38merge_sort_block_merge_config_selectorIjN6thrust23THRUST_200600_302600_NS5tupleIffNS6_9null_typeES8_S8_S8_S8_S8_S8_S8_EEEEZZNS1_27merge_sort_block_merge_implIS3_NS6_6detail15normal_iteratorINS6_10device_ptrIjEEEENSD_INSE_IS9_EEEEjNS1_19radix_merge_compareILb0ELb0EjNS0_19identity_decomposerEEEEE10hipError_tT0_T1_T2_jT3_P12ihipStream_tbPNSt15iterator_traitsISN_E10value_typeEPNST_ISO_E10value_typeEPSP_NS1_7vsmem_tEENKUlT_SN_SO_SP_E_clIPjSG_PS9_SI_EESM_S12_SN_SO_SP_EUlS12_E1_NS1_11comp_targetILNS1_3genE9ELNS1_11target_archE1100ELNS1_3gpuE3ELNS1_3repE0EEENS1_36merge_oddeven_config_static_selectorELNS0_4arch9wavefront6targetE0EEEvSO_
	.p2align	8
	.type	_ZN7rocprim17ROCPRIM_400000_NS6detail17trampoline_kernelINS0_14default_configENS1_38merge_sort_block_merge_config_selectorIjN6thrust23THRUST_200600_302600_NS5tupleIffNS6_9null_typeES8_S8_S8_S8_S8_S8_S8_EEEEZZNS1_27merge_sort_block_merge_implIS3_NS6_6detail15normal_iteratorINS6_10device_ptrIjEEEENSD_INSE_IS9_EEEEjNS1_19radix_merge_compareILb0ELb0EjNS0_19identity_decomposerEEEEE10hipError_tT0_T1_T2_jT3_P12ihipStream_tbPNSt15iterator_traitsISN_E10value_typeEPNST_ISO_E10value_typeEPSP_NS1_7vsmem_tEENKUlT_SN_SO_SP_E_clIPjSG_PS9_SI_EESM_S12_SN_SO_SP_EUlS12_E1_NS1_11comp_targetILNS1_3genE9ELNS1_11target_archE1100ELNS1_3gpuE3ELNS1_3repE0EEENS1_36merge_oddeven_config_static_selectorELNS0_4arch9wavefront6targetE0EEEvSO_,@function
_ZN7rocprim17ROCPRIM_400000_NS6detail17trampoline_kernelINS0_14default_configENS1_38merge_sort_block_merge_config_selectorIjN6thrust23THRUST_200600_302600_NS5tupleIffNS6_9null_typeES8_S8_S8_S8_S8_S8_S8_EEEEZZNS1_27merge_sort_block_merge_implIS3_NS6_6detail15normal_iteratorINS6_10device_ptrIjEEEENSD_INSE_IS9_EEEEjNS1_19radix_merge_compareILb0ELb0EjNS0_19identity_decomposerEEEEE10hipError_tT0_T1_T2_jT3_P12ihipStream_tbPNSt15iterator_traitsISN_E10value_typeEPNST_ISO_E10value_typeEPSP_NS1_7vsmem_tEENKUlT_SN_SO_SP_E_clIPjSG_PS9_SI_EESM_S12_SN_SO_SP_EUlS12_E1_NS1_11comp_targetILNS1_3genE9ELNS1_11target_archE1100ELNS1_3gpuE3ELNS1_3repE0EEENS1_36merge_oddeven_config_static_selectorELNS0_4arch9wavefront6targetE0EEEvSO_: ; @_ZN7rocprim17ROCPRIM_400000_NS6detail17trampoline_kernelINS0_14default_configENS1_38merge_sort_block_merge_config_selectorIjN6thrust23THRUST_200600_302600_NS5tupleIffNS6_9null_typeES8_S8_S8_S8_S8_S8_S8_EEEEZZNS1_27merge_sort_block_merge_implIS3_NS6_6detail15normal_iteratorINS6_10device_ptrIjEEEENSD_INSE_IS9_EEEEjNS1_19radix_merge_compareILb0ELb0EjNS0_19identity_decomposerEEEEE10hipError_tT0_T1_T2_jT3_P12ihipStream_tbPNSt15iterator_traitsISN_E10value_typeEPNST_ISO_E10value_typeEPSP_NS1_7vsmem_tEENKUlT_SN_SO_SP_E_clIPjSG_PS9_SI_EESM_S12_SN_SO_SP_EUlS12_E1_NS1_11comp_targetILNS1_3genE9ELNS1_11target_archE1100ELNS1_3gpuE3ELNS1_3repE0EEENS1_36merge_oddeven_config_static_selectorELNS0_4arch9wavefront6targetE0EEEvSO_
; %bb.0:
	.section	.rodata,"a",@progbits
	.p2align	6, 0x0
	.amdhsa_kernel _ZN7rocprim17ROCPRIM_400000_NS6detail17trampoline_kernelINS0_14default_configENS1_38merge_sort_block_merge_config_selectorIjN6thrust23THRUST_200600_302600_NS5tupleIffNS6_9null_typeES8_S8_S8_S8_S8_S8_S8_EEEEZZNS1_27merge_sort_block_merge_implIS3_NS6_6detail15normal_iteratorINS6_10device_ptrIjEEEENSD_INSE_IS9_EEEEjNS1_19radix_merge_compareILb0ELb0EjNS0_19identity_decomposerEEEEE10hipError_tT0_T1_T2_jT3_P12ihipStream_tbPNSt15iterator_traitsISN_E10value_typeEPNST_ISO_E10value_typeEPSP_NS1_7vsmem_tEENKUlT_SN_SO_SP_E_clIPjSG_PS9_SI_EESM_S12_SN_SO_SP_EUlS12_E1_NS1_11comp_targetILNS1_3genE9ELNS1_11target_archE1100ELNS1_3gpuE3ELNS1_3repE0EEENS1_36merge_oddeven_config_static_selectorELNS0_4arch9wavefront6targetE0EEEvSO_
		.amdhsa_group_segment_fixed_size 0
		.amdhsa_private_segment_fixed_size 0
		.amdhsa_kernarg_size 48
		.amdhsa_user_sgpr_count 2
		.amdhsa_user_sgpr_dispatch_ptr 0
		.amdhsa_user_sgpr_queue_ptr 0
		.amdhsa_user_sgpr_kernarg_segment_ptr 1
		.amdhsa_user_sgpr_dispatch_id 0
		.amdhsa_user_sgpr_kernarg_preload_length 0
		.amdhsa_user_sgpr_kernarg_preload_offset 0
		.amdhsa_user_sgpr_private_segment_size 0
		.amdhsa_wavefront_size32 1
		.amdhsa_uses_dynamic_stack 0
		.amdhsa_enable_private_segment 0
		.amdhsa_system_sgpr_workgroup_id_x 1
		.amdhsa_system_sgpr_workgroup_id_y 0
		.amdhsa_system_sgpr_workgroup_id_z 0
		.amdhsa_system_sgpr_workgroup_info 0
		.amdhsa_system_vgpr_workitem_id 0
		.amdhsa_next_free_vgpr 1
		.amdhsa_next_free_sgpr 1
		.amdhsa_named_barrier_count 0
		.amdhsa_reserve_vcc 0
		.amdhsa_float_round_mode_32 0
		.amdhsa_float_round_mode_16_64 0
		.amdhsa_float_denorm_mode_32 3
		.amdhsa_float_denorm_mode_16_64 3
		.amdhsa_fp16_overflow 0
		.amdhsa_memory_ordered 1
		.amdhsa_forward_progress 1
		.amdhsa_inst_pref_size 0
		.amdhsa_round_robin_scheduling 0
		.amdhsa_exception_fp_ieee_invalid_op 0
		.amdhsa_exception_fp_denorm_src 0
		.amdhsa_exception_fp_ieee_div_zero 0
		.amdhsa_exception_fp_ieee_overflow 0
		.amdhsa_exception_fp_ieee_underflow 0
		.amdhsa_exception_fp_ieee_inexact 0
		.amdhsa_exception_int_div_zero 0
	.end_amdhsa_kernel
	.section	.text._ZN7rocprim17ROCPRIM_400000_NS6detail17trampoline_kernelINS0_14default_configENS1_38merge_sort_block_merge_config_selectorIjN6thrust23THRUST_200600_302600_NS5tupleIffNS6_9null_typeES8_S8_S8_S8_S8_S8_S8_EEEEZZNS1_27merge_sort_block_merge_implIS3_NS6_6detail15normal_iteratorINS6_10device_ptrIjEEEENSD_INSE_IS9_EEEEjNS1_19radix_merge_compareILb0ELb0EjNS0_19identity_decomposerEEEEE10hipError_tT0_T1_T2_jT3_P12ihipStream_tbPNSt15iterator_traitsISN_E10value_typeEPNST_ISO_E10value_typeEPSP_NS1_7vsmem_tEENKUlT_SN_SO_SP_E_clIPjSG_PS9_SI_EESM_S12_SN_SO_SP_EUlS12_E1_NS1_11comp_targetILNS1_3genE9ELNS1_11target_archE1100ELNS1_3gpuE3ELNS1_3repE0EEENS1_36merge_oddeven_config_static_selectorELNS0_4arch9wavefront6targetE0EEEvSO_,"axG",@progbits,_ZN7rocprim17ROCPRIM_400000_NS6detail17trampoline_kernelINS0_14default_configENS1_38merge_sort_block_merge_config_selectorIjN6thrust23THRUST_200600_302600_NS5tupleIffNS6_9null_typeES8_S8_S8_S8_S8_S8_S8_EEEEZZNS1_27merge_sort_block_merge_implIS3_NS6_6detail15normal_iteratorINS6_10device_ptrIjEEEENSD_INSE_IS9_EEEEjNS1_19radix_merge_compareILb0ELb0EjNS0_19identity_decomposerEEEEE10hipError_tT0_T1_T2_jT3_P12ihipStream_tbPNSt15iterator_traitsISN_E10value_typeEPNST_ISO_E10value_typeEPSP_NS1_7vsmem_tEENKUlT_SN_SO_SP_E_clIPjSG_PS9_SI_EESM_S12_SN_SO_SP_EUlS12_E1_NS1_11comp_targetILNS1_3genE9ELNS1_11target_archE1100ELNS1_3gpuE3ELNS1_3repE0EEENS1_36merge_oddeven_config_static_selectorELNS0_4arch9wavefront6targetE0EEEvSO_,comdat
.Lfunc_end47:
	.size	_ZN7rocprim17ROCPRIM_400000_NS6detail17trampoline_kernelINS0_14default_configENS1_38merge_sort_block_merge_config_selectorIjN6thrust23THRUST_200600_302600_NS5tupleIffNS6_9null_typeES8_S8_S8_S8_S8_S8_S8_EEEEZZNS1_27merge_sort_block_merge_implIS3_NS6_6detail15normal_iteratorINS6_10device_ptrIjEEEENSD_INSE_IS9_EEEEjNS1_19radix_merge_compareILb0ELb0EjNS0_19identity_decomposerEEEEE10hipError_tT0_T1_T2_jT3_P12ihipStream_tbPNSt15iterator_traitsISN_E10value_typeEPNST_ISO_E10value_typeEPSP_NS1_7vsmem_tEENKUlT_SN_SO_SP_E_clIPjSG_PS9_SI_EESM_S12_SN_SO_SP_EUlS12_E1_NS1_11comp_targetILNS1_3genE9ELNS1_11target_archE1100ELNS1_3gpuE3ELNS1_3repE0EEENS1_36merge_oddeven_config_static_selectorELNS0_4arch9wavefront6targetE0EEEvSO_, .Lfunc_end47-_ZN7rocprim17ROCPRIM_400000_NS6detail17trampoline_kernelINS0_14default_configENS1_38merge_sort_block_merge_config_selectorIjN6thrust23THRUST_200600_302600_NS5tupleIffNS6_9null_typeES8_S8_S8_S8_S8_S8_S8_EEEEZZNS1_27merge_sort_block_merge_implIS3_NS6_6detail15normal_iteratorINS6_10device_ptrIjEEEENSD_INSE_IS9_EEEEjNS1_19radix_merge_compareILb0ELb0EjNS0_19identity_decomposerEEEEE10hipError_tT0_T1_T2_jT3_P12ihipStream_tbPNSt15iterator_traitsISN_E10value_typeEPNST_ISO_E10value_typeEPSP_NS1_7vsmem_tEENKUlT_SN_SO_SP_E_clIPjSG_PS9_SI_EESM_S12_SN_SO_SP_EUlS12_E1_NS1_11comp_targetILNS1_3genE9ELNS1_11target_archE1100ELNS1_3gpuE3ELNS1_3repE0EEENS1_36merge_oddeven_config_static_selectorELNS0_4arch9wavefront6targetE0EEEvSO_
                                        ; -- End function
	.set _ZN7rocprim17ROCPRIM_400000_NS6detail17trampoline_kernelINS0_14default_configENS1_38merge_sort_block_merge_config_selectorIjN6thrust23THRUST_200600_302600_NS5tupleIffNS6_9null_typeES8_S8_S8_S8_S8_S8_S8_EEEEZZNS1_27merge_sort_block_merge_implIS3_NS6_6detail15normal_iteratorINS6_10device_ptrIjEEEENSD_INSE_IS9_EEEEjNS1_19radix_merge_compareILb0ELb0EjNS0_19identity_decomposerEEEEE10hipError_tT0_T1_T2_jT3_P12ihipStream_tbPNSt15iterator_traitsISN_E10value_typeEPNST_ISO_E10value_typeEPSP_NS1_7vsmem_tEENKUlT_SN_SO_SP_E_clIPjSG_PS9_SI_EESM_S12_SN_SO_SP_EUlS12_E1_NS1_11comp_targetILNS1_3genE9ELNS1_11target_archE1100ELNS1_3gpuE3ELNS1_3repE0EEENS1_36merge_oddeven_config_static_selectorELNS0_4arch9wavefront6targetE0EEEvSO_.num_vgpr, 0
	.set _ZN7rocprim17ROCPRIM_400000_NS6detail17trampoline_kernelINS0_14default_configENS1_38merge_sort_block_merge_config_selectorIjN6thrust23THRUST_200600_302600_NS5tupleIffNS6_9null_typeES8_S8_S8_S8_S8_S8_S8_EEEEZZNS1_27merge_sort_block_merge_implIS3_NS6_6detail15normal_iteratorINS6_10device_ptrIjEEEENSD_INSE_IS9_EEEEjNS1_19radix_merge_compareILb0ELb0EjNS0_19identity_decomposerEEEEE10hipError_tT0_T1_T2_jT3_P12ihipStream_tbPNSt15iterator_traitsISN_E10value_typeEPNST_ISO_E10value_typeEPSP_NS1_7vsmem_tEENKUlT_SN_SO_SP_E_clIPjSG_PS9_SI_EESM_S12_SN_SO_SP_EUlS12_E1_NS1_11comp_targetILNS1_3genE9ELNS1_11target_archE1100ELNS1_3gpuE3ELNS1_3repE0EEENS1_36merge_oddeven_config_static_selectorELNS0_4arch9wavefront6targetE0EEEvSO_.num_agpr, 0
	.set _ZN7rocprim17ROCPRIM_400000_NS6detail17trampoline_kernelINS0_14default_configENS1_38merge_sort_block_merge_config_selectorIjN6thrust23THRUST_200600_302600_NS5tupleIffNS6_9null_typeES8_S8_S8_S8_S8_S8_S8_EEEEZZNS1_27merge_sort_block_merge_implIS3_NS6_6detail15normal_iteratorINS6_10device_ptrIjEEEENSD_INSE_IS9_EEEEjNS1_19radix_merge_compareILb0ELb0EjNS0_19identity_decomposerEEEEE10hipError_tT0_T1_T2_jT3_P12ihipStream_tbPNSt15iterator_traitsISN_E10value_typeEPNST_ISO_E10value_typeEPSP_NS1_7vsmem_tEENKUlT_SN_SO_SP_E_clIPjSG_PS9_SI_EESM_S12_SN_SO_SP_EUlS12_E1_NS1_11comp_targetILNS1_3genE9ELNS1_11target_archE1100ELNS1_3gpuE3ELNS1_3repE0EEENS1_36merge_oddeven_config_static_selectorELNS0_4arch9wavefront6targetE0EEEvSO_.numbered_sgpr, 0
	.set _ZN7rocprim17ROCPRIM_400000_NS6detail17trampoline_kernelINS0_14default_configENS1_38merge_sort_block_merge_config_selectorIjN6thrust23THRUST_200600_302600_NS5tupleIffNS6_9null_typeES8_S8_S8_S8_S8_S8_S8_EEEEZZNS1_27merge_sort_block_merge_implIS3_NS6_6detail15normal_iteratorINS6_10device_ptrIjEEEENSD_INSE_IS9_EEEEjNS1_19radix_merge_compareILb0ELb0EjNS0_19identity_decomposerEEEEE10hipError_tT0_T1_T2_jT3_P12ihipStream_tbPNSt15iterator_traitsISN_E10value_typeEPNST_ISO_E10value_typeEPSP_NS1_7vsmem_tEENKUlT_SN_SO_SP_E_clIPjSG_PS9_SI_EESM_S12_SN_SO_SP_EUlS12_E1_NS1_11comp_targetILNS1_3genE9ELNS1_11target_archE1100ELNS1_3gpuE3ELNS1_3repE0EEENS1_36merge_oddeven_config_static_selectorELNS0_4arch9wavefront6targetE0EEEvSO_.num_named_barrier, 0
	.set _ZN7rocprim17ROCPRIM_400000_NS6detail17trampoline_kernelINS0_14default_configENS1_38merge_sort_block_merge_config_selectorIjN6thrust23THRUST_200600_302600_NS5tupleIffNS6_9null_typeES8_S8_S8_S8_S8_S8_S8_EEEEZZNS1_27merge_sort_block_merge_implIS3_NS6_6detail15normal_iteratorINS6_10device_ptrIjEEEENSD_INSE_IS9_EEEEjNS1_19radix_merge_compareILb0ELb0EjNS0_19identity_decomposerEEEEE10hipError_tT0_T1_T2_jT3_P12ihipStream_tbPNSt15iterator_traitsISN_E10value_typeEPNST_ISO_E10value_typeEPSP_NS1_7vsmem_tEENKUlT_SN_SO_SP_E_clIPjSG_PS9_SI_EESM_S12_SN_SO_SP_EUlS12_E1_NS1_11comp_targetILNS1_3genE9ELNS1_11target_archE1100ELNS1_3gpuE3ELNS1_3repE0EEENS1_36merge_oddeven_config_static_selectorELNS0_4arch9wavefront6targetE0EEEvSO_.private_seg_size, 0
	.set _ZN7rocprim17ROCPRIM_400000_NS6detail17trampoline_kernelINS0_14default_configENS1_38merge_sort_block_merge_config_selectorIjN6thrust23THRUST_200600_302600_NS5tupleIffNS6_9null_typeES8_S8_S8_S8_S8_S8_S8_EEEEZZNS1_27merge_sort_block_merge_implIS3_NS6_6detail15normal_iteratorINS6_10device_ptrIjEEEENSD_INSE_IS9_EEEEjNS1_19radix_merge_compareILb0ELb0EjNS0_19identity_decomposerEEEEE10hipError_tT0_T1_T2_jT3_P12ihipStream_tbPNSt15iterator_traitsISN_E10value_typeEPNST_ISO_E10value_typeEPSP_NS1_7vsmem_tEENKUlT_SN_SO_SP_E_clIPjSG_PS9_SI_EESM_S12_SN_SO_SP_EUlS12_E1_NS1_11comp_targetILNS1_3genE9ELNS1_11target_archE1100ELNS1_3gpuE3ELNS1_3repE0EEENS1_36merge_oddeven_config_static_selectorELNS0_4arch9wavefront6targetE0EEEvSO_.uses_vcc, 0
	.set _ZN7rocprim17ROCPRIM_400000_NS6detail17trampoline_kernelINS0_14default_configENS1_38merge_sort_block_merge_config_selectorIjN6thrust23THRUST_200600_302600_NS5tupleIffNS6_9null_typeES8_S8_S8_S8_S8_S8_S8_EEEEZZNS1_27merge_sort_block_merge_implIS3_NS6_6detail15normal_iteratorINS6_10device_ptrIjEEEENSD_INSE_IS9_EEEEjNS1_19radix_merge_compareILb0ELb0EjNS0_19identity_decomposerEEEEE10hipError_tT0_T1_T2_jT3_P12ihipStream_tbPNSt15iterator_traitsISN_E10value_typeEPNST_ISO_E10value_typeEPSP_NS1_7vsmem_tEENKUlT_SN_SO_SP_E_clIPjSG_PS9_SI_EESM_S12_SN_SO_SP_EUlS12_E1_NS1_11comp_targetILNS1_3genE9ELNS1_11target_archE1100ELNS1_3gpuE3ELNS1_3repE0EEENS1_36merge_oddeven_config_static_selectorELNS0_4arch9wavefront6targetE0EEEvSO_.uses_flat_scratch, 0
	.set _ZN7rocprim17ROCPRIM_400000_NS6detail17trampoline_kernelINS0_14default_configENS1_38merge_sort_block_merge_config_selectorIjN6thrust23THRUST_200600_302600_NS5tupleIffNS6_9null_typeES8_S8_S8_S8_S8_S8_S8_EEEEZZNS1_27merge_sort_block_merge_implIS3_NS6_6detail15normal_iteratorINS6_10device_ptrIjEEEENSD_INSE_IS9_EEEEjNS1_19radix_merge_compareILb0ELb0EjNS0_19identity_decomposerEEEEE10hipError_tT0_T1_T2_jT3_P12ihipStream_tbPNSt15iterator_traitsISN_E10value_typeEPNST_ISO_E10value_typeEPSP_NS1_7vsmem_tEENKUlT_SN_SO_SP_E_clIPjSG_PS9_SI_EESM_S12_SN_SO_SP_EUlS12_E1_NS1_11comp_targetILNS1_3genE9ELNS1_11target_archE1100ELNS1_3gpuE3ELNS1_3repE0EEENS1_36merge_oddeven_config_static_selectorELNS0_4arch9wavefront6targetE0EEEvSO_.has_dyn_sized_stack, 0
	.set _ZN7rocprim17ROCPRIM_400000_NS6detail17trampoline_kernelINS0_14default_configENS1_38merge_sort_block_merge_config_selectorIjN6thrust23THRUST_200600_302600_NS5tupleIffNS6_9null_typeES8_S8_S8_S8_S8_S8_S8_EEEEZZNS1_27merge_sort_block_merge_implIS3_NS6_6detail15normal_iteratorINS6_10device_ptrIjEEEENSD_INSE_IS9_EEEEjNS1_19radix_merge_compareILb0ELb0EjNS0_19identity_decomposerEEEEE10hipError_tT0_T1_T2_jT3_P12ihipStream_tbPNSt15iterator_traitsISN_E10value_typeEPNST_ISO_E10value_typeEPSP_NS1_7vsmem_tEENKUlT_SN_SO_SP_E_clIPjSG_PS9_SI_EESM_S12_SN_SO_SP_EUlS12_E1_NS1_11comp_targetILNS1_3genE9ELNS1_11target_archE1100ELNS1_3gpuE3ELNS1_3repE0EEENS1_36merge_oddeven_config_static_selectorELNS0_4arch9wavefront6targetE0EEEvSO_.has_recursion, 0
	.set _ZN7rocprim17ROCPRIM_400000_NS6detail17trampoline_kernelINS0_14default_configENS1_38merge_sort_block_merge_config_selectorIjN6thrust23THRUST_200600_302600_NS5tupleIffNS6_9null_typeES8_S8_S8_S8_S8_S8_S8_EEEEZZNS1_27merge_sort_block_merge_implIS3_NS6_6detail15normal_iteratorINS6_10device_ptrIjEEEENSD_INSE_IS9_EEEEjNS1_19radix_merge_compareILb0ELb0EjNS0_19identity_decomposerEEEEE10hipError_tT0_T1_T2_jT3_P12ihipStream_tbPNSt15iterator_traitsISN_E10value_typeEPNST_ISO_E10value_typeEPSP_NS1_7vsmem_tEENKUlT_SN_SO_SP_E_clIPjSG_PS9_SI_EESM_S12_SN_SO_SP_EUlS12_E1_NS1_11comp_targetILNS1_3genE9ELNS1_11target_archE1100ELNS1_3gpuE3ELNS1_3repE0EEENS1_36merge_oddeven_config_static_selectorELNS0_4arch9wavefront6targetE0EEEvSO_.has_indirect_call, 0
	.section	.AMDGPU.csdata,"",@progbits
; Kernel info:
; codeLenInByte = 0
; TotalNumSgprs: 0
; NumVgprs: 0
; ScratchSize: 0
; MemoryBound: 0
; FloatMode: 240
; IeeeMode: 1
; LDSByteSize: 0 bytes/workgroup (compile time only)
; SGPRBlocks: 0
; VGPRBlocks: 0
; NumSGPRsForWavesPerEU: 1
; NumVGPRsForWavesPerEU: 1
; NamedBarCnt: 0
; Occupancy: 16
; WaveLimiterHint : 0
; COMPUTE_PGM_RSRC2:SCRATCH_EN: 0
; COMPUTE_PGM_RSRC2:USER_SGPR: 2
; COMPUTE_PGM_RSRC2:TRAP_HANDLER: 0
; COMPUTE_PGM_RSRC2:TGID_X_EN: 1
; COMPUTE_PGM_RSRC2:TGID_Y_EN: 0
; COMPUTE_PGM_RSRC2:TGID_Z_EN: 0
; COMPUTE_PGM_RSRC2:TIDIG_COMP_CNT: 0
	.section	.text._ZN7rocprim17ROCPRIM_400000_NS6detail17trampoline_kernelINS0_14default_configENS1_38merge_sort_block_merge_config_selectorIjN6thrust23THRUST_200600_302600_NS5tupleIffNS6_9null_typeES8_S8_S8_S8_S8_S8_S8_EEEEZZNS1_27merge_sort_block_merge_implIS3_NS6_6detail15normal_iteratorINS6_10device_ptrIjEEEENSD_INSE_IS9_EEEEjNS1_19radix_merge_compareILb0ELb0EjNS0_19identity_decomposerEEEEE10hipError_tT0_T1_T2_jT3_P12ihipStream_tbPNSt15iterator_traitsISN_E10value_typeEPNST_ISO_E10value_typeEPSP_NS1_7vsmem_tEENKUlT_SN_SO_SP_E_clIPjSG_PS9_SI_EESM_S12_SN_SO_SP_EUlS12_E1_NS1_11comp_targetILNS1_3genE8ELNS1_11target_archE1030ELNS1_3gpuE2ELNS1_3repE0EEENS1_36merge_oddeven_config_static_selectorELNS0_4arch9wavefront6targetE0EEEvSO_,"axG",@progbits,_ZN7rocprim17ROCPRIM_400000_NS6detail17trampoline_kernelINS0_14default_configENS1_38merge_sort_block_merge_config_selectorIjN6thrust23THRUST_200600_302600_NS5tupleIffNS6_9null_typeES8_S8_S8_S8_S8_S8_S8_EEEEZZNS1_27merge_sort_block_merge_implIS3_NS6_6detail15normal_iteratorINS6_10device_ptrIjEEEENSD_INSE_IS9_EEEEjNS1_19radix_merge_compareILb0ELb0EjNS0_19identity_decomposerEEEEE10hipError_tT0_T1_T2_jT3_P12ihipStream_tbPNSt15iterator_traitsISN_E10value_typeEPNST_ISO_E10value_typeEPSP_NS1_7vsmem_tEENKUlT_SN_SO_SP_E_clIPjSG_PS9_SI_EESM_S12_SN_SO_SP_EUlS12_E1_NS1_11comp_targetILNS1_3genE8ELNS1_11target_archE1030ELNS1_3gpuE2ELNS1_3repE0EEENS1_36merge_oddeven_config_static_selectorELNS0_4arch9wavefront6targetE0EEEvSO_,comdat
	.protected	_ZN7rocprim17ROCPRIM_400000_NS6detail17trampoline_kernelINS0_14default_configENS1_38merge_sort_block_merge_config_selectorIjN6thrust23THRUST_200600_302600_NS5tupleIffNS6_9null_typeES8_S8_S8_S8_S8_S8_S8_EEEEZZNS1_27merge_sort_block_merge_implIS3_NS6_6detail15normal_iteratorINS6_10device_ptrIjEEEENSD_INSE_IS9_EEEEjNS1_19radix_merge_compareILb0ELb0EjNS0_19identity_decomposerEEEEE10hipError_tT0_T1_T2_jT3_P12ihipStream_tbPNSt15iterator_traitsISN_E10value_typeEPNST_ISO_E10value_typeEPSP_NS1_7vsmem_tEENKUlT_SN_SO_SP_E_clIPjSG_PS9_SI_EESM_S12_SN_SO_SP_EUlS12_E1_NS1_11comp_targetILNS1_3genE8ELNS1_11target_archE1030ELNS1_3gpuE2ELNS1_3repE0EEENS1_36merge_oddeven_config_static_selectorELNS0_4arch9wavefront6targetE0EEEvSO_ ; -- Begin function _ZN7rocprim17ROCPRIM_400000_NS6detail17trampoline_kernelINS0_14default_configENS1_38merge_sort_block_merge_config_selectorIjN6thrust23THRUST_200600_302600_NS5tupleIffNS6_9null_typeES8_S8_S8_S8_S8_S8_S8_EEEEZZNS1_27merge_sort_block_merge_implIS3_NS6_6detail15normal_iteratorINS6_10device_ptrIjEEEENSD_INSE_IS9_EEEEjNS1_19radix_merge_compareILb0ELb0EjNS0_19identity_decomposerEEEEE10hipError_tT0_T1_T2_jT3_P12ihipStream_tbPNSt15iterator_traitsISN_E10value_typeEPNST_ISO_E10value_typeEPSP_NS1_7vsmem_tEENKUlT_SN_SO_SP_E_clIPjSG_PS9_SI_EESM_S12_SN_SO_SP_EUlS12_E1_NS1_11comp_targetILNS1_3genE8ELNS1_11target_archE1030ELNS1_3gpuE2ELNS1_3repE0EEENS1_36merge_oddeven_config_static_selectorELNS0_4arch9wavefront6targetE0EEEvSO_
	.globl	_ZN7rocprim17ROCPRIM_400000_NS6detail17trampoline_kernelINS0_14default_configENS1_38merge_sort_block_merge_config_selectorIjN6thrust23THRUST_200600_302600_NS5tupleIffNS6_9null_typeES8_S8_S8_S8_S8_S8_S8_EEEEZZNS1_27merge_sort_block_merge_implIS3_NS6_6detail15normal_iteratorINS6_10device_ptrIjEEEENSD_INSE_IS9_EEEEjNS1_19radix_merge_compareILb0ELb0EjNS0_19identity_decomposerEEEEE10hipError_tT0_T1_T2_jT3_P12ihipStream_tbPNSt15iterator_traitsISN_E10value_typeEPNST_ISO_E10value_typeEPSP_NS1_7vsmem_tEENKUlT_SN_SO_SP_E_clIPjSG_PS9_SI_EESM_S12_SN_SO_SP_EUlS12_E1_NS1_11comp_targetILNS1_3genE8ELNS1_11target_archE1030ELNS1_3gpuE2ELNS1_3repE0EEENS1_36merge_oddeven_config_static_selectorELNS0_4arch9wavefront6targetE0EEEvSO_
	.p2align	8
	.type	_ZN7rocprim17ROCPRIM_400000_NS6detail17trampoline_kernelINS0_14default_configENS1_38merge_sort_block_merge_config_selectorIjN6thrust23THRUST_200600_302600_NS5tupleIffNS6_9null_typeES8_S8_S8_S8_S8_S8_S8_EEEEZZNS1_27merge_sort_block_merge_implIS3_NS6_6detail15normal_iteratorINS6_10device_ptrIjEEEENSD_INSE_IS9_EEEEjNS1_19radix_merge_compareILb0ELb0EjNS0_19identity_decomposerEEEEE10hipError_tT0_T1_T2_jT3_P12ihipStream_tbPNSt15iterator_traitsISN_E10value_typeEPNST_ISO_E10value_typeEPSP_NS1_7vsmem_tEENKUlT_SN_SO_SP_E_clIPjSG_PS9_SI_EESM_S12_SN_SO_SP_EUlS12_E1_NS1_11comp_targetILNS1_3genE8ELNS1_11target_archE1030ELNS1_3gpuE2ELNS1_3repE0EEENS1_36merge_oddeven_config_static_selectorELNS0_4arch9wavefront6targetE0EEEvSO_,@function
_ZN7rocprim17ROCPRIM_400000_NS6detail17trampoline_kernelINS0_14default_configENS1_38merge_sort_block_merge_config_selectorIjN6thrust23THRUST_200600_302600_NS5tupleIffNS6_9null_typeES8_S8_S8_S8_S8_S8_S8_EEEEZZNS1_27merge_sort_block_merge_implIS3_NS6_6detail15normal_iteratorINS6_10device_ptrIjEEEENSD_INSE_IS9_EEEEjNS1_19radix_merge_compareILb0ELb0EjNS0_19identity_decomposerEEEEE10hipError_tT0_T1_T2_jT3_P12ihipStream_tbPNSt15iterator_traitsISN_E10value_typeEPNST_ISO_E10value_typeEPSP_NS1_7vsmem_tEENKUlT_SN_SO_SP_E_clIPjSG_PS9_SI_EESM_S12_SN_SO_SP_EUlS12_E1_NS1_11comp_targetILNS1_3genE8ELNS1_11target_archE1030ELNS1_3gpuE2ELNS1_3repE0EEENS1_36merge_oddeven_config_static_selectorELNS0_4arch9wavefront6targetE0EEEvSO_: ; @_ZN7rocprim17ROCPRIM_400000_NS6detail17trampoline_kernelINS0_14default_configENS1_38merge_sort_block_merge_config_selectorIjN6thrust23THRUST_200600_302600_NS5tupleIffNS6_9null_typeES8_S8_S8_S8_S8_S8_S8_EEEEZZNS1_27merge_sort_block_merge_implIS3_NS6_6detail15normal_iteratorINS6_10device_ptrIjEEEENSD_INSE_IS9_EEEEjNS1_19radix_merge_compareILb0ELb0EjNS0_19identity_decomposerEEEEE10hipError_tT0_T1_T2_jT3_P12ihipStream_tbPNSt15iterator_traitsISN_E10value_typeEPNST_ISO_E10value_typeEPSP_NS1_7vsmem_tEENKUlT_SN_SO_SP_E_clIPjSG_PS9_SI_EESM_S12_SN_SO_SP_EUlS12_E1_NS1_11comp_targetILNS1_3genE8ELNS1_11target_archE1030ELNS1_3gpuE2ELNS1_3repE0EEENS1_36merge_oddeven_config_static_selectorELNS0_4arch9wavefront6targetE0EEEvSO_
; %bb.0:
	.section	.rodata,"a",@progbits
	.p2align	6, 0x0
	.amdhsa_kernel _ZN7rocprim17ROCPRIM_400000_NS6detail17trampoline_kernelINS0_14default_configENS1_38merge_sort_block_merge_config_selectorIjN6thrust23THRUST_200600_302600_NS5tupleIffNS6_9null_typeES8_S8_S8_S8_S8_S8_S8_EEEEZZNS1_27merge_sort_block_merge_implIS3_NS6_6detail15normal_iteratorINS6_10device_ptrIjEEEENSD_INSE_IS9_EEEEjNS1_19radix_merge_compareILb0ELb0EjNS0_19identity_decomposerEEEEE10hipError_tT0_T1_T2_jT3_P12ihipStream_tbPNSt15iterator_traitsISN_E10value_typeEPNST_ISO_E10value_typeEPSP_NS1_7vsmem_tEENKUlT_SN_SO_SP_E_clIPjSG_PS9_SI_EESM_S12_SN_SO_SP_EUlS12_E1_NS1_11comp_targetILNS1_3genE8ELNS1_11target_archE1030ELNS1_3gpuE2ELNS1_3repE0EEENS1_36merge_oddeven_config_static_selectorELNS0_4arch9wavefront6targetE0EEEvSO_
		.amdhsa_group_segment_fixed_size 0
		.amdhsa_private_segment_fixed_size 0
		.amdhsa_kernarg_size 48
		.amdhsa_user_sgpr_count 2
		.amdhsa_user_sgpr_dispatch_ptr 0
		.amdhsa_user_sgpr_queue_ptr 0
		.amdhsa_user_sgpr_kernarg_segment_ptr 1
		.amdhsa_user_sgpr_dispatch_id 0
		.amdhsa_user_sgpr_kernarg_preload_length 0
		.amdhsa_user_sgpr_kernarg_preload_offset 0
		.amdhsa_user_sgpr_private_segment_size 0
		.amdhsa_wavefront_size32 1
		.amdhsa_uses_dynamic_stack 0
		.amdhsa_enable_private_segment 0
		.amdhsa_system_sgpr_workgroup_id_x 1
		.amdhsa_system_sgpr_workgroup_id_y 0
		.amdhsa_system_sgpr_workgroup_id_z 0
		.amdhsa_system_sgpr_workgroup_info 0
		.amdhsa_system_vgpr_workitem_id 0
		.amdhsa_next_free_vgpr 1
		.amdhsa_next_free_sgpr 1
		.amdhsa_named_barrier_count 0
		.amdhsa_reserve_vcc 0
		.amdhsa_float_round_mode_32 0
		.amdhsa_float_round_mode_16_64 0
		.amdhsa_float_denorm_mode_32 3
		.amdhsa_float_denorm_mode_16_64 3
		.amdhsa_fp16_overflow 0
		.amdhsa_memory_ordered 1
		.amdhsa_forward_progress 1
		.amdhsa_inst_pref_size 0
		.amdhsa_round_robin_scheduling 0
		.amdhsa_exception_fp_ieee_invalid_op 0
		.amdhsa_exception_fp_denorm_src 0
		.amdhsa_exception_fp_ieee_div_zero 0
		.amdhsa_exception_fp_ieee_overflow 0
		.amdhsa_exception_fp_ieee_underflow 0
		.amdhsa_exception_fp_ieee_inexact 0
		.amdhsa_exception_int_div_zero 0
	.end_amdhsa_kernel
	.section	.text._ZN7rocprim17ROCPRIM_400000_NS6detail17trampoline_kernelINS0_14default_configENS1_38merge_sort_block_merge_config_selectorIjN6thrust23THRUST_200600_302600_NS5tupleIffNS6_9null_typeES8_S8_S8_S8_S8_S8_S8_EEEEZZNS1_27merge_sort_block_merge_implIS3_NS6_6detail15normal_iteratorINS6_10device_ptrIjEEEENSD_INSE_IS9_EEEEjNS1_19radix_merge_compareILb0ELb0EjNS0_19identity_decomposerEEEEE10hipError_tT0_T1_T2_jT3_P12ihipStream_tbPNSt15iterator_traitsISN_E10value_typeEPNST_ISO_E10value_typeEPSP_NS1_7vsmem_tEENKUlT_SN_SO_SP_E_clIPjSG_PS9_SI_EESM_S12_SN_SO_SP_EUlS12_E1_NS1_11comp_targetILNS1_3genE8ELNS1_11target_archE1030ELNS1_3gpuE2ELNS1_3repE0EEENS1_36merge_oddeven_config_static_selectorELNS0_4arch9wavefront6targetE0EEEvSO_,"axG",@progbits,_ZN7rocprim17ROCPRIM_400000_NS6detail17trampoline_kernelINS0_14default_configENS1_38merge_sort_block_merge_config_selectorIjN6thrust23THRUST_200600_302600_NS5tupleIffNS6_9null_typeES8_S8_S8_S8_S8_S8_S8_EEEEZZNS1_27merge_sort_block_merge_implIS3_NS6_6detail15normal_iteratorINS6_10device_ptrIjEEEENSD_INSE_IS9_EEEEjNS1_19radix_merge_compareILb0ELb0EjNS0_19identity_decomposerEEEEE10hipError_tT0_T1_T2_jT3_P12ihipStream_tbPNSt15iterator_traitsISN_E10value_typeEPNST_ISO_E10value_typeEPSP_NS1_7vsmem_tEENKUlT_SN_SO_SP_E_clIPjSG_PS9_SI_EESM_S12_SN_SO_SP_EUlS12_E1_NS1_11comp_targetILNS1_3genE8ELNS1_11target_archE1030ELNS1_3gpuE2ELNS1_3repE0EEENS1_36merge_oddeven_config_static_selectorELNS0_4arch9wavefront6targetE0EEEvSO_,comdat
.Lfunc_end48:
	.size	_ZN7rocprim17ROCPRIM_400000_NS6detail17trampoline_kernelINS0_14default_configENS1_38merge_sort_block_merge_config_selectorIjN6thrust23THRUST_200600_302600_NS5tupleIffNS6_9null_typeES8_S8_S8_S8_S8_S8_S8_EEEEZZNS1_27merge_sort_block_merge_implIS3_NS6_6detail15normal_iteratorINS6_10device_ptrIjEEEENSD_INSE_IS9_EEEEjNS1_19radix_merge_compareILb0ELb0EjNS0_19identity_decomposerEEEEE10hipError_tT0_T1_T2_jT3_P12ihipStream_tbPNSt15iterator_traitsISN_E10value_typeEPNST_ISO_E10value_typeEPSP_NS1_7vsmem_tEENKUlT_SN_SO_SP_E_clIPjSG_PS9_SI_EESM_S12_SN_SO_SP_EUlS12_E1_NS1_11comp_targetILNS1_3genE8ELNS1_11target_archE1030ELNS1_3gpuE2ELNS1_3repE0EEENS1_36merge_oddeven_config_static_selectorELNS0_4arch9wavefront6targetE0EEEvSO_, .Lfunc_end48-_ZN7rocprim17ROCPRIM_400000_NS6detail17trampoline_kernelINS0_14default_configENS1_38merge_sort_block_merge_config_selectorIjN6thrust23THRUST_200600_302600_NS5tupleIffNS6_9null_typeES8_S8_S8_S8_S8_S8_S8_EEEEZZNS1_27merge_sort_block_merge_implIS3_NS6_6detail15normal_iteratorINS6_10device_ptrIjEEEENSD_INSE_IS9_EEEEjNS1_19radix_merge_compareILb0ELb0EjNS0_19identity_decomposerEEEEE10hipError_tT0_T1_T2_jT3_P12ihipStream_tbPNSt15iterator_traitsISN_E10value_typeEPNST_ISO_E10value_typeEPSP_NS1_7vsmem_tEENKUlT_SN_SO_SP_E_clIPjSG_PS9_SI_EESM_S12_SN_SO_SP_EUlS12_E1_NS1_11comp_targetILNS1_3genE8ELNS1_11target_archE1030ELNS1_3gpuE2ELNS1_3repE0EEENS1_36merge_oddeven_config_static_selectorELNS0_4arch9wavefront6targetE0EEEvSO_
                                        ; -- End function
	.set _ZN7rocprim17ROCPRIM_400000_NS6detail17trampoline_kernelINS0_14default_configENS1_38merge_sort_block_merge_config_selectorIjN6thrust23THRUST_200600_302600_NS5tupleIffNS6_9null_typeES8_S8_S8_S8_S8_S8_S8_EEEEZZNS1_27merge_sort_block_merge_implIS3_NS6_6detail15normal_iteratorINS6_10device_ptrIjEEEENSD_INSE_IS9_EEEEjNS1_19radix_merge_compareILb0ELb0EjNS0_19identity_decomposerEEEEE10hipError_tT0_T1_T2_jT3_P12ihipStream_tbPNSt15iterator_traitsISN_E10value_typeEPNST_ISO_E10value_typeEPSP_NS1_7vsmem_tEENKUlT_SN_SO_SP_E_clIPjSG_PS9_SI_EESM_S12_SN_SO_SP_EUlS12_E1_NS1_11comp_targetILNS1_3genE8ELNS1_11target_archE1030ELNS1_3gpuE2ELNS1_3repE0EEENS1_36merge_oddeven_config_static_selectorELNS0_4arch9wavefront6targetE0EEEvSO_.num_vgpr, 0
	.set _ZN7rocprim17ROCPRIM_400000_NS6detail17trampoline_kernelINS0_14default_configENS1_38merge_sort_block_merge_config_selectorIjN6thrust23THRUST_200600_302600_NS5tupleIffNS6_9null_typeES8_S8_S8_S8_S8_S8_S8_EEEEZZNS1_27merge_sort_block_merge_implIS3_NS6_6detail15normal_iteratorINS6_10device_ptrIjEEEENSD_INSE_IS9_EEEEjNS1_19radix_merge_compareILb0ELb0EjNS0_19identity_decomposerEEEEE10hipError_tT0_T1_T2_jT3_P12ihipStream_tbPNSt15iterator_traitsISN_E10value_typeEPNST_ISO_E10value_typeEPSP_NS1_7vsmem_tEENKUlT_SN_SO_SP_E_clIPjSG_PS9_SI_EESM_S12_SN_SO_SP_EUlS12_E1_NS1_11comp_targetILNS1_3genE8ELNS1_11target_archE1030ELNS1_3gpuE2ELNS1_3repE0EEENS1_36merge_oddeven_config_static_selectorELNS0_4arch9wavefront6targetE0EEEvSO_.num_agpr, 0
	.set _ZN7rocprim17ROCPRIM_400000_NS6detail17trampoline_kernelINS0_14default_configENS1_38merge_sort_block_merge_config_selectorIjN6thrust23THRUST_200600_302600_NS5tupleIffNS6_9null_typeES8_S8_S8_S8_S8_S8_S8_EEEEZZNS1_27merge_sort_block_merge_implIS3_NS6_6detail15normal_iteratorINS6_10device_ptrIjEEEENSD_INSE_IS9_EEEEjNS1_19radix_merge_compareILb0ELb0EjNS0_19identity_decomposerEEEEE10hipError_tT0_T1_T2_jT3_P12ihipStream_tbPNSt15iterator_traitsISN_E10value_typeEPNST_ISO_E10value_typeEPSP_NS1_7vsmem_tEENKUlT_SN_SO_SP_E_clIPjSG_PS9_SI_EESM_S12_SN_SO_SP_EUlS12_E1_NS1_11comp_targetILNS1_3genE8ELNS1_11target_archE1030ELNS1_3gpuE2ELNS1_3repE0EEENS1_36merge_oddeven_config_static_selectorELNS0_4arch9wavefront6targetE0EEEvSO_.numbered_sgpr, 0
	.set _ZN7rocprim17ROCPRIM_400000_NS6detail17trampoline_kernelINS0_14default_configENS1_38merge_sort_block_merge_config_selectorIjN6thrust23THRUST_200600_302600_NS5tupleIffNS6_9null_typeES8_S8_S8_S8_S8_S8_S8_EEEEZZNS1_27merge_sort_block_merge_implIS3_NS6_6detail15normal_iteratorINS6_10device_ptrIjEEEENSD_INSE_IS9_EEEEjNS1_19radix_merge_compareILb0ELb0EjNS0_19identity_decomposerEEEEE10hipError_tT0_T1_T2_jT3_P12ihipStream_tbPNSt15iterator_traitsISN_E10value_typeEPNST_ISO_E10value_typeEPSP_NS1_7vsmem_tEENKUlT_SN_SO_SP_E_clIPjSG_PS9_SI_EESM_S12_SN_SO_SP_EUlS12_E1_NS1_11comp_targetILNS1_3genE8ELNS1_11target_archE1030ELNS1_3gpuE2ELNS1_3repE0EEENS1_36merge_oddeven_config_static_selectorELNS0_4arch9wavefront6targetE0EEEvSO_.num_named_barrier, 0
	.set _ZN7rocprim17ROCPRIM_400000_NS6detail17trampoline_kernelINS0_14default_configENS1_38merge_sort_block_merge_config_selectorIjN6thrust23THRUST_200600_302600_NS5tupleIffNS6_9null_typeES8_S8_S8_S8_S8_S8_S8_EEEEZZNS1_27merge_sort_block_merge_implIS3_NS6_6detail15normal_iteratorINS6_10device_ptrIjEEEENSD_INSE_IS9_EEEEjNS1_19radix_merge_compareILb0ELb0EjNS0_19identity_decomposerEEEEE10hipError_tT0_T1_T2_jT3_P12ihipStream_tbPNSt15iterator_traitsISN_E10value_typeEPNST_ISO_E10value_typeEPSP_NS1_7vsmem_tEENKUlT_SN_SO_SP_E_clIPjSG_PS9_SI_EESM_S12_SN_SO_SP_EUlS12_E1_NS1_11comp_targetILNS1_3genE8ELNS1_11target_archE1030ELNS1_3gpuE2ELNS1_3repE0EEENS1_36merge_oddeven_config_static_selectorELNS0_4arch9wavefront6targetE0EEEvSO_.private_seg_size, 0
	.set _ZN7rocprim17ROCPRIM_400000_NS6detail17trampoline_kernelINS0_14default_configENS1_38merge_sort_block_merge_config_selectorIjN6thrust23THRUST_200600_302600_NS5tupleIffNS6_9null_typeES8_S8_S8_S8_S8_S8_S8_EEEEZZNS1_27merge_sort_block_merge_implIS3_NS6_6detail15normal_iteratorINS6_10device_ptrIjEEEENSD_INSE_IS9_EEEEjNS1_19radix_merge_compareILb0ELb0EjNS0_19identity_decomposerEEEEE10hipError_tT0_T1_T2_jT3_P12ihipStream_tbPNSt15iterator_traitsISN_E10value_typeEPNST_ISO_E10value_typeEPSP_NS1_7vsmem_tEENKUlT_SN_SO_SP_E_clIPjSG_PS9_SI_EESM_S12_SN_SO_SP_EUlS12_E1_NS1_11comp_targetILNS1_3genE8ELNS1_11target_archE1030ELNS1_3gpuE2ELNS1_3repE0EEENS1_36merge_oddeven_config_static_selectorELNS0_4arch9wavefront6targetE0EEEvSO_.uses_vcc, 0
	.set _ZN7rocprim17ROCPRIM_400000_NS6detail17trampoline_kernelINS0_14default_configENS1_38merge_sort_block_merge_config_selectorIjN6thrust23THRUST_200600_302600_NS5tupleIffNS6_9null_typeES8_S8_S8_S8_S8_S8_S8_EEEEZZNS1_27merge_sort_block_merge_implIS3_NS6_6detail15normal_iteratorINS6_10device_ptrIjEEEENSD_INSE_IS9_EEEEjNS1_19radix_merge_compareILb0ELb0EjNS0_19identity_decomposerEEEEE10hipError_tT0_T1_T2_jT3_P12ihipStream_tbPNSt15iterator_traitsISN_E10value_typeEPNST_ISO_E10value_typeEPSP_NS1_7vsmem_tEENKUlT_SN_SO_SP_E_clIPjSG_PS9_SI_EESM_S12_SN_SO_SP_EUlS12_E1_NS1_11comp_targetILNS1_3genE8ELNS1_11target_archE1030ELNS1_3gpuE2ELNS1_3repE0EEENS1_36merge_oddeven_config_static_selectorELNS0_4arch9wavefront6targetE0EEEvSO_.uses_flat_scratch, 0
	.set _ZN7rocprim17ROCPRIM_400000_NS6detail17trampoline_kernelINS0_14default_configENS1_38merge_sort_block_merge_config_selectorIjN6thrust23THRUST_200600_302600_NS5tupleIffNS6_9null_typeES8_S8_S8_S8_S8_S8_S8_EEEEZZNS1_27merge_sort_block_merge_implIS3_NS6_6detail15normal_iteratorINS6_10device_ptrIjEEEENSD_INSE_IS9_EEEEjNS1_19radix_merge_compareILb0ELb0EjNS0_19identity_decomposerEEEEE10hipError_tT0_T1_T2_jT3_P12ihipStream_tbPNSt15iterator_traitsISN_E10value_typeEPNST_ISO_E10value_typeEPSP_NS1_7vsmem_tEENKUlT_SN_SO_SP_E_clIPjSG_PS9_SI_EESM_S12_SN_SO_SP_EUlS12_E1_NS1_11comp_targetILNS1_3genE8ELNS1_11target_archE1030ELNS1_3gpuE2ELNS1_3repE0EEENS1_36merge_oddeven_config_static_selectorELNS0_4arch9wavefront6targetE0EEEvSO_.has_dyn_sized_stack, 0
	.set _ZN7rocprim17ROCPRIM_400000_NS6detail17trampoline_kernelINS0_14default_configENS1_38merge_sort_block_merge_config_selectorIjN6thrust23THRUST_200600_302600_NS5tupleIffNS6_9null_typeES8_S8_S8_S8_S8_S8_S8_EEEEZZNS1_27merge_sort_block_merge_implIS3_NS6_6detail15normal_iteratorINS6_10device_ptrIjEEEENSD_INSE_IS9_EEEEjNS1_19radix_merge_compareILb0ELb0EjNS0_19identity_decomposerEEEEE10hipError_tT0_T1_T2_jT3_P12ihipStream_tbPNSt15iterator_traitsISN_E10value_typeEPNST_ISO_E10value_typeEPSP_NS1_7vsmem_tEENKUlT_SN_SO_SP_E_clIPjSG_PS9_SI_EESM_S12_SN_SO_SP_EUlS12_E1_NS1_11comp_targetILNS1_3genE8ELNS1_11target_archE1030ELNS1_3gpuE2ELNS1_3repE0EEENS1_36merge_oddeven_config_static_selectorELNS0_4arch9wavefront6targetE0EEEvSO_.has_recursion, 0
	.set _ZN7rocprim17ROCPRIM_400000_NS6detail17trampoline_kernelINS0_14default_configENS1_38merge_sort_block_merge_config_selectorIjN6thrust23THRUST_200600_302600_NS5tupleIffNS6_9null_typeES8_S8_S8_S8_S8_S8_S8_EEEEZZNS1_27merge_sort_block_merge_implIS3_NS6_6detail15normal_iteratorINS6_10device_ptrIjEEEENSD_INSE_IS9_EEEEjNS1_19radix_merge_compareILb0ELb0EjNS0_19identity_decomposerEEEEE10hipError_tT0_T1_T2_jT3_P12ihipStream_tbPNSt15iterator_traitsISN_E10value_typeEPNST_ISO_E10value_typeEPSP_NS1_7vsmem_tEENKUlT_SN_SO_SP_E_clIPjSG_PS9_SI_EESM_S12_SN_SO_SP_EUlS12_E1_NS1_11comp_targetILNS1_3genE8ELNS1_11target_archE1030ELNS1_3gpuE2ELNS1_3repE0EEENS1_36merge_oddeven_config_static_selectorELNS0_4arch9wavefront6targetE0EEEvSO_.has_indirect_call, 0
	.section	.AMDGPU.csdata,"",@progbits
; Kernel info:
; codeLenInByte = 0
; TotalNumSgprs: 0
; NumVgprs: 0
; ScratchSize: 0
; MemoryBound: 0
; FloatMode: 240
; IeeeMode: 1
; LDSByteSize: 0 bytes/workgroup (compile time only)
; SGPRBlocks: 0
; VGPRBlocks: 0
; NumSGPRsForWavesPerEU: 1
; NumVGPRsForWavesPerEU: 1
; NamedBarCnt: 0
; Occupancy: 16
; WaveLimiterHint : 0
; COMPUTE_PGM_RSRC2:SCRATCH_EN: 0
; COMPUTE_PGM_RSRC2:USER_SGPR: 2
; COMPUTE_PGM_RSRC2:TRAP_HANDLER: 0
; COMPUTE_PGM_RSRC2:TGID_X_EN: 1
; COMPUTE_PGM_RSRC2:TGID_Y_EN: 0
; COMPUTE_PGM_RSRC2:TGID_Z_EN: 0
; COMPUTE_PGM_RSRC2:TIDIG_COMP_CNT: 0
	.section	.text._ZN7rocprim17ROCPRIM_400000_NS6detail17trampoline_kernelINS0_14default_configENS1_38merge_sort_block_merge_config_selectorIjN6thrust23THRUST_200600_302600_NS5tupleIffNS6_9null_typeES8_S8_S8_S8_S8_S8_S8_EEEEZZNS1_27merge_sort_block_merge_implIS3_NS6_6detail15normal_iteratorINS6_10device_ptrIjEEEENSD_INSE_IS9_EEEEjNS1_19radix_merge_compareILb0ELb0EjNS0_19identity_decomposerEEEEE10hipError_tT0_T1_T2_jT3_P12ihipStream_tbPNSt15iterator_traitsISN_E10value_typeEPNST_ISO_E10value_typeEPSP_NS1_7vsmem_tEENKUlT_SN_SO_SP_E_clISG_PjSI_PS9_EESM_S12_SN_SO_SP_EUlS12_E_NS1_11comp_targetILNS1_3genE0ELNS1_11target_archE4294967295ELNS1_3gpuE0ELNS1_3repE0EEENS1_48merge_mergepath_partition_config_static_selectorELNS0_4arch9wavefront6targetE0EEEvSO_,"axG",@progbits,_ZN7rocprim17ROCPRIM_400000_NS6detail17trampoline_kernelINS0_14default_configENS1_38merge_sort_block_merge_config_selectorIjN6thrust23THRUST_200600_302600_NS5tupleIffNS6_9null_typeES8_S8_S8_S8_S8_S8_S8_EEEEZZNS1_27merge_sort_block_merge_implIS3_NS6_6detail15normal_iteratorINS6_10device_ptrIjEEEENSD_INSE_IS9_EEEEjNS1_19radix_merge_compareILb0ELb0EjNS0_19identity_decomposerEEEEE10hipError_tT0_T1_T2_jT3_P12ihipStream_tbPNSt15iterator_traitsISN_E10value_typeEPNST_ISO_E10value_typeEPSP_NS1_7vsmem_tEENKUlT_SN_SO_SP_E_clISG_PjSI_PS9_EESM_S12_SN_SO_SP_EUlS12_E_NS1_11comp_targetILNS1_3genE0ELNS1_11target_archE4294967295ELNS1_3gpuE0ELNS1_3repE0EEENS1_48merge_mergepath_partition_config_static_selectorELNS0_4arch9wavefront6targetE0EEEvSO_,comdat
	.protected	_ZN7rocprim17ROCPRIM_400000_NS6detail17trampoline_kernelINS0_14default_configENS1_38merge_sort_block_merge_config_selectorIjN6thrust23THRUST_200600_302600_NS5tupleIffNS6_9null_typeES8_S8_S8_S8_S8_S8_S8_EEEEZZNS1_27merge_sort_block_merge_implIS3_NS6_6detail15normal_iteratorINS6_10device_ptrIjEEEENSD_INSE_IS9_EEEEjNS1_19radix_merge_compareILb0ELb0EjNS0_19identity_decomposerEEEEE10hipError_tT0_T1_T2_jT3_P12ihipStream_tbPNSt15iterator_traitsISN_E10value_typeEPNST_ISO_E10value_typeEPSP_NS1_7vsmem_tEENKUlT_SN_SO_SP_E_clISG_PjSI_PS9_EESM_S12_SN_SO_SP_EUlS12_E_NS1_11comp_targetILNS1_3genE0ELNS1_11target_archE4294967295ELNS1_3gpuE0ELNS1_3repE0EEENS1_48merge_mergepath_partition_config_static_selectorELNS0_4arch9wavefront6targetE0EEEvSO_ ; -- Begin function _ZN7rocprim17ROCPRIM_400000_NS6detail17trampoline_kernelINS0_14default_configENS1_38merge_sort_block_merge_config_selectorIjN6thrust23THRUST_200600_302600_NS5tupleIffNS6_9null_typeES8_S8_S8_S8_S8_S8_S8_EEEEZZNS1_27merge_sort_block_merge_implIS3_NS6_6detail15normal_iteratorINS6_10device_ptrIjEEEENSD_INSE_IS9_EEEEjNS1_19radix_merge_compareILb0ELb0EjNS0_19identity_decomposerEEEEE10hipError_tT0_T1_T2_jT3_P12ihipStream_tbPNSt15iterator_traitsISN_E10value_typeEPNST_ISO_E10value_typeEPSP_NS1_7vsmem_tEENKUlT_SN_SO_SP_E_clISG_PjSI_PS9_EESM_S12_SN_SO_SP_EUlS12_E_NS1_11comp_targetILNS1_3genE0ELNS1_11target_archE4294967295ELNS1_3gpuE0ELNS1_3repE0EEENS1_48merge_mergepath_partition_config_static_selectorELNS0_4arch9wavefront6targetE0EEEvSO_
	.globl	_ZN7rocprim17ROCPRIM_400000_NS6detail17trampoline_kernelINS0_14default_configENS1_38merge_sort_block_merge_config_selectorIjN6thrust23THRUST_200600_302600_NS5tupleIffNS6_9null_typeES8_S8_S8_S8_S8_S8_S8_EEEEZZNS1_27merge_sort_block_merge_implIS3_NS6_6detail15normal_iteratorINS6_10device_ptrIjEEEENSD_INSE_IS9_EEEEjNS1_19radix_merge_compareILb0ELb0EjNS0_19identity_decomposerEEEEE10hipError_tT0_T1_T2_jT3_P12ihipStream_tbPNSt15iterator_traitsISN_E10value_typeEPNST_ISO_E10value_typeEPSP_NS1_7vsmem_tEENKUlT_SN_SO_SP_E_clISG_PjSI_PS9_EESM_S12_SN_SO_SP_EUlS12_E_NS1_11comp_targetILNS1_3genE0ELNS1_11target_archE4294967295ELNS1_3gpuE0ELNS1_3repE0EEENS1_48merge_mergepath_partition_config_static_selectorELNS0_4arch9wavefront6targetE0EEEvSO_
	.p2align	8
	.type	_ZN7rocprim17ROCPRIM_400000_NS6detail17trampoline_kernelINS0_14default_configENS1_38merge_sort_block_merge_config_selectorIjN6thrust23THRUST_200600_302600_NS5tupleIffNS6_9null_typeES8_S8_S8_S8_S8_S8_S8_EEEEZZNS1_27merge_sort_block_merge_implIS3_NS6_6detail15normal_iteratorINS6_10device_ptrIjEEEENSD_INSE_IS9_EEEEjNS1_19radix_merge_compareILb0ELb0EjNS0_19identity_decomposerEEEEE10hipError_tT0_T1_T2_jT3_P12ihipStream_tbPNSt15iterator_traitsISN_E10value_typeEPNST_ISO_E10value_typeEPSP_NS1_7vsmem_tEENKUlT_SN_SO_SP_E_clISG_PjSI_PS9_EESM_S12_SN_SO_SP_EUlS12_E_NS1_11comp_targetILNS1_3genE0ELNS1_11target_archE4294967295ELNS1_3gpuE0ELNS1_3repE0EEENS1_48merge_mergepath_partition_config_static_selectorELNS0_4arch9wavefront6targetE0EEEvSO_,@function
_ZN7rocprim17ROCPRIM_400000_NS6detail17trampoline_kernelINS0_14default_configENS1_38merge_sort_block_merge_config_selectorIjN6thrust23THRUST_200600_302600_NS5tupleIffNS6_9null_typeES8_S8_S8_S8_S8_S8_S8_EEEEZZNS1_27merge_sort_block_merge_implIS3_NS6_6detail15normal_iteratorINS6_10device_ptrIjEEEENSD_INSE_IS9_EEEEjNS1_19radix_merge_compareILb0ELb0EjNS0_19identity_decomposerEEEEE10hipError_tT0_T1_T2_jT3_P12ihipStream_tbPNSt15iterator_traitsISN_E10value_typeEPNST_ISO_E10value_typeEPSP_NS1_7vsmem_tEENKUlT_SN_SO_SP_E_clISG_PjSI_PS9_EESM_S12_SN_SO_SP_EUlS12_E_NS1_11comp_targetILNS1_3genE0ELNS1_11target_archE4294967295ELNS1_3gpuE0ELNS1_3repE0EEENS1_48merge_mergepath_partition_config_static_selectorELNS0_4arch9wavefront6targetE0EEEvSO_: ; @_ZN7rocprim17ROCPRIM_400000_NS6detail17trampoline_kernelINS0_14default_configENS1_38merge_sort_block_merge_config_selectorIjN6thrust23THRUST_200600_302600_NS5tupleIffNS6_9null_typeES8_S8_S8_S8_S8_S8_S8_EEEEZZNS1_27merge_sort_block_merge_implIS3_NS6_6detail15normal_iteratorINS6_10device_ptrIjEEEENSD_INSE_IS9_EEEEjNS1_19radix_merge_compareILb0ELb0EjNS0_19identity_decomposerEEEEE10hipError_tT0_T1_T2_jT3_P12ihipStream_tbPNSt15iterator_traitsISN_E10value_typeEPNST_ISO_E10value_typeEPSP_NS1_7vsmem_tEENKUlT_SN_SO_SP_E_clISG_PjSI_PS9_EESM_S12_SN_SO_SP_EUlS12_E_NS1_11comp_targetILNS1_3genE0ELNS1_11target_archE4294967295ELNS1_3gpuE0ELNS1_3repE0EEENS1_48merge_mergepath_partition_config_static_selectorELNS0_4arch9wavefront6targetE0EEEvSO_
; %bb.0:
	s_load_b32 s2, s[0:1], 0x0
	s_bfe_u32 s3, ttmp6, 0x4000c
	s_and_b32 s4, ttmp6, 15
	s_add_co_i32 s3, s3, 1
	s_getreg_b32 s5, hwreg(HW_REG_IB_STS2, 6, 4)
	s_mul_i32 s3, ttmp9, s3
	s_delay_alu instid0(SALU_CYCLE_1) | instskip(SKIP_2) | instid1(SALU_CYCLE_1)
	s_add_co_i32 s4, s4, s3
	s_cmp_eq_u32 s5, 0
	s_cselect_b32 s3, ttmp9, s4
	v_lshl_or_b32 v8, s3, 7, v0
	s_wait_kmcnt 0x0
	s_delay_alu instid0(VALU_DEP_1)
	v_cmp_gt_u32_e32 vcc_lo, s2, v8
	s_and_saveexec_b32 s2, vcc_lo
	s_cbranch_execz .LBB49_6
; %bb.1:
	s_load_b64 s[2:3], s[0:1], 0x4
	s_wait_kmcnt 0x0
	s_lshr_b32 s4, s2, 9
	s_delay_alu instid0(SALU_CYCLE_1) | instskip(NEXT) | instid1(SALU_CYCLE_1)
	s_and_b32 s4, s4, 0x7ffffe
	s_sub_co_i32 s5, 0, s4
	s_add_co_i32 s4, s4, -1
	s_delay_alu instid0(SALU_CYCLE_1) | instskip(SKIP_2) | instid1(VALU_DEP_1)
	v_and_b32_e32 v1, s4, v8
	v_and_b32_e32 v0, s5, v8
	s_mov_b32 s4, exec_lo
	v_dual_lshlrev_b32 v1, 10, v1 :: v_dual_lshlrev_b32 v0, 10, v0
	s_delay_alu instid0(VALU_DEP_1) | instskip(SKIP_1) | instid1(VALU_DEP_2)
	v_add_min_u32_e64 v2, v0, s2, s3
	v_min_u32_e32 v0, s3, v0
	v_add_min_u32_e64 v3, v2, s2, s3
	s_load_b64 s[2:3], s[0:1], 0x20
	s_delay_alu instid0(VALU_DEP_1) | instskip(NEXT) | instid1(VALU_DEP_1)
	v_dual_sub_nc_u32 v4, v3, v0 :: v_dual_sub_nc_u32 v3, v3, v2
	v_min_u32_e32 v10, v4, v1
	v_sub_nc_u32_e32 v1, v2, v0
	s_delay_alu instid0(VALU_DEP_2) | instskip(NEXT) | instid1(VALU_DEP_2)
	v_sub_nc_u32_e64 v9, v10, v3 clamp
	v_min_u32_e32 v11, v10, v1
	s_delay_alu instid0(VALU_DEP_1)
	v_cmpx_lt_u32_e64 v9, v11
	s_cbranch_execz .LBB49_5
; %bb.2:
	s_wait_xcnt 0x0
	s_load_b64 s[0:1], s[0:1], 0x10
	v_mov_b32_e32 v3, 0
	s_delay_alu instid0(VALU_DEP_1) | instskip(SKIP_1) | instid1(VALU_DEP_1)
	v_mov_b32_e32 v1, v3
	s_wait_kmcnt 0x0
	v_lshl_add_u64 v[4:5], v[0:1], 2, s[0:1]
	v_lshl_add_u64 v[6:7], v[2:3], 2, s[0:1]
	s_mov_b32 s0, 0
.LBB49_3:                               ; =>This Inner Loop Header: Depth=1
	v_add_nc_u32_e32 v1, v11, v9
	s_delay_alu instid0(VALU_DEP_1) | instskip(NEXT) | instid1(VALU_DEP_1)
	v_dual_mov_b32 v13, v3 :: v_dual_lshrrev_b32 v2, 1, v1
	v_xad_u32 v12, v2, -1, v10
	v_lshl_add_u64 v[14:15], v[2:3], 2, v[4:5]
	s_delay_alu instid0(VALU_DEP_2)
	v_lshl_add_u64 v[12:13], v[12:13], 2, v[6:7]
	s_clause 0x1
	flat_load_b32 v1, v[14:15]
	flat_load_b32 v16, v[12:13]
	s_wait_xcnt 0x0
	v_add_nc_u32_e32 v12, 1, v2
	s_wait_loadcnt_dscnt 0x0
	v_cmp_gt_u32_e32 vcc_lo, v1, v16
	s_delay_alu instid0(VALU_DEP_2) | instskip(NEXT) | instid1(VALU_DEP_1)
	v_dual_cndmask_b32 v11, v11, v2, vcc_lo :: v_dual_cndmask_b32 v9, v12, v9, vcc_lo
	v_cmp_ge_u32_e32 vcc_lo, v9, v11
	s_or_b32 s0, vcc_lo, s0
	s_delay_alu instid0(SALU_CYCLE_1)
	s_and_not1_b32 exec_lo, exec_lo, s0
	s_cbranch_execnz .LBB49_3
; %bb.4:
	s_or_b32 exec_lo, exec_lo, s0
.LBB49_5:
	s_delay_alu instid0(SALU_CYCLE_1)
	s_or_b32 exec_lo, exec_lo, s4
	v_add_nc_u32_e32 v0, v9, v0
	s_wait_kmcnt 0x0
	global_store_b32 v8, v0, s[2:3] scale_offset
.LBB49_6:
	s_endpgm
	.section	.rodata,"a",@progbits
	.p2align	6, 0x0
	.amdhsa_kernel _ZN7rocprim17ROCPRIM_400000_NS6detail17trampoline_kernelINS0_14default_configENS1_38merge_sort_block_merge_config_selectorIjN6thrust23THRUST_200600_302600_NS5tupleIffNS6_9null_typeES8_S8_S8_S8_S8_S8_S8_EEEEZZNS1_27merge_sort_block_merge_implIS3_NS6_6detail15normal_iteratorINS6_10device_ptrIjEEEENSD_INSE_IS9_EEEEjNS1_19radix_merge_compareILb0ELb0EjNS0_19identity_decomposerEEEEE10hipError_tT0_T1_T2_jT3_P12ihipStream_tbPNSt15iterator_traitsISN_E10value_typeEPNST_ISO_E10value_typeEPSP_NS1_7vsmem_tEENKUlT_SN_SO_SP_E_clISG_PjSI_PS9_EESM_S12_SN_SO_SP_EUlS12_E_NS1_11comp_targetILNS1_3genE0ELNS1_11target_archE4294967295ELNS1_3gpuE0ELNS1_3repE0EEENS1_48merge_mergepath_partition_config_static_selectorELNS0_4arch9wavefront6targetE0EEEvSO_
		.amdhsa_group_segment_fixed_size 0
		.amdhsa_private_segment_fixed_size 0
		.amdhsa_kernarg_size 40
		.amdhsa_user_sgpr_count 2
		.amdhsa_user_sgpr_dispatch_ptr 0
		.amdhsa_user_sgpr_queue_ptr 0
		.amdhsa_user_sgpr_kernarg_segment_ptr 1
		.amdhsa_user_sgpr_dispatch_id 0
		.amdhsa_user_sgpr_kernarg_preload_length 0
		.amdhsa_user_sgpr_kernarg_preload_offset 0
		.amdhsa_user_sgpr_private_segment_size 0
		.amdhsa_wavefront_size32 1
		.amdhsa_uses_dynamic_stack 0
		.amdhsa_enable_private_segment 0
		.amdhsa_system_sgpr_workgroup_id_x 1
		.amdhsa_system_sgpr_workgroup_id_y 0
		.amdhsa_system_sgpr_workgroup_id_z 0
		.amdhsa_system_sgpr_workgroup_info 0
		.amdhsa_system_vgpr_workitem_id 0
		.amdhsa_next_free_vgpr 17
		.amdhsa_next_free_sgpr 6
		.amdhsa_named_barrier_count 0
		.amdhsa_reserve_vcc 1
		.amdhsa_float_round_mode_32 0
		.amdhsa_float_round_mode_16_64 0
		.amdhsa_float_denorm_mode_32 3
		.amdhsa_float_denorm_mode_16_64 3
		.amdhsa_fp16_overflow 0
		.amdhsa_memory_ordered 1
		.amdhsa_forward_progress 1
		.amdhsa_inst_pref_size 4
		.amdhsa_round_robin_scheduling 0
		.amdhsa_exception_fp_ieee_invalid_op 0
		.amdhsa_exception_fp_denorm_src 0
		.amdhsa_exception_fp_ieee_div_zero 0
		.amdhsa_exception_fp_ieee_overflow 0
		.amdhsa_exception_fp_ieee_underflow 0
		.amdhsa_exception_fp_ieee_inexact 0
		.amdhsa_exception_int_div_zero 0
	.end_amdhsa_kernel
	.section	.text._ZN7rocprim17ROCPRIM_400000_NS6detail17trampoline_kernelINS0_14default_configENS1_38merge_sort_block_merge_config_selectorIjN6thrust23THRUST_200600_302600_NS5tupleIffNS6_9null_typeES8_S8_S8_S8_S8_S8_S8_EEEEZZNS1_27merge_sort_block_merge_implIS3_NS6_6detail15normal_iteratorINS6_10device_ptrIjEEEENSD_INSE_IS9_EEEEjNS1_19radix_merge_compareILb0ELb0EjNS0_19identity_decomposerEEEEE10hipError_tT0_T1_T2_jT3_P12ihipStream_tbPNSt15iterator_traitsISN_E10value_typeEPNST_ISO_E10value_typeEPSP_NS1_7vsmem_tEENKUlT_SN_SO_SP_E_clISG_PjSI_PS9_EESM_S12_SN_SO_SP_EUlS12_E_NS1_11comp_targetILNS1_3genE0ELNS1_11target_archE4294967295ELNS1_3gpuE0ELNS1_3repE0EEENS1_48merge_mergepath_partition_config_static_selectorELNS0_4arch9wavefront6targetE0EEEvSO_,"axG",@progbits,_ZN7rocprim17ROCPRIM_400000_NS6detail17trampoline_kernelINS0_14default_configENS1_38merge_sort_block_merge_config_selectorIjN6thrust23THRUST_200600_302600_NS5tupleIffNS6_9null_typeES8_S8_S8_S8_S8_S8_S8_EEEEZZNS1_27merge_sort_block_merge_implIS3_NS6_6detail15normal_iteratorINS6_10device_ptrIjEEEENSD_INSE_IS9_EEEEjNS1_19radix_merge_compareILb0ELb0EjNS0_19identity_decomposerEEEEE10hipError_tT0_T1_T2_jT3_P12ihipStream_tbPNSt15iterator_traitsISN_E10value_typeEPNST_ISO_E10value_typeEPSP_NS1_7vsmem_tEENKUlT_SN_SO_SP_E_clISG_PjSI_PS9_EESM_S12_SN_SO_SP_EUlS12_E_NS1_11comp_targetILNS1_3genE0ELNS1_11target_archE4294967295ELNS1_3gpuE0ELNS1_3repE0EEENS1_48merge_mergepath_partition_config_static_selectorELNS0_4arch9wavefront6targetE0EEEvSO_,comdat
.Lfunc_end49:
	.size	_ZN7rocprim17ROCPRIM_400000_NS6detail17trampoline_kernelINS0_14default_configENS1_38merge_sort_block_merge_config_selectorIjN6thrust23THRUST_200600_302600_NS5tupleIffNS6_9null_typeES8_S8_S8_S8_S8_S8_S8_EEEEZZNS1_27merge_sort_block_merge_implIS3_NS6_6detail15normal_iteratorINS6_10device_ptrIjEEEENSD_INSE_IS9_EEEEjNS1_19radix_merge_compareILb0ELb0EjNS0_19identity_decomposerEEEEE10hipError_tT0_T1_T2_jT3_P12ihipStream_tbPNSt15iterator_traitsISN_E10value_typeEPNST_ISO_E10value_typeEPSP_NS1_7vsmem_tEENKUlT_SN_SO_SP_E_clISG_PjSI_PS9_EESM_S12_SN_SO_SP_EUlS12_E_NS1_11comp_targetILNS1_3genE0ELNS1_11target_archE4294967295ELNS1_3gpuE0ELNS1_3repE0EEENS1_48merge_mergepath_partition_config_static_selectorELNS0_4arch9wavefront6targetE0EEEvSO_, .Lfunc_end49-_ZN7rocprim17ROCPRIM_400000_NS6detail17trampoline_kernelINS0_14default_configENS1_38merge_sort_block_merge_config_selectorIjN6thrust23THRUST_200600_302600_NS5tupleIffNS6_9null_typeES8_S8_S8_S8_S8_S8_S8_EEEEZZNS1_27merge_sort_block_merge_implIS3_NS6_6detail15normal_iteratorINS6_10device_ptrIjEEEENSD_INSE_IS9_EEEEjNS1_19radix_merge_compareILb0ELb0EjNS0_19identity_decomposerEEEEE10hipError_tT0_T1_T2_jT3_P12ihipStream_tbPNSt15iterator_traitsISN_E10value_typeEPNST_ISO_E10value_typeEPSP_NS1_7vsmem_tEENKUlT_SN_SO_SP_E_clISG_PjSI_PS9_EESM_S12_SN_SO_SP_EUlS12_E_NS1_11comp_targetILNS1_3genE0ELNS1_11target_archE4294967295ELNS1_3gpuE0ELNS1_3repE0EEENS1_48merge_mergepath_partition_config_static_selectorELNS0_4arch9wavefront6targetE0EEEvSO_
                                        ; -- End function
	.set _ZN7rocprim17ROCPRIM_400000_NS6detail17trampoline_kernelINS0_14default_configENS1_38merge_sort_block_merge_config_selectorIjN6thrust23THRUST_200600_302600_NS5tupleIffNS6_9null_typeES8_S8_S8_S8_S8_S8_S8_EEEEZZNS1_27merge_sort_block_merge_implIS3_NS6_6detail15normal_iteratorINS6_10device_ptrIjEEEENSD_INSE_IS9_EEEEjNS1_19radix_merge_compareILb0ELb0EjNS0_19identity_decomposerEEEEE10hipError_tT0_T1_T2_jT3_P12ihipStream_tbPNSt15iterator_traitsISN_E10value_typeEPNST_ISO_E10value_typeEPSP_NS1_7vsmem_tEENKUlT_SN_SO_SP_E_clISG_PjSI_PS9_EESM_S12_SN_SO_SP_EUlS12_E_NS1_11comp_targetILNS1_3genE0ELNS1_11target_archE4294967295ELNS1_3gpuE0ELNS1_3repE0EEENS1_48merge_mergepath_partition_config_static_selectorELNS0_4arch9wavefront6targetE0EEEvSO_.num_vgpr, 17
	.set _ZN7rocprim17ROCPRIM_400000_NS6detail17trampoline_kernelINS0_14default_configENS1_38merge_sort_block_merge_config_selectorIjN6thrust23THRUST_200600_302600_NS5tupleIffNS6_9null_typeES8_S8_S8_S8_S8_S8_S8_EEEEZZNS1_27merge_sort_block_merge_implIS3_NS6_6detail15normal_iteratorINS6_10device_ptrIjEEEENSD_INSE_IS9_EEEEjNS1_19radix_merge_compareILb0ELb0EjNS0_19identity_decomposerEEEEE10hipError_tT0_T1_T2_jT3_P12ihipStream_tbPNSt15iterator_traitsISN_E10value_typeEPNST_ISO_E10value_typeEPSP_NS1_7vsmem_tEENKUlT_SN_SO_SP_E_clISG_PjSI_PS9_EESM_S12_SN_SO_SP_EUlS12_E_NS1_11comp_targetILNS1_3genE0ELNS1_11target_archE4294967295ELNS1_3gpuE0ELNS1_3repE0EEENS1_48merge_mergepath_partition_config_static_selectorELNS0_4arch9wavefront6targetE0EEEvSO_.num_agpr, 0
	.set _ZN7rocprim17ROCPRIM_400000_NS6detail17trampoline_kernelINS0_14default_configENS1_38merge_sort_block_merge_config_selectorIjN6thrust23THRUST_200600_302600_NS5tupleIffNS6_9null_typeES8_S8_S8_S8_S8_S8_S8_EEEEZZNS1_27merge_sort_block_merge_implIS3_NS6_6detail15normal_iteratorINS6_10device_ptrIjEEEENSD_INSE_IS9_EEEEjNS1_19radix_merge_compareILb0ELb0EjNS0_19identity_decomposerEEEEE10hipError_tT0_T1_T2_jT3_P12ihipStream_tbPNSt15iterator_traitsISN_E10value_typeEPNST_ISO_E10value_typeEPSP_NS1_7vsmem_tEENKUlT_SN_SO_SP_E_clISG_PjSI_PS9_EESM_S12_SN_SO_SP_EUlS12_E_NS1_11comp_targetILNS1_3genE0ELNS1_11target_archE4294967295ELNS1_3gpuE0ELNS1_3repE0EEENS1_48merge_mergepath_partition_config_static_selectorELNS0_4arch9wavefront6targetE0EEEvSO_.numbered_sgpr, 6
	.set _ZN7rocprim17ROCPRIM_400000_NS6detail17trampoline_kernelINS0_14default_configENS1_38merge_sort_block_merge_config_selectorIjN6thrust23THRUST_200600_302600_NS5tupleIffNS6_9null_typeES8_S8_S8_S8_S8_S8_S8_EEEEZZNS1_27merge_sort_block_merge_implIS3_NS6_6detail15normal_iteratorINS6_10device_ptrIjEEEENSD_INSE_IS9_EEEEjNS1_19radix_merge_compareILb0ELb0EjNS0_19identity_decomposerEEEEE10hipError_tT0_T1_T2_jT3_P12ihipStream_tbPNSt15iterator_traitsISN_E10value_typeEPNST_ISO_E10value_typeEPSP_NS1_7vsmem_tEENKUlT_SN_SO_SP_E_clISG_PjSI_PS9_EESM_S12_SN_SO_SP_EUlS12_E_NS1_11comp_targetILNS1_3genE0ELNS1_11target_archE4294967295ELNS1_3gpuE0ELNS1_3repE0EEENS1_48merge_mergepath_partition_config_static_selectorELNS0_4arch9wavefront6targetE0EEEvSO_.num_named_barrier, 0
	.set _ZN7rocprim17ROCPRIM_400000_NS6detail17trampoline_kernelINS0_14default_configENS1_38merge_sort_block_merge_config_selectorIjN6thrust23THRUST_200600_302600_NS5tupleIffNS6_9null_typeES8_S8_S8_S8_S8_S8_S8_EEEEZZNS1_27merge_sort_block_merge_implIS3_NS6_6detail15normal_iteratorINS6_10device_ptrIjEEEENSD_INSE_IS9_EEEEjNS1_19radix_merge_compareILb0ELb0EjNS0_19identity_decomposerEEEEE10hipError_tT0_T1_T2_jT3_P12ihipStream_tbPNSt15iterator_traitsISN_E10value_typeEPNST_ISO_E10value_typeEPSP_NS1_7vsmem_tEENKUlT_SN_SO_SP_E_clISG_PjSI_PS9_EESM_S12_SN_SO_SP_EUlS12_E_NS1_11comp_targetILNS1_3genE0ELNS1_11target_archE4294967295ELNS1_3gpuE0ELNS1_3repE0EEENS1_48merge_mergepath_partition_config_static_selectorELNS0_4arch9wavefront6targetE0EEEvSO_.private_seg_size, 0
	.set _ZN7rocprim17ROCPRIM_400000_NS6detail17trampoline_kernelINS0_14default_configENS1_38merge_sort_block_merge_config_selectorIjN6thrust23THRUST_200600_302600_NS5tupleIffNS6_9null_typeES8_S8_S8_S8_S8_S8_S8_EEEEZZNS1_27merge_sort_block_merge_implIS3_NS6_6detail15normal_iteratorINS6_10device_ptrIjEEEENSD_INSE_IS9_EEEEjNS1_19radix_merge_compareILb0ELb0EjNS0_19identity_decomposerEEEEE10hipError_tT0_T1_T2_jT3_P12ihipStream_tbPNSt15iterator_traitsISN_E10value_typeEPNST_ISO_E10value_typeEPSP_NS1_7vsmem_tEENKUlT_SN_SO_SP_E_clISG_PjSI_PS9_EESM_S12_SN_SO_SP_EUlS12_E_NS1_11comp_targetILNS1_3genE0ELNS1_11target_archE4294967295ELNS1_3gpuE0ELNS1_3repE0EEENS1_48merge_mergepath_partition_config_static_selectorELNS0_4arch9wavefront6targetE0EEEvSO_.uses_vcc, 1
	.set _ZN7rocprim17ROCPRIM_400000_NS6detail17trampoline_kernelINS0_14default_configENS1_38merge_sort_block_merge_config_selectorIjN6thrust23THRUST_200600_302600_NS5tupleIffNS6_9null_typeES8_S8_S8_S8_S8_S8_S8_EEEEZZNS1_27merge_sort_block_merge_implIS3_NS6_6detail15normal_iteratorINS6_10device_ptrIjEEEENSD_INSE_IS9_EEEEjNS1_19radix_merge_compareILb0ELb0EjNS0_19identity_decomposerEEEEE10hipError_tT0_T1_T2_jT3_P12ihipStream_tbPNSt15iterator_traitsISN_E10value_typeEPNST_ISO_E10value_typeEPSP_NS1_7vsmem_tEENKUlT_SN_SO_SP_E_clISG_PjSI_PS9_EESM_S12_SN_SO_SP_EUlS12_E_NS1_11comp_targetILNS1_3genE0ELNS1_11target_archE4294967295ELNS1_3gpuE0ELNS1_3repE0EEENS1_48merge_mergepath_partition_config_static_selectorELNS0_4arch9wavefront6targetE0EEEvSO_.uses_flat_scratch, 1
	.set _ZN7rocprim17ROCPRIM_400000_NS6detail17trampoline_kernelINS0_14default_configENS1_38merge_sort_block_merge_config_selectorIjN6thrust23THRUST_200600_302600_NS5tupleIffNS6_9null_typeES8_S8_S8_S8_S8_S8_S8_EEEEZZNS1_27merge_sort_block_merge_implIS3_NS6_6detail15normal_iteratorINS6_10device_ptrIjEEEENSD_INSE_IS9_EEEEjNS1_19radix_merge_compareILb0ELb0EjNS0_19identity_decomposerEEEEE10hipError_tT0_T1_T2_jT3_P12ihipStream_tbPNSt15iterator_traitsISN_E10value_typeEPNST_ISO_E10value_typeEPSP_NS1_7vsmem_tEENKUlT_SN_SO_SP_E_clISG_PjSI_PS9_EESM_S12_SN_SO_SP_EUlS12_E_NS1_11comp_targetILNS1_3genE0ELNS1_11target_archE4294967295ELNS1_3gpuE0ELNS1_3repE0EEENS1_48merge_mergepath_partition_config_static_selectorELNS0_4arch9wavefront6targetE0EEEvSO_.has_dyn_sized_stack, 0
	.set _ZN7rocprim17ROCPRIM_400000_NS6detail17trampoline_kernelINS0_14default_configENS1_38merge_sort_block_merge_config_selectorIjN6thrust23THRUST_200600_302600_NS5tupleIffNS6_9null_typeES8_S8_S8_S8_S8_S8_S8_EEEEZZNS1_27merge_sort_block_merge_implIS3_NS6_6detail15normal_iteratorINS6_10device_ptrIjEEEENSD_INSE_IS9_EEEEjNS1_19radix_merge_compareILb0ELb0EjNS0_19identity_decomposerEEEEE10hipError_tT0_T1_T2_jT3_P12ihipStream_tbPNSt15iterator_traitsISN_E10value_typeEPNST_ISO_E10value_typeEPSP_NS1_7vsmem_tEENKUlT_SN_SO_SP_E_clISG_PjSI_PS9_EESM_S12_SN_SO_SP_EUlS12_E_NS1_11comp_targetILNS1_3genE0ELNS1_11target_archE4294967295ELNS1_3gpuE0ELNS1_3repE0EEENS1_48merge_mergepath_partition_config_static_selectorELNS0_4arch9wavefront6targetE0EEEvSO_.has_recursion, 0
	.set _ZN7rocprim17ROCPRIM_400000_NS6detail17trampoline_kernelINS0_14default_configENS1_38merge_sort_block_merge_config_selectorIjN6thrust23THRUST_200600_302600_NS5tupleIffNS6_9null_typeES8_S8_S8_S8_S8_S8_S8_EEEEZZNS1_27merge_sort_block_merge_implIS3_NS6_6detail15normal_iteratorINS6_10device_ptrIjEEEENSD_INSE_IS9_EEEEjNS1_19radix_merge_compareILb0ELb0EjNS0_19identity_decomposerEEEEE10hipError_tT0_T1_T2_jT3_P12ihipStream_tbPNSt15iterator_traitsISN_E10value_typeEPNST_ISO_E10value_typeEPSP_NS1_7vsmem_tEENKUlT_SN_SO_SP_E_clISG_PjSI_PS9_EESM_S12_SN_SO_SP_EUlS12_E_NS1_11comp_targetILNS1_3genE0ELNS1_11target_archE4294967295ELNS1_3gpuE0ELNS1_3repE0EEENS1_48merge_mergepath_partition_config_static_selectorELNS0_4arch9wavefront6targetE0EEEvSO_.has_indirect_call, 0
	.section	.AMDGPU.csdata,"",@progbits
; Kernel info:
; codeLenInByte = 436
; TotalNumSgprs: 8
; NumVgprs: 17
; ScratchSize: 0
; MemoryBound: 0
; FloatMode: 240
; IeeeMode: 1
; LDSByteSize: 0 bytes/workgroup (compile time only)
; SGPRBlocks: 0
; VGPRBlocks: 1
; NumSGPRsForWavesPerEU: 8
; NumVGPRsForWavesPerEU: 17
; NamedBarCnt: 0
; Occupancy: 16
; WaveLimiterHint : 0
; COMPUTE_PGM_RSRC2:SCRATCH_EN: 0
; COMPUTE_PGM_RSRC2:USER_SGPR: 2
; COMPUTE_PGM_RSRC2:TRAP_HANDLER: 0
; COMPUTE_PGM_RSRC2:TGID_X_EN: 1
; COMPUTE_PGM_RSRC2:TGID_Y_EN: 0
; COMPUTE_PGM_RSRC2:TGID_Z_EN: 0
; COMPUTE_PGM_RSRC2:TIDIG_COMP_CNT: 0
	.section	.text._ZN7rocprim17ROCPRIM_400000_NS6detail17trampoline_kernelINS0_14default_configENS1_38merge_sort_block_merge_config_selectorIjN6thrust23THRUST_200600_302600_NS5tupleIffNS6_9null_typeES8_S8_S8_S8_S8_S8_S8_EEEEZZNS1_27merge_sort_block_merge_implIS3_NS6_6detail15normal_iteratorINS6_10device_ptrIjEEEENSD_INSE_IS9_EEEEjNS1_19radix_merge_compareILb0ELb0EjNS0_19identity_decomposerEEEEE10hipError_tT0_T1_T2_jT3_P12ihipStream_tbPNSt15iterator_traitsISN_E10value_typeEPNST_ISO_E10value_typeEPSP_NS1_7vsmem_tEENKUlT_SN_SO_SP_E_clISG_PjSI_PS9_EESM_S12_SN_SO_SP_EUlS12_E_NS1_11comp_targetILNS1_3genE10ELNS1_11target_archE1201ELNS1_3gpuE5ELNS1_3repE0EEENS1_48merge_mergepath_partition_config_static_selectorELNS0_4arch9wavefront6targetE0EEEvSO_,"axG",@progbits,_ZN7rocprim17ROCPRIM_400000_NS6detail17trampoline_kernelINS0_14default_configENS1_38merge_sort_block_merge_config_selectorIjN6thrust23THRUST_200600_302600_NS5tupleIffNS6_9null_typeES8_S8_S8_S8_S8_S8_S8_EEEEZZNS1_27merge_sort_block_merge_implIS3_NS6_6detail15normal_iteratorINS6_10device_ptrIjEEEENSD_INSE_IS9_EEEEjNS1_19radix_merge_compareILb0ELb0EjNS0_19identity_decomposerEEEEE10hipError_tT0_T1_T2_jT3_P12ihipStream_tbPNSt15iterator_traitsISN_E10value_typeEPNST_ISO_E10value_typeEPSP_NS1_7vsmem_tEENKUlT_SN_SO_SP_E_clISG_PjSI_PS9_EESM_S12_SN_SO_SP_EUlS12_E_NS1_11comp_targetILNS1_3genE10ELNS1_11target_archE1201ELNS1_3gpuE5ELNS1_3repE0EEENS1_48merge_mergepath_partition_config_static_selectorELNS0_4arch9wavefront6targetE0EEEvSO_,comdat
	.protected	_ZN7rocprim17ROCPRIM_400000_NS6detail17trampoline_kernelINS0_14default_configENS1_38merge_sort_block_merge_config_selectorIjN6thrust23THRUST_200600_302600_NS5tupleIffNS6_9null_typeES8_S8_S8_S8_S8_S8_S8_EEEEZZNS1_27merge_sort_block_merge_implIS3_NS6_6detail15normal_iteratorINS6_10device_ptrIjEEEENSD_INSE_IS9_EEEEjNS1_19radix_merge_compareILb0ELb0EjNS0_19identity_decomposerEEEEE10hipError_tT0_T1_T2_jT3_P12ihipStream_tbPNSt15iterator_traitsISN_E10value_typeEPNST_ISO_E10value_typeEPSP_NS1_7vsmem_tEENKUlT_SN_SO_SP_E_clISG_PjSI_PS9_EESM_S12_SN_SO_SP_EUlS12_E_NS1_11comp_targetILNS1_3genE10ELNS1_11target_archE1201ELNS1_3gpuE5ELNS1_3repE0EEENS1_48merge_mergepath_partition_config_static_selectorELNS0_4arch9wavefront6targetE0EEEvSO_ ; -- Begin function _ZN7rocprim17ROCPRIM_400000_NS6detail17trampoline_kernelINS0_14default_configENS1_38merge_sort_block_merge_config_selectorIjN6thrust23THRUST_200600_302600_NS5tupleIffNS6_9null_typeES8_S8_S8_S8_S8_S8_S8_EEEEZZNS1_27merge_sort_block_merge_implIS3_NS6_6detail15normal_iteratorINS6_10device_ptrIjEEEENSD_INSE_IS9_EEEEjNS1_19radix_merge_compareILb0ELb0EjNS0_19identity_decomposerEEEEE10hipError_tT0_T1_T2_jT3_P12ihipStream_tbPNSt15iterator_traitsISN_E10value_typeEPNST_ISO_E10value_typeEPSP_NS1_7vsmem_tEENKUlT_SN_SO_SP_E_clISG_PjSI_PS9_EESM_S12_SN_SO_SP_EUlS12_E_NS1_11comp_targetILNS1_3genE10ELNS1_11target_archE1201ELNS1_3gpuE5ELNS1_3repE0EEENS1_48merge_mergepath_partition_config_static_selectorELNS0_4arch9wavefront6targetE0EEEvSO_
	.globl	_ZN7rocprim17ROCPRIM_400000_NS6detail17trampoline_kernelINS0_14default_configENS1_38merge_sort_block_merge_config_selectorIjN6thrust23THRUST_200600_302600_NS5tupleIffNS6_9null_typeES8_S8_S8_S8_S8_S8_S8_EEEEZZNS1_27merge_sort_block_merge_implIS3_NS6_6detail15normal_iteratorINS6_10device_ptrIjEEEENSD_INSE_IS9_EEEEjNS1_19radix_merge_compareILb0ELb0EjNS0_19identity_decomposerEEEEE10hipError_tT0_T1_T2_jT3_P12ihipStream_tbPNSt15iterator_traitsISN_E10value_typeEPNST_ISO_E10value_typeEPSP_NS1_7vsmem_tEENKUlT_SN_SO_SP_E_clISG_PjSI_PS9_EESM_S12_SN_SO_SP_EUlS12_E_NS1_11comp_targetILNS1_3genE10ELNS1_11target_archE1201ELNS1_3gpuE5ELNS1_3repE0EEENS1_48merge_mergepath_partition_config_static_selectorELNS0_4arch9wavefront6targetE0EEEvSO_
	.p2align	8
	.type	_ZN7rocprim17ROCPRIM_400000_NS6detail17trampoline_kernelINS0_14default_configENS1_38merge_sort_block_merge_config_selectorIjN6thrust23THRUST_200600_302600_NS5tupleIffNS6_9null_typeES8_S8_S8_S8_S8_S8_S8_EEEEZZNS1_27merge_sort_block_merge_implIS3_NS6_6detail15normal_iteratorINS6_10device_ptrIjEEEENSD_INSE_IS9_EEEEjNS1_19radix_merge_compareILb0ELb0EjNS0_19identity_decomposerEEEEE10hipError_tT0_T1_T2_jT3_P12ihipStream_tbPNSt15iterator_traitsISN_E10value_typeEPNST_ISO_E10value_typeEPSP_NS1_7vsmem_tEENKUlT_SN_SO_SP_E_clISG_PjSI_PS9_EESM_S12_SN_SO_SP_EUlS12_E_NS1_11comp_targetILNS1_3genE10ELNS1_11target_archE1201ELNS1_3gpuE5ELNS1_3repE0EEENS1_48merge_mergepath_partition_config_static_selectorELNS0_4arch9wavefront6targetE0EEEvSO_,@function
_ZN7rocprim17ROCPRIM_400000_NS6detail17trampoline_kernelINS0_14default_configENS1_38merge_sort_block_merge_config_selectorIjN6thrust23THRUST_200600_302600_NS5tupleIffNS6_9null_typeES8_S8_S8_S8_S8_S8_S8_EEEEZZNS1_27merge_sort_block_merge_implIS3_NS6_6detail15normal_iteratorINS6_10device_ptrIjEEEENSD_INSE_IS9_EEEEjNS1_19radix_merge_compareILb0ELb0EjNS0_19identity_decomposerEEEEE10hipError_tT0_T1_T2_jT3_P12ihipStream_tbPNSt15iterator_traitsISN_E10value_typeEPNST_ISO_E10value_typeEPSP_NS1_7vsmem_tEENKUlT_SN_SO_SP_E_clISG_PjSI_PS9_EESM_S12_SN_SO_SP_EUlS12_E_NS1_11comp_targetILNS1_3genE10ELNS1_11target_archE1201ELNS1_3gpuE5ELNS1_3repE0EEENS1_48merge_mergepath_partition_config_static_selectorELNS0_4arch9wavefront6targetE0EEEvSO_: ; @_ZN7rocprim17ROCPRIM_400000_NS6detail17trampoline_kernelINS0_14default_configENS1_38merge_sort_block_merge_config_selectorIjN6thrust23THRUST_200600_302600_NS5tupleIffNS6_9null_typeES8_S8_S8_S8_S8_S8_S8_EEEEZZNS1_27merge_sort_block_merge_implIS3_NS6_6detail15normal_iteratorINS6_10device_ptrIjEEEENSD_INSE_IS9_EEEEjNS1_19radix_merge_compareILb0ELb0EjNS0_19identity_decomposerEEEEE10hipError_tT0_T1_T2_jT3_P12ihipStream_tbPNSt15iterator_traitsISN_E10value_typeEPNST_ISO_E10value_typeEPSP_NS1_7vsmem_tEENKUlT_SN_SO_SP_E_clISG_PjSI_PS9_EESM_S12_SN_SO_SP_EUlS12_E_NS1_11comp_targetILNS1_3genE10ELNS1_11target_archE1201ELNS1_3gpuE5ELNS1_3repE0EEENS1_48merge_mergepath_partition_config_static_selectorELNS0_4arch9wavefront6targetE0EEEvSO_
; %bb.0:
	.section	.rodata,"a",@progbits
	.p2align	6, 0x0
	.amdhsa_kernel _ZN7rocprim17ROCPRIM_400000_NS6detail17trampoline_kernelINS0_14default_configENS1_38merge_sort_block_merge_config_selectorIjN6thrust23THRUST_200600_302600_NS5tupleIffNS6_9null_typeES8_S8_S8_S8_S8_S8_S8_EEEEZZNS1_27merge_sort_block_merge_implIS3_NS6_6detail15normal_iteratorINS6_10device_ptrIjEEEENSD_INSE_IS9_EEEEjNS1_19radix_merge_compareILb0ELb0EjNS0_19identity_decomposerEEEEE10hipError_tT0_T1_T2_jT3_P12ihipStream_tbPNSt15iterator_traitsISN_E10value_typeEPNST_ISO_E10value_typeEPSP_NS1_7vsmem_tEENKUlT_SN_SO_SP_E_clISG_PjSI_PS9_EESM_S12_SN_SO_SP_EUlS12_E_NS1_11comp_targetILNS1_3genE10ELNS1_11target_archE1201ELNS1_3gpuE5ELNS1_3repE0EEENS1_48merge_mergepath_partition_config_static_selectorELNS0_4arch9wavefront6targetE0EEEvSO_
		.amdhsa_group_segment_fixed_size 0
		.amdhsa_private_segment_fixed_size 0
		.amdhsa_kernarg_size 40
		.amdhsa_user_sgpr_count 2
		.amdhsa_user_sgpr_dispatch_ptr 0
		.amdhsa_user_sgpr_queue_ptr 0
		.amdhsa_user_sgpr_kernarg_segment_ptr 1
		.amdhsa_user_sgpr_dispatch_id 0
		.amdhsa_user_sgpr_kernarg_preload_length 0
		.amdhsa_user_sgpr_kernarg_preload_offset 0
		.amdhsa_user_sgpr_private_segment_size 0
		.amdhsa_wavefront_size32 1
		.amdhsa_uses_dynamic_stack 0
		.amdhsa_enable_private_segment 0
		.amdhsa_system_sgpr_workgroup_id_x 1
		.amdhsa_system_sgpr_workgroup_id_y 0
		.amdhsa_system_sgpr_workgroup_id_z 0
		.amdhsa_system_sgpr_workgroup_info 0
		.amdhsa_system_vgpr_workitem_id 0
		.amdhsa_next_free_vgpr 1
		.amdhsa_next_free_sgpr 1
		.amdhsa_named_barrier_count 0
		.amdhsa_reserve_vcc 0
		.amdhsa_float_round_mode_32 0
		.amdhsa_float_round_mode_16_64 0
		.amdhsa_float_denorm_mode_32 3
		.amdhsa_float_denorm_mode_16_64 3
		.amdhsa_fp16_overflow 0
		.amdhsa_memory_ordered 1
		.amdhsa_forward_progress 1
		.amdhsa_inst_pref_size 0
		.amdhsa_round_robin_scheduling 0
		.amdhsa_exception_fp_ieee_invalid_op 0
		.amdhsa_exception_fp_denorm_src 0
		.amdhsa_exception_fp_ieee_div_zero 0
		.amdhsa_exception_fp_ieee_overflow 0
		.amdhsa_exception_fp_ieee_underflow 0
		.amdhsa_exception_fp_ieee_inexact 0
		.amdhsa_exception_int_div_zero 0
	.end_amdhsa_kernel
	.section	.text._ZN7rocprim17ROCPRIM_400000_NS6detail17trampoline_kernelINS0_14default_configENS1_38merge_sort_block_merge_config_selectorIjN6thrust23THRUST_200600_302600_NS5tupleIffNS6_9null_typeES8_S8_S8_S8_S8_S8_S8_EEEEZZNS1_27merge_sort_block_merge_implIS3_NS6_6detail15normal_iteratorINS6_10device_ptrIjEEEENSD_INSE_IS9_EEEEjNS1_19radix_merge_compareILb0ELb0EjNS0_19identity_decomposerEEEEE10hipError_tT0_T1_T2_jT3_P12ihipStream_tbPNSt15iterator_traitsISN_E10value_typeEPNST_ISO_E10value_typeEPSP_NS1_7vsmem_tEENKUlT_SN_SO_SP_E_clISG_PjSI_PS9_EESM_S12_SN_SO_SP_EUlS12_E_NS1_11comp_targetILNS1_3genE10ELNS1_11target_archE1201ELNS1_3gpuE5ELNS1_3repE0EEENS1_48merge_mergepath_partition_config_static_selectorELNS0_4arch9wavefront6targetE0EEEvSO_,"axG",@progbits,_ZN7rocprim17ROCPRIM_400000_NS6detail17trampoline_kernelINS0_14default_configENS1_38merge_sort_block_merge_config_selectorIjN6thrust23THRUST_200600_302600_NS5tupleIffNS6_9null_typeES8_S8_S8_S8_S8_S8_S8_EEEEZZNS1_27merge_sort_block_merge_implIS3_NS6_6detail15normal_iteratorINS6_10device_ptrIjEEEENSD_INSE_IS9_EEEEjNS1_19radix_merge_compareILb0ELb0EjNS0_19identity_decomposerEEEEE10hipError_tT0_T1_T2_jT3_P12ihipStream_tbPNSt15iterator_traitsISN_E10value_typeEPNST_ISO_E10value_typeEPSP_NS1_7vsmem_tEENKUlT_SN_SO_SP_E_clISG_PjSI_PS9_EESM_S12_SN_SO_SP_EUlS12_E_NS1_11comp_targetILNS1_3genE10ELNS1_11target_archE1201ELNS1_3gpuE5ELNS1_3repE0EEENS1_48merge_mergepath_partition_config_static_selectorELNS0_4arch9wavefront6targetE0EEEvSO_,comdat
.Lfunc_end50:
	.size	_ZN7rocprim17ROCPRIM_400000_NS6detail17trampoline_kernelINS0_14default_configENS1_38merge_sort_block_merge_config_selectorIjN6thrust23THRUST_200600_302600_NS5tupleIffNS6_9null_typeES8_S8_S8_S8_S8_S8_S8_EEEEZZNS1_27merge_sort_block_merge_implIS3_NS6_6detail15normal_iteratorINS6_10device_ptrIjEEEENSD_INSE_IS9_EEEEjNS1_19radix_merge_compareILb0ELb0EjNS0_19identity_decomposerEEEEE10hipError_tT0_T1_T2_jT3_P12ihipStream_tbPNSt15iterator_traitsISN_E10value_typeEPNST_ISO_E10value_typeEPSP_NS1_7vsmem_tEENKUlT_SN_SO_SP_E_clISG_PjSI_PS9_EESM_S12_SN_SO_SP_EUlS12_E_NS1_11comp_targetILNS1_3genE10ELNS1_11target_archE1201ELNS1_3gpuE5ELNS1_3repE0EEENS1_48merge_mergepath_partition_config_static_selectorELNS0_4arch9wavefront6targetE0EEEvSO_, .Lfunc_end50-_ZN7rocprim17ROCPRIM_400000_NS6detail17trampoline_kernelINS0_14default_configENS1_38merge_sort_block_merge_config_selectorIjN6thrust23THRUST_200600_302600_NS5tupleIffNS6_9null_typeES8_S8_S8_S8_S8_S8_S8_EEEEZZNS1_27merge_sort_block_merge_implIS3_NS6_6detail15normal_iteratorINS6_10device_ptrIjEEEENSD_INSE_IS9_EEEEjNS1_19radix_merge_compareILb0ELb0EjNS0_19identity_decomposerEEEEE10hipError_tT0_T1_T2_jT3_P12ihipStream_tbPNSt15iterator_traitsISN_E10value_typeEPNST_ISO_E10value_typeEPSP_NS1_7vsmem_tEENKUlT_SN_SO_SP_E_clISG_PjSI_PS9_EESM_S12_SN_SO_SP_EUlS12_E_NS1_11comp_targetILNS1_3genE10ELNS1_11target_archE1201ELNS1_3gpuE5ELNS1_3repE0EEENS1_48merge_mergepath_partition_config_static_selectorELNS0_4arch9wavefront6targetE0EEEvSO_
                                        ; -- End function
	.set _ZN7rocprim17ROCPRIM_400000_NS6detail17trampoline_kernelINS0_14default_configENS1_38merge_sort_block_merge_config_selectorIjN6thrust23THRUST_200600_302600_NS5tupleIffNS6_9null_typeES8_S8_S8_S8_S8_S8_S8_EEEEZZNS1_27merge_sort_block_merge_implIS3_NS6_6detail15normal_iteratorINS6_10device_ptrIjEEEENSD_INSE_IS9_EEEEjNS1_19radix_merge_compareILb0ELb0EjNS0_19identity_decomposerEEEEE10hipError_tT0_T1_T2_jT3_P12ihipStream_tbPNSt15iterator_traitsISN_E10value_typeEPNST_ISO_E10value_typeEPSP_NS1_7vsmem_tEENKUlT_SN_SO_SP_E_clISG_PjSI_PS9_EESM_S12_SN_SO_SP_EUlS12_E_NS1_11comp_targetILNS1_3genE10ELNS1_11target_archE1201ELNS1_3gpuE5ELNS1_3repE0EEENS1_48merge_mergepath_partition_config_static_selectorELNS0_4arch9wavefront6targetE0EEEvSO_.num_vgpr, 0
	.set _ZN7rocprim17ROCPRIM_400000_NS6detail17trampoline_kernelINS0_14default_configENS1_38merge_sort_block_merge_config_selectorIjN6thrust23THRUST_200600_302600_NS5tupleIffNS6_9null_typeES8_S8_S8_S8_S8_S8_S8_EEEEZZNS1_27merge_sort_block_merge_implIS3_NS6_6detail15normal_iteratorINS6_10device_ptrIjEEEENSD_INSE_IS9_EEEEjNS1_19radix_merge_compareILb0ELb0EjNS0_19identity_decomposerEEEEE10hipError_tT0_T1_T2_jT3_P12ihipStream_tbPNSt15iterator_traitsISN_E10value_typeEPNST_ISO_E10value_typeEPSP_NS1_7vsmem_tEENKUlT_SN_SO_SP_E_clISG_PjSI_PS9_EESM_S12_SN_SO_SP_EUlS12_E_NS1_11comp_targetILNS1_3genE10ELNS1_11target_archE1201ELNS1_3gpuE5ELNS1_3repE0EEENS1_48merge_mergepath_partition_config_static_selectorELNS0_4arch9wavefront6targetE0EEEvSO_.num_agpr, 0
	.set _ZN7rocprim17ROCPRIM_400000_NS6detail17trampoline_kernelINS0_14default_configENS1_38merge_sort_block_merge_config_selectorIjN6thrust23THRUST_200600_302600_NS5tupleIffNS6_9null_typeES8_S8_S8_S8_S8_S8_S8_EEEEZZNS1_27merge_sort_block_merge_implIS3_NS6_6detail15normal_iteratorINS6_10device_ptrIjEEEENSD_INSE_IS9_EEEEjNS1_19radix_merge_compareILb0ELb0EjNS0_19identity_decomposerEEEEE10hipError_tT0_T1_T2_jT3_P12ihipStream_tbPNSt15iterator_traitsISN_E10value_typeEPNST_ISO_E10value_typeEPSP_NS1_7vsmem_tEENKUlT_SN_SO_SP_E_clISG_PjSI_PS9_EESM_S12_SN_SO_SP_EUlS12_E_NS1_11comp_targetILNS1_3genE10ELNS1_11target_archE1201ELNS1_3gpuE5ELNS1_3repE0EEENS1_48merge_mergepath_partition_config_static_selectorELNS0_4arch9wavefront6targetE0EEEvSO_.numbered_sgpr, 0
	.set _ZN7rocprim17ROCPRIM_400000_NS6detail17trampoline_kernelINS0_14default_configENS1_38merge_sort_block_merge_config_selectorIjN6thrust23THRUST_200600_302600_NS5tupleIffNS6_9null_typeES8_S8_S8_S8_S8_S8_S8_EEEEZZNS1_27merge_sort_block_merge_implIS3_NS6_6detail15normal_iteratorINS6_10device_ptrIjEEEENSD_INSE_IS9_EEEEjNS1_19radix_merge_compareILb0ELb0EjNS0_19identity_decomposerEEEEE10hipError_tT0_T1_T2_jT3_P12ihipStream_tbPNSt15iterator_traitsISN_E10value_typeEPNST_ISO_E10value_typeEPSP_NS1_7vsmem_tEENKUlT_SN_SO_SP_E_clISG_PjSI_PS9_EESM_S12_SN_SO_SP_EUlS12_E_NS1_11comp_targetILNS1_3genE10ELNS1_11target_archE1201ELNS1_3gpuE5ELNS1_3repE0EEENS1_48merge_mergepath_partition_config_static_selectorELNS0_4arch9wavefront6targetE0EEEvSO_.num_named_barrier, 0
	.set _ZN7rocprim17ROCPRIM_400000_NS6detail17trampoline_kernelINS0_14default_configENS1_38merge_sort_block_merge_config_selectorIjN6thrust23THRUST_200600_302600_NS5tupleIffNS6_9null_typeES8_S8_S8_S8_S8_S8_S8_EEEEZZNS1_27merge_sort_block_merge_implIS3_NS6_6detail15normal_iteratorINS6_10device_ptrIjEEEENSD_INSE_IS9_EEEEjNS1_19radix_merge_compareILb0ELb0EjNS0_19identity_decomposerEEEEE10hipError_tT0_T1_T2_jT3_P12ihipStream_tbPNSt15iterator_traitsISN_E10value_typeEPNST_ISO_E10value_typeEPSP_NS1_7vsmem_tEENKUlT_SN_SO_SP_E_clISG_PjSI_PS9_EESM_S12_SN_SO_SP_EUlS12_E_NS1_11comp_targetILNS1_3genE10ELNS1_11target_archE1201ELNS1_3gpuE5ELNS1_3repE0EEENS1_48merge_mergepath_partition_config_static_selectorELNS0_4arch9wavefront6targetE0EEEvSO_.private_seg_size, 0
	.set _ZN7rocprim17ROCPRIM_400000_NS6detail17trampoline_kernelINS0_14default_configENS1_38merge_sort_block_merge_config_selectorIjN6thrust23THRUST_200600_302600_NS5tupleIffNS6_9null_typeES8_S8_S8_S8_S8_S8_S8_EEEEZZNS1_27merge_sort_block_merge_implIS3_NS6_6detail15normal_iteratorINS6_10device_ptrIjEEEENSD_INSE_IS9_EEEEjNS1_19radix_merge_compareILb0ELb0EjNS0_19identity_decomposerEEEEE10hipError_tT0_T1_T2_jT3_P12ihipStream_tbPNSt15iterator_traitsISN_E10value_typeEPNST_ISO_E10value_typeEPSP_NS1_7vsmem_tEENKUlT_SN_SO_SP_E_clISG_PjSI_PS9_EESM_S12_SN_SO_SP_EUlS12_E_NS1_11comp_targetILNS1_3genE10ELNS1_11target_archE1201ELNS1_3gpuE5ELNS1_3repE0EEENS1_48merge_mergepath_partition_config_static_selectorELNS0_4arch9wavefront6targetE0EEEvSO_.uses_vcc, 0
	.set _ZN7rocprim17ROCPRIM_400000_NS6detail17trampoline_kernelINS0_14default_configENS1_38merge_sort_block_merge_config_selectorIjN6thrust23THRUST_200600_302600_NS5tupleIffNS6_9null_typeES8_S8_S8_S8_S8_S8_S8_EEEEZZNS1_27merge_sort_block_merge_implIS3_NS6_6detail15normal_iteratorINS6_10device_ptrIjEEEENSD_INSE_IS9_EEEEjNS1_19radix_merge_compareILb0ELb0EjNS0_19identity_decomposerEEEEE10hipError_tT0_T1_T2_jT3_P12ihipStream_tbPNSt15iterator_traitsISN_E10value_typeEPNST_ISO_E10value_typeEPSP_NS1_7vsmem_tEENKUlT_SN_SO_SP_E_clISG_PjSI_PS9_EESM_S12_SN_SO_SP_EUlS12_E_NS1_11comp_targetILNS1_3genE10ELNS1_11target_archE1201ELNS1_3gpuE5ELNS1_3repE0EEENS1_48merge_mergepath_partition_config_static_selectorELNS0_4arch9wavefront6targetE0EEEvSO_.uses_flat_scratch, 0
	.set _ZN7rocprim17ROCPRIM_400000_NS6detail17trampoline_kernelINS0_14default_configENS1_38merge_sort_block_merge_config_selectorIjN6thrust23THRUST_200600_302600_NS5tupleIffNS6_9null_typeES8_S8_S8_S8_S8_S8_S8_EEEEZZNS1_27merge_sort_block_merge_implIS3_NS6_6detail15normal_iteratorINS6_10device_ptrIjEEEENSD_INSE_IS9_EEEEjNS1_19radix_merge_compareILb0ELb0EjNS0_19identity_decomposerEEEEE10hipError_tT0_T1_T2_jT3_P12ihipStream_tbPNSt15iterator_traitsISN_E10value_typeEPNST_ISO_E10value_typeEPSP_NS1_7vsmem_tEENKUlT_SN_SO_SP_E_clISG_PjSI_PS9_EESM_S12_SN_SO_SP_EUlS12_E_NS1_11comp_targetILNS1_3genE10ELNS1_11target_archE1201ELNS1_3gpuE5ELNS1_3repE0EEENS1_48merge_mergepath_partition_config_static_selectorELNS0_4arch9wavefront6targetE0EEEvSO_.has_dyn_sized_stack, 0
	.set _ZN7rocprim17ROCPRIM_400000_NS6detail17trampoline_kernelINS0_14default_configENS1_38merge_sort_block_merge_config_selectorIjN6thrust23THRUST_200600_302600_NS5tupleIffNS6_9null_typeES8_S8_S8_S8_S8_S8_S8_EEEEZZNS1_27merge_sort_block_merge_implIS3_NS6_6detail15normal_iteratorINS6_10device_ptrIjEEEENSD_INSE_IS9_EEEEjNS1_19radix_merge_compareILb0ELb0EjNS0_19identity_decomposerEEEEE10hipError_tT0_T1_T2_jT3_P12ihipStream_tbPNSt15iterator_traitsISN_E10value_typeEPNST_ISO_E10value_typeEPSP_NS1_7vsmem_tEENKUlT_SN_SO_SP_E_clISG_PjSI_PS9_EESM_S12_SN_SO_SP_EUlS12_E_NS1_11comp_targetILNS1_3genE10ELNS1_11target_archE1201ELNS1_3gpuE5ELNS1_3repE0EEENS1_48merge_mergepath_partition_config_static_selectorELNS0_4arch9wavefront6targetE0EEEvSO_.has_recursion, 0
	.set _ZN7rocprim17ROCPRIM_400000_NS6detail17trampoline_kernelINS0_14default_configENS1_38merge_sort_block_merge_config_selectorIjN6thrust23THRUST_200600_302600_NS5tupleIffNS6_9null_typeES8_S8_S8_S8_S8_S8_S8_EEEEZZNS1_27merge_sort_block_merge_implIS3_NS6_6detail15normal_iteratorINS6_10device_ptrIjEEEENSD_INSE_IS9_EEEEjNS1_19radix_merge_compareILb0ELb0EjNS0_19identity_decomposerEEEEE10hipError_tT0_T1_T2_jT3_P12ihipStream_tbPNSt15iterator_traitsISN_E10value_typeEPNST_ISO_E10value_typeEPSP_NS1_7vsmem_tEENKUlT_SN_SO_SP_E_clISG_PjSI_PS9_EESM_S12_SN_SO_SP_EUlS12_E_NS1_11comp_targetILNS1_3genE10ELNS1_11target_archE1201ELNS1_3gpuE5ELNS1_3repE0EEENS1_48merge_mergepath_partition_config_static_selectorELNS0_4arch9wavefront6targetE0EEEvSO_.has_indirect_call, 0
	.section	.AMDGPU.csdata,"",@progbits
; Kernel info:
; codeLenInByte = 0
; TotalNumSgprs: 0
; NumVgprs: 0
; ScratchSize: 0
; MemoryBound: 0
; FloatMode: 240
; IeeeMode: 1
; LDSByteSize: 0 bytes/workgroup (compile time only)
; SGPRBlocks: 0
; VGPRBlocks: 0
; NumSGPRsForWavesPerEU: 1
; NumVGPRsForWavesPerEU: 1
; NamedBarCnt: 0
; Occupancy: 16
; WaveLimiterHint : 0
; COMPUTE_PGM_RSRC2:SCRATCH_EN: 0
; COMPUTE_PGM_RSRC2:USER_SGPR: 2
; COMPUTE_PGM_RSRC2:TRAP_HANDLER: 0
; COMPUTE_PGM_RSRC2:TGID_X_EN: 1
; COMPUTE_PGM_RSRC2:TGID_Y_EN: 0
; COMPUTE_PGM_RSRC2:TGID_Z_EN: 0
; COMPUTE_PGM_RSRC2:TIDIG_COMP_CNT: 0
	.section	.text._ZN7rocprim17ROCPRIM_400000_NS6detail17trampoline_kernelINS0_14default_configENS1_38merge_sort_block_merge_config_selectorIjN6thrust23THRUST_200600_302600_NS5tupleIffNS6_9null_typeES8_S8_S8_S8_S8_S8_S8_EEEEZZNS1_27merge_sort_block_merge_implIS3_NS6_6detail15normal_iteratorINS6_10device_ptrIjEEEENSD_INSE_IS9_EEEEjNS1_19radix_merge_compareILb0ELb0EjNS0_19identity_decomposerEEEEE10hipError_tT0_T1_T2_jT3_P12ihipStream_tbPNSt15iterator_traitsISN_E10value_typeEPNST_ISO_E10value_typeEPSP_NS1_7vsmem_tEENKUlT_SN_SO_SP_E_clISG_PjSI_PS9_EESM_S12_SN_SO_SP_EUlS12_E_NS1_11comp_targetILNS1_3genE5ELNS1_11target_archE942ELNS1_3gpuE9ELNS1_3repE0EEENS1_48merge_mergepath_partition_config_static_selectorELNS0_4arch9wavefront6targetE0EEEvSO_,"axG",@progbits,_ZN7rocprim17ROCPRIM_400000_NS6detail17trampoline_kernelINS0_14default_configENS1_38merge_sort_block_merge_config_selectorIjN6thrust23THRUST_200600_302600_NS5tupleIffNS6_9null_typeES8_S8_S8_S8_S8_S8_S8_EEEEZZNS1_27merge_sort_block_merge_implIS3_NS6_6detail15normal_iteratorINS6_10device_ptrIjEEEENSD_INSE_IS9_EEEEjNS1_19radix_merge_compareILb0ELb0EjNS0_19identity_decomposerEEEEE10hipError_tT0_T1_T2_jT3_P12ihipStream_tbPNSt15iterator_traitsISN_E10value_typeEPNST_ISO_E10value_typeEPSP_NS1_7vsmem_tEENKUlT_SN_SO_SP_E_clISG_PjSI_PS9_EESM_S12_SN_SO_SP_EUlS12_E_NS1_11comp_targetILNS1_3genE5ELNS1_11target_archE942ELNS1_3gpuE9ELNS1_3repE0EEENS1_48merge_mergepath_partition_config_static_selectorELNS0_4arch9wavefront6targetE0EEEvSO_,comdat
	.protected	_ZN7rocprim17ROCPRIM_400000_NS6detail17trampoline_kernelINS0_14default_configENS1_38merge_sort_block_merge_config_selectorIjN6thrust23THRUST_200600_302600_NS5tupleIffNS6_9null_typeES8_S8_S8_S8_S8_S8_S8_EEEEZZNS1_27merge_sort_block_merge_implIS3_NS6_6detail15normal_iteratorINS6_10device_ptrIjEEEENSD_INSE_IS9_EEEEjNS1_19radix_merge_compareILb0ELb0EjNS0_19identity_decomposerEEEEE10hipError_tT0_T1_T2_jT3_P12ihipStream_tbPNSt15iterator_traitsISN_E10value_typeEPNST_ISO_E10value_typeEPSP_NS1_7vsmem_tEENKUlT_SN_SO_SP_E_clISG_PjSI_PS9_EESM_S12_SN_SO_SP_EUlS12_E_NS1_11comp_targetILNS1_3genE5ELNS1_11target_archE942ELNS1_3gpuE9ELNS1_3repE0EEENS1_48merge_mergepath_partition_config_static_selectorELNS0_4arch9wavefront6targetE0EEEvSO_ ; -- Begin function _ZN7rocprim17ROCPRIM_400000_NS6detail17trampoline_kernelINS0_14default_configENS1_38merge_sort_block_merge_config_selectorIjN6thrust23THRUST_200600_302600_NS5tupleIffNS6_9null_typeES8_S8_S8_S8_S8_S8_S8_EEEEZZNS1_27merge_sort_block_merge_implIS3_NS6_6detail15normal_iteratorINS6_10device_ptrIjEEEENSD_INSE_IS9_EEEEjNS1_19radix_merge_compareILb0ELb0EjNS0_19identity_decomposerEEEEE10hipError_tT0_T1_T2_jT3_P12ihipStream_tbPNSt15iterator_traitsISN_E10value_typeEPNST_ISO_E10value_typeEPSP_NS1_7vsmem_tEENKUlT_SN_SO_SP_E_clISG_PjSI_PS9_EESM_S12_SN_SO_SP_EUlS12_E_NS1_11comp_targetILNS1_3genE5ELNS1_11target_archE942ELNS1_3gpuE9ELNS1_3repE0EEENS1_48merge_mergepath_partition_config_static_selectorELNS0_4arch9wavefront6targetE0EEEvSO_
	.globl	_ZN7rocprim17ROCPRIM_400000_NS6detail17trampoline_kernelINS0_14default_configENS1_38merge_sort_block_merge_config_selectorIjN6thrust23THRUST_200600_302600_NS5tupleIffNS6_9null_typeES8_S8_S8_S8_S8_S8_S8_EEEEZZNS1_27merge_sort_block_merge_implIS3_NS6_6detail15normal_iteratorINS6_10device_ptrIjEEEENSD_INSE_IS9_EEEEjNS1_19radix_merge_compareILb0ELb0EjNS0_19identity_decomposerEEEEE10hipError_tT0_T1_T2_jT3_P12ihipStream_tbPNSt15iterator_traitsISN_E10value_typeEPNST_ISO_E10value_typeEPSP_NS1_7vsmem_tEENKUlT_SN_SO_SP_E_clISG_PjSI_PS9_EESM_S12_SN_SO_SP_EUlS12_E_NS1_11comp_targetILNS1_3genE5ELNS1_11target_archE942ELNS1_3gpuE9ELNS1_3repE0EEENS1_48merge_mergepath_partition_config_static_selectorELNS0_4arch9wavefront6targetE0EEEvSO_
	.p2align	8
	.type	_ZN7rocprim17ROCPRIM_400000_NS6detail17trampoline_kernelINS0_14default_configENS1_38merge_sort_block_merge_config_selectorIjN6thrust23THRUST_200600_302600_NS5tupleIffNS6_9null_typeES8_S8_S8_S8_S8_S8_S8_EEEEZZNS1_27merge_sort_block_merge_implIS3_NS6_6detail15normal_iteratorINS6_10device_ptrIjEEEENSD_INSE_IS9_EEEEjNS1_19radix_merge_compareILb0ELb0EjNS0_19identity_decomposerEEEEE10hipError_tT0_T1_T2_jT3_P12ihipStream_tbPNSt15iterator_traitsISN_E10value_typeEPNST_ISO_E10value_typeEPSP_NS1_7vsmem_tEENKUlT_SN_SO_SP_E_clISG_PjSI_PS9_EESM_S12_SN_SO_SP_EUlS12_E_NS1_11comp_targetILNS1_3genE5ELNS1_11target_archE942ELNS1_3gpuE9ELNS1_3repE0EEENS1_48merge_mergepath_partition_config_static_selectorELNS0_4arch9wavefront6targetE0EEEvSO_,@function
_ZN7rocprim17ROCPRIM_400000_NS6detail17trampoline_kernelINS0_14default_configENS1_38merge_sort_block_merge_config_selectorIjN6thrust23THRUST_200600_302600_NS5tupleIffNS6_9null_typeES8_S8_S8_S8_S8_S8_S8_EEEEZZNS1_27merge_sort_block_merge_implIS3_NS6_6detail15normal_iteratorINS6_10device_ptrIjEEEENSD_INSE_IS9_EEEEjNS1_19radix_merge_compareILb0ELb0EjNS0_19identity_decomposerEEEEE10hipError_tT0_T1_T2_jT3_P12ihipStream_tbPNSt15iterator_traitsISN_E10value_typeEPNST_ISO_E10value_typeEPSP_NS1_7vsmem_tEENKUlT_SN_SO_SP_E_clISG_PjSI_PS9_EESM_S12_SN_SO_SP_EUlS12_E_NS1_11comp_targetILNS1_3genE5ELNS1_11target_archE942ELNS1_3gpuE9ELNS1_3repE0EEENS1_48merge_mergepath_partition_config_static_selectorELNS0_4arch9wavefront6targetE0EEEvSO_: ; @_ZN7rocprim17ROCPRIM_400000_NS6detail17trampoline_kernelINS0_14default_configENS1_38merge_sort_block_merge_config_selectorIjN6thrust23THRUST_200600_302600_NS5tupleIffNS6_9null_typeES8_S8_S8_S8_S8_S8_S8_EEEEZZNS1_27merge_sort_block_merge_implIS3_NS6_6detail15normal_iteratorINS6_10device_ptrIjEEEENSD_INSE_IS9_EEEEjNS1_19radix_merge_compareILb0ELb0EjNS0_19identity_decomposerEEEEE10hipError_tT0_T1_T2_jT3_P12ihipStream_tbPNSt15iterator_traitsISN_E10value_typeEPNST_ISO_E10value_typeEPSP_NS1_7vsmem_tEENKUlT_SN_SO_SP_E_clISG_PjSI_PS9_EESM_S12_SN_SO_SP_EUlS12_E_NS1_11comp_targetILNS1_3genE5ELNS1_11target_archE942ELNS1_3gpuE9ELNS1_3repE0EEENS1_48merge_mergepath_partition_config_static_selectorELNS0_4arch9wavefront6targetE0EEEvSO_
; %bb.0:
	.section	.rodata,"a",@progbits
	.p2align	6, 0x0
	.amdhsa_kernel _ZN7rocprim17ROCPRIM_400000_NS6detail17trampoline_kernelINS0_14default_configENS1_38merge_sort_block_merge_config_selectorIjN6thrust23THRUST_200600_302600_NS5tupleIffNS6_9null_typeES8_S8_S8_S8_S8_S8_S8_EEEEZZNS1_27merge_sort_block_merge_implIS3_NS6_6detail15normal_iteratorINS6_10device_ptrIjEEEENSD_INSE_IS9_EEEEjNS1_19radix_merge_compareILb0ELb0EjNS0_19identity_decomposerEEEEE10hipError_tT0_T1_T2_jT3_P12ihipStream_tbPNSt15iterator_traitsISN_E10value_typeEPNST_ISO_E10value_typeEPSP_NS1_7vsmem_tEENKUlT_SN_SO_SP_E_clISG_PjSI_PS9_EESM_S12_SN_SO_SP_EUlS12_E_NS1_11comp_targetILNS1_3genE5ELNS1_11target_archE942ELNS1_3gpuE9ELNS1_3repE0EEENS1_48merge_mergepath_partition_config_static_selectorELNS0_4arch9wavefront6targetE0EEEvSO_
		.amdhsa_group_segment_fixed_size 0
		.amdhsa_private_segment_fixed_size 0
		.amdhsa_kernarg_size 40
		.amdhsa_user_sgpr_count 2
		.amdhsa_user_sgpr_dispatch_ptr 0
		.amdhsa_user_sgpr_queue_ptr 0
		.amdhsa_user_sgpr_kernarg_segment_ptr 1
		.amdhsa_user_sgpr_dispatch_id 0
		.amdhsa_user_sgpr_kernarg_preload_length 0
		.amdhsa_user_sgpr_kernarg_preload_offset 0
		.amdhsa_user_sgpr_private_segment_size 0
		.amdhsa_wavefront_size32 1
		.amdhsa_uses_dynamic_stack 0
		.amdhsa_enable_private_segment 0
		.amdhsa_system_sgpr_workgroup_id_x 1
		.amdhsa_system_sgpr_workgroup_id_y 0
		.amdhsa_system_sgpr_workgroup_id_z 0
		.amdhsa_system_sgpr_workgroup_info 0
		.amdhsa_system_vgpr_workitem_id 0
		.amdhsa_next_free_vgpr 1
		.amdhsa_next_free_sgpr 1
		.amdhsa_named_barrier_count 0
		.amdhsa_reserve_vcc 0
		.amdhsa_float_round_mode_32 0
		.amdhsa_float_round_mode_16_64 0
		.amdhsa_float_denorm_mode_32 3
		.amdhsa_float_denorm_mode_16_64 3
		.amdhsa_fp16_overflow 0
		.amdhsa_memory_ordered 1
		.amdhsa_forward_progress 1
		.amdhsa_inst_pref_size 0
		.amdhsa_round_robin_scheduling 0
		.amdhsa_exception_fp_ieee_invalid_op 0
		.amdhsa_exception_fp_denorm_src 0
		.amdhsa_exception_fp_ieee_div_zero 0
		.amdhsa_exception_fp_ieee_overflow 0
		.amdhsa_exception_fp_ieee_underflow 0
		.amdhsa_exception_fp_ieee_inexact 0
		.amdhsa_exception_int_div_zero 0
	.end_amdhsa_kernel
	.section	.text._ZN7rocprim17ROCPRIM_400000_NS6detail17trampoline_kernelINS0_14default_configENS1_38merge_sort_block_merge_config_selectorIjN6thrust23THRUST_200600_302600_NS5tupleIffNS6_9null_typeES8_S8_S8_S8_S8_S8_S8_EEEEZZNS1_27merge_sort_block_merge_implIS3_NS6_6detail15normal_iteratorINS6_10device_ptrIjEEEENSD_INSE_IS9_EEEEjNS1_19radix_merge_compareILb0ELb0EjNS0_19identity_decomposerEEEEE10hipError_tT0_T1_T2_jT3_P12ihipStream_tbPNSt15iterator_traitsISN_E10value_typeEPNST_ISO_E10value_typeEPSP_NS1_7vsmem_tEENKUlT_SN_SO_SP_E_clISG_PjSI_PS9_EESM_S12_SN_SO_SP_EUlS12_E_NS1_11comp_targetILNS1_3genE5ELNS1_11target_archE942ELNS1_3gpuE9ELNS1_3repE0EEENS1_48merge_mergepath_partition_config_static_selectorELNS0_4arch9wavefront6targetE0EEEvSO_,"axG",@progbits,_ZN7rocprim17ROCPRIM_400000_NS6detail17trampoline_kernelINS0_14default_configENS1_38merge_sort_block_merge_config_selectorIjN6thrust23THRUST_200600_302600_NS5tupleIffNS6_9null_typeES8_S8_S8_S8_S8_S8_S8_EEEEZZNS1_27merge_sort_block_merge_implIS3_NS6_6detail15normal_iteratorINS6_10device_ptrIjEEEENSD_INSE_IS9_EEEEjNS1_19radix_merge_compareILb0ELb0EjNS0_19identity_decomposerEEEEE10hipError_tT0_T1_T2_jT3_P12ihipStream_tbPNSt15iterator_traitsISN_E10value_typeEPNST_ISO_E10value_typeEPSP_NS1_7vsmem_tEENKUlT_SN_SO_SP_E_clISG_PjSI_PS9_EESM_S12_SN_SO_SP_EUlS12_E_NS1_11comp_targetILNS1_3genE5ELNS1_11target_archE942ELNS1_3gpuE9ELNS1_3repE0EEENS1_48merge_mergepath_partition_config_static_selectorELNS0_4arch9wavefront6targetE0EEEvSO_,comdat
.Lfunc_end51:
	.size	_ZN7rocprim17ROCPRIM_400000_NS6detail17trampoline_kernelINS0_14default_configENS1_38merge_sort_block_merge_config_selectorIjN6thrust23THRUST_200600_302600_NS5tupleIffNS6_9null_typeES8_S8_S8_S8_S8_S8_S8_EEEEZZNS1_27merge_sort_block_merge_implIS3_NS6_6detail15normal_iteratorINS6_10device_ptrIjEEEENSD_INSE_IS9_EEEEjNS1_19radix_merge_compareILb0ELb0EjNS0_19identity_decomposerEEEEE10hipError_tT0_T1_T2_jT3_P12ihipStream_tbPNSt15iterator_traitsISN_E10value_typeEPNST_ISO_E10value_typeEPSP_NS1_7vsmem_tEENKUlT_SN_SO_SP_E_clISG_PjSI_PS9_EESM_S12_SN_SO_SP_EUlS12_E_NS1_11comp_targetILNS1_3genE5ELNS1_11target_archE942ELNS1_3gpuE9ELNS1_3repE0EEENS1_48merge_mergepath_partition_config_static_selectorELNS0_4arch9wavefront6targetE0EEEvSO_, .Lfunc_end51-_ZN7rocprim17ROCPRIM_400000_NS6detail17trampoline_kernelINS0_14default_configENS1_38merge_sort_block_merge_config_selectorIjN6thrust23THRUST_200600_302600_NS5tupleIffNS6_9null_typeES8_S8_S8_S8_S8_S8_S8_EEEEZZNS1_27merge_sort_block_merge_implIS3_NS6_6detail15normal_iteratorINS6_10device_ptrIjEEEENSD_INSE_IS9_EEEEjNS1_19radix_merge_compareILb0ELb0EjNS0_19identity_decomposerEEEEE10hipError_tT0_T1_T2_jT3_P12ihipStream_tbPNSt15iterator_traitsISN_E10value_typeEPNST_ISO_E10value_typeEPSP_NS1_7vsmem_tEENKUlT_SN_SO_SP_E_clISG_PjSI_PS9_EESM_S12_SN_SO_SP_EUlS12_E_NS1_11comp_targetILNS1_3genE5ELNS1_11target_archE942ELNS1_3gpuE9ELNS1_3repE0EEENS1_48merge_mergepath_partition_config_static_selectorELNS0_4arch9wavefront6targetE0EEEvSO_
                                        ; -- End function
	.set _ZN7rocprim17ROCPRIM_400000_NS6detail17trampoline_kernelINS0_14default_configENS1_38merge_sort_block_merge_config_selectorIjN6thrust23THRUST_200600_302600_NS5tupleIffNS6_9null_typeES8_S8_S8_S8_S8_S8_S8_EEEEZZNS1_27merge_sort_block_merge_implIS3_NS6_6detail15normal_iteratorINS6_10device_ptrIjEEEENSD_INSE_IS9_EEEEjNS1_19radix_merge_compareILb0ELb0EjNS0_19identity_decomposerEEEEE10hipError_tT0_T1_T2_jT3_P12ihipStream_tbPNSt15iterator_traitsISN_E10value_typeEPNST_ISO_E10value_typeEPSP_NS1_7vsmem_tEENKUlT_SN_SO_SP_E_clISG_PjSI_PS9_EESM_S12_SN_SO_SP_EUlS12_E_NS1_11comp_targetILNS1_3genE5ELNS1_11target_archE942ELNS1_3gpuE9ELNS1_3repE0EEENS1_48merge_mergepath_partition_config_static_selectorELNS0_4arch9wavefront6targetE0EEEvSO_.num_vgpr, 0
	.set _ZN7rocprim17ROCPRIM_400000_NS6detail17trampoline_kernelINS0_14default_configENS1_38merge_sort_block_merge_config_selectorIjN6thrust23THRUST_200600_302600_NS5tupleIffNS6_9null_typeES8_S8_S8_S8_S8_S8_S8_EEEEZZNS1_27merge_sort_block_merge_implIS3_NS6_6detail15normal_iteratorINS6_10device_ptrIjEEEENSD_INSE_IS9_EEEEjNS1_19radix_merge_compareILb0ELb0EjNS0_19identity_decomposerEEEEE10hipError_tT0_T1_T2_jT3_P12ihipStream_tbPNSt15iterator_traitsISN_E10value_typeEPNST_ISO_E10value_typeEPSP_NS1_7vsmem_tEENKUlT_SN_SO_SP_E_clISG_PjSI_PS9_EESM_S12_SN_SO_SP_EUlS12_E_NS1_11comp_targetILNS1_3genE5ELNS1_11target_archE942ELNS1_3gpuE9ELNS1_3repE0EEENS1_48merge_mergepath_partition_config_static_selectorELNS0_4arch9wavefront6targetE0EEEvSO_.num_agpr, 0
	.set _ZN7rocprim17ROCPRIM_400000_NS6detail17trampoline_kernelINS0_14default_configENS1_38merge_sort_block_merge_config_selectorIjN6thrust23THRUST_200600_302600_NS5tupleIffNS6_9null_typeES8_S8_S8_S8_S8_S8_S8_EEEEZZNS1_27merge_sort_block_merge_implIS3_NS6_6detail15normal_iteratorINS6_10device_ptrIjEEEENSD_INSE_IS9_EEEEjNS1_19radix_merge_compareILb0ELb0EjNS0_19identity_decomposerEEEEE10hipError_tT0_T1_T2_jT3_P12ihipStream_tbPNSt15iterator_traitsISN_E10value_typeEPNST_ISO_E10value_typeEPSP_NS1_7vsmem_tEENKUlT_SN_SO_SP_E_clISG_PjSI_PS9_EESM_S12_SN_SO_SP_EUlS12_E_NS1_11comp_targetILNS1_3genE5ELNS1_11target_archE942ELNS1_3gpuE9ELNS1_3repE0EEENS1_48merge_mergepath_partition_config_static_selectorELNS0_4arch9wavefront6targetE0EEEvSO_.numbered_sgpr, 0
	.set _ZN7rocprim17ROCPRIM_400000_NS6detail17trampoline_kernelINS0_14default_configENS1_38merge_sort_block_merge_config_selectorIjN6thrust23THRUST_200600_302600_NS5tupleIffNS6_9null_typeES8_S8_S8_S8_S8_S8_S8_EEEEZZNS1_27merge_sort_block_merge_implIS3_NS6_6detail15normal_iteratorINS6_10device_ptrIjEEEENSD_INSE_IS9_EEEEjNS1_19radix_merge_compareILb0ELb0EjNS0_19identity_decomposerEEEEE10hipError_tT0_T1_T2_jT3_P12ihipStream_tbPNSt15iterator_traitsISN_E10value_typeEPNST_ISO_E10value_typeEPSP_NS1_7vsmem_tEENKUlT_SN_SO_SP_E_clISG_PjSI_PS9_EESM_S12_SN_SO_SP_EUlS12_E_NS1_11comp_targetILNS1_3genE5ELNS1_11target_archE942ELNS1_3gpuE9ELNS1_3repE0EEENS1_48merge_mergepath_partition_config_static_selectorELNS0_4arch9wavefront6targetE0EEEvSO_.num_named_barrier, 0
	.set _ZN7rocprim17ROCPRIM_400000_NS6detail17trampoline_kernelINS0_14default_configENS1_38merge_sort_block_merge_config_selectorIjN6thrust23THRUST_200600_302600_NS5tupleIffNS6_9null_typeES8_S8_S8_S8_S8_S8_S8_EEEEZZNS1_27merge_sort_block_merge_implIS3_NS6_6detail15normal_iteratorINS6_10device_ptrIjEEEENSD_INSE_IS9_EEEEjNS1_19radix_merge_compareILb0ELb0EjNS0_19identity_decomposerEEEEE10hipError_tT0_T1_T2_jT3_P12ihipStream_tbPNSt15iterator_traitsISN_E10value_typeEPNST_ISO_E10value_typeEPSP_NS1_7vsmem_tEENKUlT_SN_SO_SP_E_clISG_PjSI_PS9_EESM_S12_SN_SO_SP_EUlS12_E_NS1_11comp_targetILNS1_3genE5ELNS1_11target_archE942ELNS1_3gpuE9ELNS1_3repE0EEENS1_48merge_mergepath_partition_config_static_selectorELNS0_4arch9wavefront6targetE0EEEvSO_.private_seg_size, 0
	.set _ZN7rocprim17ROCPRIM_400000_NS6detail17trampoline_kernelINS0_14default_configENS1_38merge_sort_block_merge_config_selectorIjN6thrust23THRUST_200600_302600_NS5tupleIffNS6_9null_typeES8_S8_S8_S8_S8_S8_S8_EEEEZZNS1_27merge_sort_block_merge_implIS3_NS6_6detail15normal_iteratorINS6_10device_ptrIjEEEENSD_INSE_IS9_EEEEjNS1_19radix_merge_compareILb0ELb0EjNS0_19identity_decomposerEEEEE10hipError_tT0_T1_T2_jT3_P12ihipStream_tbPNSt15iterator_traitsISN_E10value_typeEPNST_ISO_E10value_typeEPSP_NS1_7vsmem_tEENKUlT_SN_SO_SP_E_clISG_PjSI_PS9_EESM_S12_SN_SO_SP_EUlS12_E_NS1_11comp_targetILNS1_3genE5ELNS1_11target_archE942ELNS1_3gpuE9ELNS1_3repE0EEENS1_48merge_mergepath_partition_config_static_selectorELNS0_4arch9wavefront6targetE0EEEvSO_.uses_vcc, 0
	.set _ZN7rocprim17ROCPRIM_400000_NS6detail17trampoline_kernelINS0_14default_configENS1_38merge_sort_block_merge_config_selectorIjN6thrust23THRUST_200600_302600_NS5tupleIffNS6_9null_typeES8_S8_S8_S8_S8_S8_S8_EEEEZZNS1_27merge_sort_block_merge_implIS3_NS6_6detail15normal_iteratorINS6_10device_ptrIjEEEENSD_INSE_IS9_EEEEjNS1_19radix_merge_compareILb0ELb0EjNS0_19identity_decomposerEEEEE10hipError_tT0_T1_T2_jT3_P12ihipStream_tbPNSt15iterator_traitsISN_E10value_typeEPNST_ISO_E10value_typeEPSP_NS1_7vsmem_tEENKUlT_SN_SO_SP_E_clISG_PjSI_PS9_EESM_S12_SN_SO_SP_EUlS12_E_NS1_11comp_targetILNS1_3genE5ELNS1_11target_archE942ELNS1_3gpuE9ELNS1_3repE0EEENS1_48merge_mergepath_partition_config_static_selectorELNS0_4arch9wavefront6targetE0EEEvSO_.uses_flat_scratch, 0
	.set _ZN7rocprim17ROCPRIM_400000_NS6detail17trampoline_kernelINS0_14default_configENS1_38merge_sort_block_merge_config_selectorIjN6thrust23THRUST_200600_302600_NS5tupleIffNS6_9null_typeES8_S8_S8_S8_S8_S8_S8_EEEEZZNS1_27merge_sort_block_merge_implIS3_NS6_6detail15normal_iteratorINS6_10device_ptrIjEEEENSD_INSE_IS9_EEEEjNS1_19radix_merge_compareILb0ELb0EjNS0_19identity_decomposerEEEEE10hipError_tT0_T1_T2_jT3_P12ihipStream_tbPNSt15iterator_traitsISN_E10value_typeEPNST_ISO_E10value_typeEPSP_NS1_7vsmem_tEENKUlT_SN_SO_SP_E_clISG_PjSI_PS9_EESM_S12_SN_SO_SP_EUlS12_E_NS1_11comp_targetILNS1_3genE5ELNS1_11target_archE942ELNS1_3gpuE9ELNS1_3repE0EEENS1_48merge_mergepath_partition_config_static_selectorELNS0_4arch9wavefront6targetE0EEEvSO_.has_dyn_sized_stack, 0
	.set _ZN7rocprim17ROCPRIM_400000_NS6detail17trampoline_kernelINS0_14default_configENS1_38merge_sort_block_merge_config_selectorIjN6thrust23THRUST_200600_302600_NS5tupleIffNS6_9null_typeES8_S8_S8_S8_S8_S8_S8_EEEEZZNS1_27merge_sort_block_merge_implIS3_NS6_6detail15normal_iteratorINS6_10device_ptrIjEEEENSD_INSE_IS9_EEEEjNS1_19radix_merge_compareILb0ELb0EjNS0_19identity_decomposerEEEEE10hipError_tT0_T1_T2_jT3_P12ihipStream_tbPNSt15iterator_traitsISN_E10value_typeEPNST_ISO_E10value_typeEPSP_NS1_7vsmem_tEENKUlT_SN_SO_SP_E_clISG_PjSI_PS9_EESM_S12_SN_SO_SP_EUlS12_E_NS1_11comp_targetILNS1_3genE5ELNS1_11target_archE942ELNS1_3gpuE9ELNS1_3repE0EEENS1_48merge_mergepath_partition_config_static_selectorELNS0_4arch9wavefront6targetE0EEEvSO_.has_recursion, 0
	.set _ZN7rocprim17ROCPRIM_400000_NS6detail17trampoline_kernelINS0_14default_configENS1_38merge_sort_block_merge_config_selectorIjN6thrust23THRUST_200600_302600_NS5tupleIffNS6_9null_typeES8_S8_S8_S8_S8_S8_S8_EEEEZZNS1_27merge_sort_block_merge_implIS3_NS6_6detail15normal_iteratorINS6_10device_ptrIjEEEENSD_INSE_IS9_EEEEjNS1_19radix_merge_compareILb0ELb0EjNS0_19identity_decomposerEEEEE10hipError_tT0_T1_T2_jT3_P12ihipStream_tbPNSt15iterator_traitsISN_E10value_typeEPNST_ISO_E10value_typeEPSP_NS1_7vsmem_tEENKUlT_SN_SO_SP_E_clISG_PjSI_PS9_EESM_S12_SN_SO_SP_EUlS12_E_NS1_11comp_targetILNS1_3genE5ELNS1_11target_archE942ELNS1_3gpuE9ELNS1_3repE0EEENS1_48merge_mergepath_partition_config_static_selectorELNS0_4arch9wavefront6targetE0EEEvSO_.has_indirect_call, 0
	.section	.AMDGPU.csdata,"",@progbits
; Kernel info:
; codeLenInByte = 0
; TotalNumSgprs: 0
; NumVgprs: 0
; ScratchSize: 0
; MemoryBound: 0
; FloatMode: 240
; IeeeMode: 1
; LDSByteSize: 0 bytes/workgroup (compile time only)
; SGPRBlocks: 0
; VGPRBlocks: 0
; NumSGPRsForWavesPerEU: 1
; NumVGPRsForWavesPerEU: 1
; NamedBarCnt: 0
; Occupancy: 16
; WaveLimiterHint : 0
; COMPUTE_PGM_RSRC2:SCRATCH_EN: 0
; COMPUTE_PGM_RSRC2:USER_SGPR: 2
; COMPUTE_PGM_RSRC2:TRAP_HANDLER: 0
; COMPUTE_PGM_RSRC2:TGID_X_EN: 1
; COMPUTE_PGM_RSRC2:TGID_Y_EN: 0
; COMPUTE_PGM_RSRC2:TGID_Z_EN: 0
; COMPUTE_PGM_RSRC2:TIDIG_COMP_CNT: 0
	.section	.text._ZN7rocprim17ROCPRIM_400000_NS6detail17trampoline_kernelINS0_14default_configENS1_38merge_sort_block_merge_config_selectorIjN6thrust23THRUST_200600_302600_NS5tupleIffNS6_9null_typeES8_S8_S8_S8_S8_S8_S8_EEEEZZNS1_27merge_sort_block_merge_implIS3_NS6_6detail15normal_iteratorINS6_10device_ptrIjEEEENSD_INSE_IS9_EEEEjNS1_19radix_merge_compareILb0ELb0EjNS0_19identity_decomposerEEEEE10hipError_tT0_T1_T2_jT3_P12ihipStream_tbPNSt15iterator_traitsISN_E10value_typeEPNST_ISO_E10value_typeEPSP_NS1_7vsmem_tEENKUlT_SN_SO_SP_E_clISG_PjSI_PS9_EESM_S12_SN_SO_SP_EUlS12_E_NS1_11comp_targetILNS1_3genE4ELNS1_11target_archE910ELNS1_3gpuE8ELNS1_3repE0EEENS1_48merge_mergepath_partition_config_static_selectorELNS0_4arch9wavefront6targetE0EEEvSO_,"axG",@progbits,_ZN7rocprim17ROCPRIM_400000_NS6detail17trampoline_kernelINS0_14default_configENS1_38merge_sort_block_merge_config_selectorIjN6thrust23THRUST_200600_302600_NS5tupleIffNS6_9null_typeES8_S8_S8_S8_S8_S8_S8_EEEEZZNS1_27merge_sort_block_merge_implIS3_NS6_6detail15normal_iteratorINS6_10device_ptrIjEEEENSD_INSE_IS9_EEEEjNS1_19radix_merge_compareILb0ELb0EjNS0_19identity_decomposerEEEEE10hipError_tT0_T1_T2_jT3_P12ihipStream_tbPNSt15iterator_traitsISN_E10value_typeEPNST_ISO_E10value_typeEPSP_NS1_7vsmem_tEENKUlT_SN_SO_SP_E_clISG_PjSI_PS9_EESM_S12_SN_SO_SP_EUlS12_E_NS1_11comp_targetILNS1_3genE4ELNS1_11target_archE910ELNS1_3gpuE8ELNS1_3repE0EEENS1_48merge_mergepath_partition_config_static_selectorELNS0_4arch9wavefront6targetE0EEEvSO_,comdat
	.protected	_ZN7rocprim17ROCPRIM_400000_NS6detail17trampoline_kernelINS0_14default_configENS1_38merge_sort_block_merge_config_selectorIjN6thrust23THRUST_200600_302600_NS5tupleIffNS6_9null_typeES8_S8_S8_S8_S8_S8_S8_EEEEZZNS1_27merge_sort_block_merge_implIS3_NS6_6detail15normal_iteratorINS6_10device_ptrIjEEEENSD_INSE_IS9_EEEEjNS1_19radix_merge_compareILb0ELb0EjNS0_19identity_decomposerEEEEE10hipError_tT0_T1_T2_jT3_P12ihipStream_tbPNSt15iterator_traitsISN_E10value_typeEPNST_ISO_E10value_typeEPSP_NS1_7vsmem_tEENKUlT_SN_SO_SP_E_clISG_PjSI_PS9_EESM_S12_SN_SO_SP_EUlS12_E_NS1_11comp_targetILNS1_3genE4ELNS1_11target_archE910ELNS1_3gpuE8ELNS1_3repE0EEENS1_48merge_mergepath_partition_config_static_selectorELNS0_4arch9wavefront6targetE0EEEvSO_ ; -- Begin function _ZN7rocprim17ROCPRIM_400000_NS6detail17trampoline_kernelINS0_14default_configENS1_38merge_sort_block_merge_config_selectorIjN6thrust23THRUST_200600_302600_NS5tupleIffNS6_9null_typeES8_S8_S8_S8_S8_S8_S8_EEEEZZNS1_27merge_sort_block_merge_implIS3_NS6_6detail15normal_iteratorINS6_10device_ptrIjEEEENSD_INSE_IS9_EEEEjNS1_19radix_merge_compareILb0ELb0EjNS0_19identity_decomposerEEEEE10hipError_tT0_T1_T2_jT3_P12ihipStream_tbPNSt15iterator_traitsISN_E10value_typeEPNST_ISO_E10value_typeEPSP_NS1_7vsmem_tEENKUlT_SN_SO_SP_E_clISG_PjSI_PS9_EESM_S12_SN_SO_SP_EUlS12_E_NS1_11comp_targetILNS1_3genE4ELNS1_11target_archE910ELNS1_3gpuE8ELNS1_3repE0EEENS1_48merge_mergepath_partition_config_static_selectorELNS0_4arch9wavefront6targetE0EEEvSO_
	.globl	_ZN7rocprim17ROCPRIM_400000_NS6detail17trampoline_kernelINS0_14default_configENS1_38merge_sort_block_merge_config_selectorIjN6thrust23THRUST_200600_302600_NS5tupleIffNS6_9null_typeES8_S8_S8_S8_S8_S8_S8_EEEEZZNS1_27merge_sort_block_merge_implIS3_NS6_6detail15normal_iteratorINS6_10device_ptrIjEEEENSD_INSE_IS9_EEEEjNS1_19radix_merge_compareILb0ELb0EjNS0_19identity_decomposerEEEEE10hipError_tT0_T1_T2_jT3_P12ihipStream_tbPNSt15iterator_traitsISN_E10value_typeEPNST_ISO_E10value_typeEPSP_NS1_7vsmem_tEENKUlT_SN_SO_SP_E_clISG_PjSI_PS9_EESM_S12_SN_SO_SP_EUlS12_E_NS1_11comp_targetILNS1_3genE4ELNS1_11target_archE910ELNS1_3gpuE8ELNS1_3repE0EEENS1_48merge_mergepath_partition_config_static_selectorELNS0_4arch9wavefront6targetE0EEEvSO_
	.p2align	8
	.type	_ZN7rocprim17ROCPRIM_400000_NS6detail17trampoline_kernelINS0_14default_configENS1_38merge_sort_block_merge_config_selectorIjN6thrust23THRUST_200600_302600_NS5tupleIffNS6_9null_typeES8_S8_S8_S8_S8_S8_S8_EEEEZZNS1_27merge_sort_block_merge_implIS3_NS6_6detail15normal_iteratorINS6_10device_ptrIjEEEENSD_INSE_IS9_EEEEjNS1_19radix_merge_compareILb0ELb0EjNS0_19identity_decomposerEEEEE10hipError_tT0_T1_T2_jT3_P12ihipStream_tbPNSt15iterator_traitsISN_E10value_typeEPNST_ISO_E10value_typeEPSP_NS1_7vsmem_tEENKUlT_SN_SO_SP_E_clISG_PjSI_PS9_EESM_S12_SN_SO_SP_EUlS12_E_NS1_11comp_targetILNS1_3genE4ELNS1_11target_archE910ELNS1_3gpuE8ELNS1_3repE0EEENS1_48merge_mergepath_partition_config_static_selectorELNS0_4arch9wavefront6targetE0EEEvSO_,@function
_ZN7rocprim17ROCPRIM_400000_NS6detail17trampoline_kernelINS0_14default_configENS1_38merge_sort_block_merge_config_selectorIjN6thrust23THRUST_200600_302600_NS5tupleIffNS6_9null_typeES8_S8_S8_S8_S8_S8_S8_EEEEZZNS1_27merge_sort_block_merge_implIS3_NS6_6detail15normal_iteratorINS6_10device_ptrIjEEEENSD_INSE_IS9_EEEEjNS1_19radix_merge_compareILb0ELb0EjNS0_19identity_decomposerEEEEE10hipError_tT0_T1_T2_jT3_P12ihipStream_tbPNSt15iterator_traitsISN_E10value_typeEPNST_ISO_E10value_typeEPSP_NS1_7vsmem_tEENKUlT_SN_SO_SP_E_clISG_PjSI_PS9_EESM_S12_SN_SO_SP_EUlS12_E_NS1_11comp_targetILNS1_3genE4ELNS1_11target_archE910ELNS1_3gpuE8ELNS1_3repE0EEENS1_48merge_mergepath_partition_config_static_selectorELNS0_4arch9wavefront6targetE0EEEvSO_: ; @_ZN7rocprim17ROCPRIM_400000_NS6detail17trampoline_kernelINS0_14default_configENS1_38merge_sort_block_merge_config_selectorIjN6thrust23THRUST_200600_302600_NS5tupleIffNS6_9null_typeES8_S8_S8_S8_S8_S8_S8_EEEEZZNS1_27merge_sort_block_merge_implIS3_NS6_6detail15normal_iteratorINS6_10device_ptrIjEEEENSD_INSE_IS9_EEEEjNS1_19radix_merge_compareILb0ELb0EjNS0_19identity_decomposerEEEEE10hipError_tT0_T1_T2_jT3_P12ihipStream_tbPNSt15iterator_traitsISN_E10value_typeEPNST_ISO_E10value_typeEPSP_NS1_7vsmem_tEENKUlT_SN_SO_SP_E_clISG_PjSI_PS9_EESM_S12_SN_SO_SP_EUlS12_E_NS1_11comp_targetILNS1_3genE4ELNS1_11target_archE910ELNS1_3gpuE8ELNS1_3repE0EEENS1_48merge_mergepath_partition_config_static_selectorELNS0_4arch9wavefront6targetE0EEEvSO_
; %bb.0:
	.section	.rodata,"a",@progbits
	.p2align	6, 0x0
	.amdhsa_kernel _ZN7rocprim17ROCPRIM_400000_NS6detail17trampoline_kernelINS0_14default_configENS1_38merge_sort_block_merge_config_selectorIjN6thrust23THRUST_200600_302600_NS5tupleIffNS6_9null_typeES8_S8_S8_S8_S8_S8_S8_EEEEZZNS1_27merge_sort_block_merge_implIS3_NS6_6detail15normal_iteratorINS6_10device_ptrIjEEEENSD_INSE_IS9_EEEEjNS1_19radix_merge_compareILb0ELb0EjNS0_19identity_decomposerEEEEE10hipError_tT0_T1_T2_jT3_P12ihipStream_tbPNSt15iterator_traitsISN_E10value_typeEPNST_ISO_E10value_typeEPSP_NS1_7vsmem_tEENKUlT_SN_SO_SP_E_clISG_PjSI_PS9_EESM_S12_SN_SO_SP_EUlS12_E_NS1_11comp_targetILNS1_3genE4ELNS1_11target_archE910ELNS1_3gpuE8ELNS1_3repE0EEENS1_48merge_mergepath_partition_config_static_selectorELNS0_4arch9wavefront6targetE0EEEvSO_
		.amdhsa_group_segment_fixed_size 0
		.amdhsa_private_segment_fixed_size 0
		.amdhsa_kernarg_size 40
		.amdhsa_user_sgpr_count 2
		.amdhsa_user_sgpr_dispatch_ptr 0
		.amdhsa_user_sgpr_queue_ptr 0
		.amdhsa_user_sgpr_kernarg_segment_ptr 1
		.amdhsa_user_sgpr_dispatch_id 0
		.amdhsa_user_sgpr_kernarg_preload_length 0
		.amdhsa_user_sgpr_kernarg_preload_offset 0
		.amdhsa_user_sgpr_private_segment_size 0
		.amdhsa_wavefront_size32 1
		.amdhsa_uses_dynamic_stack 0
		.amdhsa_enable_private_segment 0
		.amdhsa_system_sgpr_workgroup_id_x 1
		.amdhsa_system_sgpr_workgroup_id_y 0
		.amdhsa_system_sgpr_workgroup_id_z 0
		.amdhsa_system_sgpr_workgroup_info 0
		.amdhsa_system_vgpr_workitem_id 0
		.amdhsa_next_free_vgpr 1
		.amdhsa_next_free_sgpr 1
		.amdhsa_named_barrier_count 0
		.amdhsa_reserve_vcc 0
		.amdhsa_float_round_mode_32 0
		.amdhsa_float_round_mode_16_64 0
		.amdhsa_float_denorm_mode_32 3
		.amdhsa_float_denorm_mode_16_64 3
		.amdhsa_fp16_overflow 0
		.amdhsa_memory_ordered 1
		.amdhsa_forward_progress 1
		.amdhsa_inst_pref_size 0
		.amdhsa_round_robin_scheduling 0
		.amdhsa_exception_fp_ieee_invalid_op 0
		.amdhsa_exception_fp_denorm_src 0
		.amdhsa_exception_fp_ieee_div_zero 0
		.amdhsa_exception_fp_ieee_overflow 0
		.amdhsa_exception_fp_ieee_underflow 0
		.amdhsa_exception_fp_ieee_inexact 0
		.amdhsa_exception_int_div_zero 0
	.end_amdhsa_kernel
	.section	.text._ZN7rocprim17ROCPRIM_400000_NS6detail17trampoline_kernelINS0_14default_configENS1_38merge_sort_block_merge_config_selectorIjN6thrust23THRUST_200600_302600_NS5tupleIffNS6_9null_typeES8_S8_S8_S8_S8_S8_S8_EEEEZZNS1_27merge_sort_block_merge_implIS3_NS6_6detail15normal_iteratorINS6_10device_ptrIjEEEENSD_INSE_IS9_EEEEjNS1_19radix_merge_compareILb0ELb0EjNS0_19identity_decomposerEEEEE10hipError_tT0_T1_T2_jT3_P12ihipStream_tbPNSt15iterator_traitsISN_E10value_typeEPNST_ISO_E10value_typeEPSP_NS1_7vsmem_tEENKUlT_SN_SO_SP_E_clISG_PjSI_PS9_EESM_S12_SN_SO_SP_EUlS12_E_NS1_11comp_targetILNS1_3genE4ELNS1_11target_archE910ELNS1_3gpuE8ELNS1_3repE0EEENS1_48merge_mergepath_partition_config_static_selectorELNS0_4arch9wavefront6targetE0EEEvSO_,"axG",@progbits,_ZN7rocprim17ROCPRIM_400000_NS6detail17trampoline_kernelINS0_14default_configENS1_38merge_sort_block_merge_config_selectorIjN6thrust23THRUST_200600_302600_NS5tupleIffNS6_9null_typeES8_S8_S8_S8_S8_S8_S8_EEEEZZNS1_27merge_sort_block_merge_implIS3_NS6_6detail15normal_iteratorINS6_10device_ptrIjEEEENSD_INSE_IS9_EEEEjNS1_19radix_merge_compareILb0ELb0EjNS0_19identity_decomposerEEEEE10hipError_tT0_T1_T2_jT3_P12ihipStream_tbPNSt15iterator_traitsISN_E10value_typeEPNST_ISO_E10value_typeEPSP_NS1_7vsmem_tEENKUlT_SN_SO_SP_E_clISG_PjSI_PS9_EESM_S12_SN_SO_SP_EUlS12_E_NS1_11comp_targetILNS1_3genE4ELNS1_11target_archE910ELNS1_3gpuE8ELNS1_3repE0EEENS1_48merge_mergepath_partition_config_static_selectorELNS0_4arch9wavefront6targetE0EEEvSO_,comdat
.Lfunc_end52:
	.size	_ZN7rocprim17ROCPRIM_400000_NS6detail17trampoline_kernelINS0_14default_configENS1_38merge_sort_block_merge_config_selectorIjN6thrust23THRUST_200600_302600_NS5tupleIffNS6_9null_typeES8_S8_S8_S8_S8_S8_S8_EEEEZZNS1_27merge_sort_block_merge_implIS3_NS6_6detail15normal_iteratorINS6_10device_ptrIjEEEENSD_INSE_IS9_EEEEjNS1_19radix_merge_compareILb0ELb0EjNS0_19identity_decomposerEEEEE10hipError_tT0_T1_T2_jT3_P12ihipStream_tbPNSt15iterator_traitsISN_E10value_typeEPNST_ISO_E10value_typeEPSP_NS1_7vsmem_tEENKUlT_SN_SO_SP_E_clISG_PjSI_PS9_EESM_S12_SN_SO_SP_EUlS12_E_NS1_11comp_targetILNS1_3genE4ELNS1_11target_archE910ELNS1_3gpuE8ELNS1_3repE0EEENS1_48merge_mergepath_partition_config_static_selectorELNS0_4arch9wavefront6targetE0EEEvSO_, .Lfunc_end52-_ZN7rocprim17ROCPRIM_400000_NS6detail17trampoline_kernelINS0_14default_configENS1_38merge_sort_block_merge_config_selectorIjN6thrust23THRUST_200600_302600_NS5tupleIffNS6_9null_typeES8_S8_S8_S8_S8_S8_S8_EEEEZZNS1_27merge_sort_block_merge_implIS3_NS6_6detail15normal_iteratorINS6_10device_ptrIjEEEENSD_INSE_IS9_EEEEjNS1_19radix_merge_compareILb0ELb0EjNS0_19identity_decomposerEEEEE10hipError_tT0_T1_T2_jT3_P12ihipStream_tbPNSt15iterator_traitsISN_E10value_typeEPNST_ISO_E10value_typeEPSP_NS1_7vsmem_tEENKUlT_SN_SO_SP_E_clISG_PjSI_PS9_EESM_S12_SN_SO_SP_EUlS12_E_NS1_11comp_targetILNS1_3genE4ELNS1_11target_archE910ELNS1_3gpuE8ELNS1_3repE0EEENS1_48merge_mergepath_partition_config_static_selectorELNS0_4arch9wavefront6targetE0EEEvSO_
                                        ; -- End function
	.set _ZN7rocprim17ROCPRIM_400000_NS6detail17trampoline_kernelINS0_14default_configENS1_38merge_sort_block_merge_config_selectorIjN6thrust23THRUST_200600_302600_NS5tupleIffNS6_9null_typeES8_S8_S8_S8_S8_S8_S8_EEEEZZNS1_27merge_sort_block_merge_implIS3_NS6_6detail15normal_iteratorINS6_10device_ptrIjEEEENSD_INSE_IS9_EEEEjNS1_19radix_merge_compareILb0ELb0EjNS0_19identity_decomposerEEEEE10hipError_tT0_T1_T2_jT3_P12ihipStream_tbPNSt15iterator_traitsISN_E10value_typeEPNST_ISO_E10value_typeEPSP_NS1_7vsmem_tEENKUlT_SN_SO_SP_E_clISG_PjSI_PS9_EESM_S12_SN_SO_SP_EUlS12_E_NS1_11comp_targetILNS1_3genE4ELNS1_11target_archE910ELNS1_3gpuE8ELNS1_3repE0EEENS1_48merge_mergepath_partition_config_static_selectorELNS0_4arch9wavefront6targetE0EEEvSO_.num_vgpr, 0
	.set _ZN7rocprim17ROCPRIM_400000_NS6detail17trampoline_kernelINS0_14default_configENS1_38merge_sort_block_merge_config_selectorIjN6thrust23THRUST_200600_302600_NS5tupleIffNS6_9null_typeES8_S8_S8_S8_S8_S8_S8_EEEEZZNS1_27merge_sort_block_merge_implIS3_NS6_6detail15normal_iteratorINS6_10device_ptrIjEEEENSD_INSE_IS9_EEEEjNS1_19radix_merge_compareILb0ELb0EjNS0_19identity_decomposerEEEEE10hipError_tT0_T1_T2_jT3_P12ihipStream_tbPNSt15iterator_traitsISN_E10value_typeEPNST_ISO_E10value_typeEPSP_NS1_7vsmem_tEENKUlT_SN_SO_SP_E_clISG_PjSI_PS9_EESM_S12_SN_SO_SP_EUlS12_E_NS1_11comp_targetILNS1_3genE4ELNS1_11target_archE910ELNS1_3gpuE8ELNS1_3repE0EEENS1_48merge_mergepath_partition_config_static_selectorELNS0_4arch9wavefront6targetE0EEEvSO_.num_agpr, 0
	.set _ZN7rocprim17ROCPRIM_400000_NS6detail17trampoline_kernelINS0_14default_configENS1_38merge_sort_block_merge_config_selectorIjN6thrust23THRUST_200600_302600_NS5tupleIffNS6_9null_typeES8_S8_S8_S8_S8_S8_S8_EEEEZZNS1_27merge_sort_block_merge_implIS3_NS6_6detail15normal_iteratorINS6_10device_ptrIjEEEENSD_INSE_IS9_EEEEjNS1_19radix_merge_compareILb0ELb0EjNS0_19identity_decomposerEEEEE10hipError_tT0_T1_T2_jT3_P12ihipStream_tbPNSt15iterator_traitsISN_E10value_typeEPNST_ISO_E10value_typeEPSP_NS1_7vsmem_tEENKUlT_SN_SO_SP_E_clISG_PjSI_PS9_EESM_S12_SN_SO_SP_EUlS12_E_NS1_11comp_targetILNS1_3genE4ELNS1_11target_archE910ELNS1_3gpuE8ELNS1_3repE0EEENS1_48merge_mergepath_partition_config_static_selectorELNS0_4arch9wavefront6targetE0EEEvSO_.numbered_sgpr, 0
	.set _ZN7rocprim17ROCPRIM_400000_NS6detail17trampoline_kernelINS0_14default_configENS1_38merge_sort_block_merge_config_selectorIjN6thrust23THRUST_200600_302600_NS5tupleIffNS6_9null_typeES8_S8_S8_S8_S8_S8_S8_EEEEZZNS1_27merge_sort_block_merge_implIS3_NS6_6detail15normal_iteratorINS6_10device_ptrIjEEEENSD_INSE_IS9_EEEEjNS1_19radix_merge_compareILb0ELb0EjNS0_19identity_decomposerEEEEE10hipError_tT0_T1_T2_jT3_P12ihipStream_tbPNSt15iterator_traitsISN_E10value_typeEPNST_ISO_E10value_typeEPSP_NS1_7vsmem_tEENKUlT_SN_SO_SP_E_clISG_PjSI_PS9_EESM_S12_SN_SO_SP_EUlS12_E_NS1_11comp_targetILNS1_3genE4ELNS1_11target_archE910ELNS1_3gpuE8ELNS1_3repE0EEENS1_48merge_mergepath_partition_config_static_selectorELNS0_4arch9wavefront6targetE0EEEvSO_.num_named_barrier, 0
	.set _ZN7rocprim17ROCPRIM_400000_NS6detail17trampoline_kernelINS0_14default_configENS1_38merge_sort_block_merge_config_selectorIjN6thrust23THRUST_200600_302600_NS5tupleIffNS6_9null_typeES8_S8_S8_S8_S8_S8_S8_EEEEZZNS1_27merge_sort_block_merge_implIS3_NS6_6detail15normal_iteratorINS6_10device_ptrIjEEEENSD_INSE_IS9_EEEEjNS1_19radix_merge_compareILb0ELb0EjNS0_19identity_decomposerEEEEE10hipError_tT0_T1_T2_jT3_P12ihipStream_tbPNSt15iterator_traitsISN_E10value_typeEPNST_ISO_E10value_typeEPSP_NS1_7vsmem_tEENKUlT_SN_SO_SP_E_clISG_PjSI_PS9_EESM_S12_SN_SO_SP_EUlS12_E_NS1_11comp_targetILNS1_3genE4ELNS1_11target_archE910ELNS1_3gpuE8ELNS1_3repE0EEENS1_48merge_mergepath_partition_config_static_selectorELNS0_4arch9wavefront6targetE0EEEvSO_.private_seg_size, 0
	.set _ZN7rocprim17ROCPRIM_400000_NS6detail17trampoline_kernelINS0_14default_configENS1_38merge_sort_block_merge_config_selectorIjN6thrust23THRUST_200600_302600_NS5tupleIffNS6_9null_typeES8_S8_S8_S8_S8_S8_S8_EEEEZZNS1_27merge_sort_block_merge_implIS3_NS6_6detail15normal_iteratorINS6_10device_ptrIjEEEENSD_INSE_IS9_EEEEjNS1_19radix_merge_compareILb0ELb0EjNS0_19identity_decomposerEEEEE10hipError_tT0_T1_T2_jT3_P12ihipStream_tbPNSt15iterator_traitsISN_E10value_typeEPNST_ISO_E10value_typeEPSP_NS1_7vsmem_tEENKUlT_SN_SO_SP_E_clISG_PjSI_PS9_EESM_S12_SN_SO_SP_EUlS12_E_NS1_11comp_targetILNS1_3genE4ELNS1_11target_archE910ELNS1_3gpuE8ELNS1_3repE0EEENS1_48merge_mergepath_partition_config_static_selectorELNS0_4arch9wavefront6targetE0EEEvSO_.uses_vcc, 0
	.set _ZN7rocprim17ROCPRIM_400000_NS6detail17trampoline_kernelINS0_14default_configENS1_38merge_sort_block_merge_config_selectorIjN6thrust23THRUST_200600_302600_NS5tupleIffNS6_9null_typeES8_S8_S8_S8_S8_S8_S8_EEEEZZNS1_27merge_sort_block_merge_implIS3_NS6_6detail15normal_iteratorINS6_10device_ptrIjEEEENSD_INSE_IS9_EEEEjNS1_19radix_merge_compareILb0ELb0EjNS0_19identity_decomposerEEEEE10hipError_tT0_T1_T2_jT3_P12ihipStream_tbPNSt15iterator_traitsISN_E10value_typeEPNST_ISO_E10value_typeEPSP_NS1_7vsmem_tEENKUlT_SN_SO_SP_E_clISG_PjSI_PS9_EESM_S12_SN_SO_SP_EUlS12_E_NS1_11comp_targetILNS1_3genE4ELNS1_11target_archE910ELNS1_3gpuE8ELNS1_3repE0EEENS1_48merge_mergepath_partition_config_static_selectorELNS0_4arch9wavefront6targetE0EEEvSO_.uses_flat_scratch, 0
	.set _ZN7rocprim17ROCPRIM_400000_NS6detail17trampoline_kernelINS0_14default_configENS1_38merge_sort_block_merge_config_selectorIjN6thrust23THRUST_200600_302600_NS5tupleIffNS6_9null_typeES8_S8_S8_S8_S8_S8_S8_EEEEZZNS1_27merge_sort_block_merge_implIS3_NS6_6detail15normal_iteratorINS6_10device_ptrIjEEEENSD_INSE_IS9_EEEEjNS1_19radix_merge_compareILb0ELb0EjNS0_19identity_decomposerEEEEE10hipError_tT0_T1_T2_jT3_P12ihipStream_tbPNSt15iterator_traitsISN_E10value_typeEPNST_ISO_E10value_typeEPSP_NS1_7vsmem_tEENKUlT_SN_SO_SP_E_clISG_PjSI_PS9_EESM_S12_SN_SO_SP_EUlS12_E_NS1_11comp_targetILNS1_3genE4ELNS1_11target_archE910ELNS1_3gpuE8ELNS1_3repE0EEENS1_48merge_mergepath_partition_config_static_selectorELNS0_4arch9wavefront6targetE0EEEvSO_.has_dyn_sized_stack, 0
	.set _ZN7rocprim17ROCPRIM_400000_NS6detail17trampoline_kernelINS0_14default_configENS1_38merge_sort_block_merge_config_selectorIjN6thrust23THRUST_200600_302600_NS5tupleIffNS6_9null_typeES8_S8_S8_S8_S8_S8_S8_EEEEZZNS1_27merge_sort_block_merge_implIS3_NS6_6detail15normal_iteratorINS6_10device_ptrIjEEEENSD_INSE_IS9_EEEEjNS1_19radix_merge_compareILb0ELb0EjNS0_19identity_decomposerEEEEE10hipError_tT0_T1_T2_jT3_P12ihipStream_tbPNSt15iterator_traitsISN_E10value_typeEPNST_ISO_E10value_typeEPSP_NS1_7vsmem_tEENKUlT_SN_SO_SP_E_clISG_PjSI_PS9_EESM_S12_SN_SO_SP_EUlS12_E_NS1_11comp_targetILNS1_3genE4ELNS1_11target_archE910ELNS1_3gpuE8ELNS1_3repE0EEENS1_48merge_mergepath_partition_config_static_selectorELNS0_4arch9wavefront6targetE0EEEvSO_.has_recursion, 0
	.set _ZN7rocprim17ROCPRIM_400000_NS6detail17trampoline_kernelINS0_14default_configENS1_38merge_sort_block_merge_config_selectorIjN6thrust23THRUST_200600_302600_NS5tupleIffNS6_9null_typeES8_S8_S8_S8_S8_S8_S8_EEEEZZNS1_27merge_sort_block_merge_implIS3_NS6_6detail15normal_iteratorINS6_10device_ptrIjEEEENSD_INSE_IS9_EEEEjNS1_19radix_merge_compareILb0ELb0EjNS0_19identity_decomposerEEEEE10hipError_tT0_T1_T2_jT3_P12ihipStream_tbPNSt15iterator_traitsISN_E10value_typeEPNST_ISO_E10value_typeEPSP_NS1_7vsmem_tEENKUlT_SN_SO_SP_E_clISG_PjSI_PS9_EESM_S12_SN_SO_SP_EUlS12_E_NS1_11comp_targetILNS1_3genE4ELNS1_11target_archE910ELNS1_3gpuE8ELNS1_3repE0EEENS1_48merge_mergepath_partition_config_static_selectorELNS0_4arch9wavefront6targetE0EEEvSO_.has_indirect_call, 0
	.section	.AMDGPU.csdata,"",@progbits
; Kernel info:
; codeLenInByte = 0
; TotalNumSgprs: 0
; NumVgprs: 0
; ScratchSize: 0
; MemoryBound: 0
; FloatMode: 240
; IeeeMode: 1
; LDSByteSize: 0 bytes/workgroup (compile time only)
; SGPRBlocks: 0
; VGPRBlocks: 0
; NumSGPRsForWavesPerEU: 1
; NumVGPRsForWavesPerEU: 1
; NamedBarCnt: 0
; Occupancy: 16
; WaveLimiterHint : 0
; COMPUTE_PGM_RSRC2:SCRATCH_EN: 0
; COMPUTE_PGM_RSRC2:USER_SGPR: 2
; COMPUTE_PGM_RSRC2:TRAP_HANDLER: 0
; COMPUTE_PGM_RSRC2:TGID_X_EN: 1
; COMPUTE_PGM_RSRC2:TGID_Y_EN: 0
; COMPUTE_PGM_RSRC2:TGID_Z_EN: 0
; COMPUTE_PGM_RSRC2:TIDIG_COMP_CNT: 0
	.section	.text._ZN7rocprim17ROCPRIM_400000_NS6detail17trampoline_kernelINS0_14default_configENS1_38merge_sort_block_merge_config_selectorIjN6thrust23THRUST_200600_302600_NS5tupleIffNS6_9null_typeES8_S8_S8_S8_S8_S8_S8_EEEEZZNS1_27merge_sort_block_merge_implIS3_NS6_6detail15normal_iteratorINS6_10device_ptrIjEEEENSD_INSE_IS9_EEEEjNS1_19radix_merge_compareILb0ELb0EjNS0_19identity_decomposerEEEEE10hipError_tT0_T1_T2_jT3_P12ihipStream_tbPNSt15iterator_traitsISN_E10value_typeEPNST_ISO_E10value_typeEPSP_NS1_7vsmem_tEENKUlT_SN_SO_SP_E_clISG_PjSI_PS9_EESM_S12_SN_SO_SP_EUlS12_E_NS1_11comp_targetILNS1_3genE3ELNS1_11target_archE908ELNS1_3gpuE7ELNS1_3repE0EEENS1_48merge_mergepath_partition_config_static_selectorELNS0_4arch9wavefront6targetE0EEEvSO_,"axG",@progbits,_ZN7rocprim17ROCPRIM_400000_NS6detail17trampoline_kernelINS0_14default_configENS1_38merge_sort_block_merge_config_selectorIjN6thrust23THRUST_200600_302600_NS5tupleIffNS6_9null_typeES8_S8_S8_S8_S8_S8_S8_EEEEZZNS1_27merge_sort_block_merge_implIS3_NS6_6detail15normal_iteratorINS6_10device_ptrIjEEEENSD_INSE_IS9_EEEEjNS1_19radix_merge_compareILb0ELb0EjNS0_19identity_decomposerEEEEE10hipError_tT0_T1_T2_jT3_P12ihipStream_tbPNSt15iterator_traitsISN_E10value_typeEPNST_ISO_E10value_typeEPSP_NS1_7vsmem_tEENKUlT_SN_SO_SP_E_clISG_PjSI_PS9_EESM_S12_SN_SO_SP_EUlS12_E_NS1_11comp_targetILNS1_3genE3ELNS1_11target_archE908ELNS1_3gpuE7ELNS1_3repE0EEENS1_48merge_mergepath_partition_config_static_selectorELNS0_4arch9wavefront6targetE0EEEvSO_,comdat
	.protected	_ZN7rocprim17ROCPRIM_400000_NS6detail17trampoline_kernelINS0_14default_configENS1_38merge_sort_block_merge_config_selectorIjN6thrust23THRUST_200600_302600_NS5tupleIffNS6_9null_typeES8_S8_S8_S8_S8_S8_S8_EEEEZZNS1_27merge_sort_block_merge_implIS3_NS6_6detail15normal_iteratorINS6_10device_ptrIjEEEENSD_INSE_IS9_EEEEjNS1_19radix_merge_compareILb0ELb0EjNS0_19identity_decomposerEEEEE10hipError_tT0_T1_T2_jT3_P12ihipStream_tbPNSt15iterator_traitsISN_E10value_typeEPNST_ISO_E10value_typeEPSP_NS1_7vsmem_tEENKUlT_SN_SO_SP_E_clISG_PjSI_PS9_EESM_S12_SN_SO_SP_EUlS12_E_NS1_11comp_targetILNS1_3genE3ELNS1_11target_archE908ELNS1_3gpuE7ELNS1_3repE0EEENS1_48merge_mergepath_partition_config_static_selectorELNS0_4arch9wavefront6targetE0EEEvSO_ ; -- Begin function _ZN7rocprim17ROCPRIM_400000_NS6detail17trampoline_kernelINS0_14default_configENS1_38merge_sort_block_merge_config_selectorIjN6thrust23THRUST_200600_302600_NS5tupleIffNS6_9null_typeES8_S8_S8_S8_S8_S8_S8_EEEEZZNS1_27merge_sort_block_merge_implIS3_NS6_6detail15normal_iteratorINS6_10device_ptrIjEEEENSD_INSE_IS9_EEEEjNS1_19radix_merge_compareILb0ELb0EjNS0_19identity_decomposerEEEEE10hipError_tT0_T1_T2_jT3_P12ihipStream_tbPNSt15iterator_traitsISN_E10value_typeEPNST_ISO_E10value_typeEPSP_NS1_7vsmem_tEENKUlT_SN_SO_SP_E_clISG_PjSI_PS9_EESM_S12_SN_SO_SP_EUlS12_E_NS1_11comp_targetILNS1_3genE3ELNS1_11target_archE908ELNS1_3gpuE7ELNS1_3repE0EEENS1_48merge_mergepath_partition_config_static_selectorELNS0_4arch9wavefront6targetE0EEEvSO_
	.globl	_ZN7rocprim17ROCPRIM_400000_NS6detail17trampoline_kernelINS0_14default_configENS1_38merge_sort_block_merge_config_selectorIjN6thrust23THRUST_200600_302600_NS5tupleIffNS6_9null_typeES8_S8_S8_S8_S8_S8_S8_EEEEZZNS1_27merge_sort_block_merge_implIS3_NS6_6detail15normal_iteratorINS6_10device_ptrIjEEEENSD_INSE_IS9_EEEEjNS1_19radix_merge_compareILb0ELb0EjNS0_19identity_decomposerEEEEE10hipError_tT0_T1_T2_jT3_P12ihipStream_tbPNSt15iterator_traitsISN_E10value_typeEPNST_ISO_E10value_typeEPSP_NS1_7vsmem_tEENKUlT_SN_SO_SP_E_clISG_PjSI_PS9_EESM_S12_SN_SO_SP_EUlS12_E_NS1_11comp_targetILNS1_3genE3ELNS1_11target_archE908ELNS1_3gpuE7ELNS1_3repE0EEENS1_48merge_mergepath_partition_config_static_selectorELNS0_4arch9wavefront6targetE0EEEvSO_
	.p2align	8
	.type	_ZN7rocprim17ROCPRIM_400000_NS6detail17trampoline_kernelINS0_14default_configENS1_38merge_sort_block_merge_config_selectorIjN6thrust23THRUST_200600_302600_NS5tupleIffNS6_9null_typeES8_S8_S8_S8_S8_S8_S8_EEEEZZNS1_27merge_sort_block_merge_implIS3_NS6_6detail15normal_iteratorINS6_10device_ptrIjEEEENSD_INSE_IS9_EEEEjNS1_19radix_merge_compareILb0ELb0EjNS0_19identity_decomposerEEEEE10hipError_tT0_T1_T2_jT3_P12ihipStream_tbPNSt15iterator_traitsISN_E10value_typeEPNST_ISO_E10value_typeEPSP_NS1_7vsmem_tEENKUlT_SN_SO_SP_E_clISG_PjSI_PS9_EESM_S12_SN_SO_SP_EUlS12_E_NS1_11comp_targetILNS1_3genE3ELNS1_11target_archE908ELNS1_3gpuE7ELNS1_3repE0EEENS1_48merge_mergepath_partition_config_static_selectorELNS0_4arch9wavefront6targetE0EEEvSO_,@function
_ZN7rocprim17ROCPRIM_400000_NS6detail17trampoline_kernelINS0_14default_configENS1_38merge_sort_block_merge_config_selectorIjN6thrust23THRUST_200600_302600_NS5tupleIffNS6_9null_typeES8_S8_S8_S8_S8_S8_S8_EEEEZZNS1_27merge_sort_block_merge_implIS3_NS6_6detail15normal_iteratorINS6_10device_ptrIjEEEENSD_INSE_IS9_EEEEjNS1_19radix_merge_compareILb0ELb0EjNS0_19identity_decomposerEEEEE10hipError_tT0_T1_T2_jT3_P12ihipStream_tbPNSt15iterator_traitsISN_E10value_typeEPNST_ISO_E10value_typeEPSP_NS1_7vsmem_tEENKUlT_SN_SO_SP_E_clISG_PjSI_PS9_EESM_S12_SN_SO_SP_EUlS12_E_NS1_11comp_targetILNS1_3genE3ELNS1_11target_archE908ELNS1_3gpuE7ELNS1_3repE0EEENS1_48merge_mergepath_partition_config_static_selectorELNS0_4arch9wavefront6targetE0EEEvSO_: ; @_ZN7rocprim17ROCPRIM_400000_NS6detail17trampoline_kernelINS0_14default_configENS1_38merge_sort_block_merge_config_selectorIjN6thrust23THRUST_200600_302600_NS5tupleIffNS6_9null_typeES8_S8_S8_S8_S8_S8_S8_EEEEZZNS1_27merge_sort_block_merge_implIS3_NS6_6detail15normal_iteratorINS6_10device_ptrIjEEEENSD_INSE_IS9_EEEEjNS1_19radix_merge_compareILb0ELb0EjNS0_19identity_decomposerEEEEE10hipError_tT0_T1_T2_jT3_P12ihipStream_tbPNSt15iterator_traitsISN_E10value_typeEPNST_ISO_E10value_typeEPSP_NS1_7vsmem_tEENKUlT_SN_SO_SP_E_clISG_PjSI_PS9_EESM_S12_SN_SO_SP_EUlS12_E_NS1_11comp_targetILNS1_3genE3ELNS1_11target_archE908ELNS1_3gpuE7ELNS1_3repE0EEENS1_48merge_mergepath_partition_config_static_selectorELNS0_4arch9wavefront6targetE0EEEvSO_
; %bb.0:
	.section	.rodata,"a",@progbits
	.p2align	6, 0x0
	.amdhsa_kernel _ZN7rocprim17ROCPRIM_400000_NS6detail17trampoline_kernelINS0_14default_configENS1_38merge_sort_block_merge_config_selectorIjN6thrust23THRUST_200600_302600_NS5tupleIffNS6_9null_typeES8_S8_S8_S8_S8_S8_S8_EEEEZZNS1_27merge_sort_block_merge_implIS3_NS6_6detail15normal_iteratorINS6_10device_ptrIjEEEENSD_INSE_IS9_EEEEjNS1_19radix_merge_compareILb0ELb0EjNS0_19identity_decomposerEEEEE10hipError_tT0_T1_T2_jT3_P12ihipStream_tbPNSt15iterator_traitsISN_E10value_typeEPNST_ISO_E10value_typeEPSP_NS1_7vsmem_tEENKUlT_SN_SO_SP_E_clISG_PjSI_PS9_EESM_S12_SN_SO_SP_EUlS12_E_NS1_11comp_targetILNS1_3genE3ELNS1_11target_archE908ELNS1_3gpuE7ELNS1_3repE0EEENS1_48merge_mergepath_partition_config_static_selectorELNS0_4arch9wavefront6targetE0EEEvSO_
		.amdhsa_group_segment_fixed_size 0
		.amdhsa_private_segment_fixed_size 0
		.amdhsa_kernarg_size 40
		.amdhsa_user_sgpr_count 2
		.amdhsa_user_sgpr_dispatch_ptr 0
		.amdhsa_user_sgpr_queue_ptr 0
		.amdhsa_user_sgpr_kernarg_segment_ptr 1
		.amdhsa_user_sgpr_dispatch_id 0
		.amdhsa_user_sgpr_kernarg_preload_length 0
		.amdhsa_user_sgpr_kernarg_preload_offset 0
		.amdhsa_user_sgpr_private_segment_size 0
		.amdhsa_wavefront_size32 1
		.amdhsa_uses_dynamic_stack 0
		.amdhsa_enable_private_segment 0
		.amdhsa_system_sgpr_workgroup_id_x 1
		.amdhsa_system_sgpr_workgroup_id_y 0
		.amdhsa_system_sgpr_workgroup_id_z 0
		.amdhsa_system_sgpr_workgroup_info 0
		.amdhsa_system_vgpr_workitem_id 0
		.amdhsa_next_free_vgpr 1
		.amdhsa_next_free_sgpr 1
		.amdhsa_named_barrier_count 0
		.amdhsa_reserve_vcc 0
		.amdhsa_float_round_mode_32 0
		.amdhsa_float_round_mode_16_64 0
		.amdhsa_float_denorm_mode_32 3
		.amdhsa_float_denorm_mode_16_64 3
		.amdhsa_fp16_overflow 0
		.amdhsa_memory_ordered 1
		.amdhsa_forward_progress 1
		.amdhsa_inst_pref_size 0
		.amdhsa_round_robin_scheduling 0
		.amdhsa_exception_fp_ieee_invalid_op 0
		.amdhsa_exception_fp_denorm_src 0
		.amdhsa_exception_fp_ieee_div_zero 0
		.amdhsa_exception_fp_ieee_overflow 0
		.amdhsa_exception_fp_ieee_underflow 0
		.amdhsa_exception_fp_ieee_inexact 0
		.amdhsa_exception_int_div_zero 0
	.end_amdhsa_kernel
	.section	.text._ZN7rocprim17ROCPRIM_400000_NS6detail17trampoline_kernelINS0_14default_configENS1_38merge_sort_block_merge_config_selectorIjN6thrust23THRUST_200600_302600_NS5tupleIffNS6_9null_typeES8_S8_S8_S8_S8_S8_S8_EEEEZZNS1_27merge_sort_block_merge_implIS3_NS6_6detail15normal_iteratorINS6_10device_ptrIjEEEENSD_INSE_IS9_EEEEjNS1_19radix_merge_compareILb0ELb0EjNS0_19identity_decomposerEEEEE10hipError_tT0_T1_T2_jT3_P12ihipStream_tbPNSt15iterator_traitsISN_E10value_typeEPNST_ISO_E10value_typeEPSP_NS1_7vsmem_tEENKUlT_SN_SO_SP_E_clISG_PjSI_PS9_EESM_S12_SN_SO_SP_EUlS12_E_NS1_11comp_targetILNS1_3genE3ELNS1_11target_archE908ELNS1_3gpuE7ELNS1_3repE0EEENS1_48merge_mergepath_partition_config_static_selectorELNS0_4arch9wavefront6targetE0EEEvSO_,"axG",@progbits,_ZN7rocprim17ROCPRIM_400000_NS6detail17trampoline_kernelINS0_14default_configENS1_38merge_sort_block_merge_config_selectorIjN6thrust23THRUST_200600_302600_NS5tupleIffNS6_9null_typeES8_S8_S8_S8_S8_S8_S8_EEEEZZNS1_27merge_sort_block_merge_implIS3_NS6_6detail15normal_iteratorINS6_10device_ptrIjEEEENSD_INSE_IS9_EEEEjNS1_19radix_merge_compareILb0ELb0EjNS0_19identity_decomposerEEEEE10hipError_tT0_T1_T2_jT3_P12ihipStream_tbPNSt15iterator_traitsISN_E10value_typeEPNST_ISO_E10value_typeEPSP_NS1_7vsmem_tEENKUlT_SN_SO_SP_E_clISG_PjSI_PS9_EESM_S12_SN_SO_SP_EUlS12_E_NS1_11comp_targetILNS1_3genE3ELNS1_11target_archE908ELNS1_3gpuE7ELNS1_3repE0EEENS1_48merge_mergepath_partition_config_static_selectorELNS0_4arch9wavefront6targetE0EEEvSO_,comdat
.Lfunc_end53:
	.size	_ZN7rocprim17ROCPRIM_400000_NS6detail17trampoline_kernelINS0_14default_configENS1_38merge_sort_block_merge_config_selectorIjN6thrust23THRUST_200600_302600_NS5tupleIffNS6_9null_typeES8_S8_S8_S8_S8_S8_S8_EEEEZZNS1_27merge_sort_block_merge_implIS3_NS6_6detail15normal_iteratorINS6_10device_ptrIjEEEENSD_INSE_IS9_EEEEjNS1_19radix_merge_compareILb0ELb0EjNS0_19identity_decomposerEEEEE10hipError_tT0_T1_T2_jT3_P12ihipStream_tbPNSt15iterator_traitsISN_E10value_typeEPNST_ISO_E10value_typeEPSP_NS1_7vsmem_tEENKUlT_SN_SO_SP_E_clISG_PjSI_PS9_EESM_S12_SN_SO_SP_EUlS12_E_NS1_11comp_targetILNS1_3genE3ELNS1_11target_archE908ELNS1_3gpuE7ELNS1_3repE0EEENS1_48merge_mergepath_partition_config_static_selectorELNS0_4arch9wavefront6targetE0EEEvSO_, .Lfunc_end53-_ZN7rocprim17ROCPRIM_400000_NS6detail17trampoline_kernelINS0_14default_configENS1_38merge_sort_block_merge_config_selectorIjN6thrust23THRUST_200600_302600_NS5tupleIffNS6_9null_typeES8_S8_S8_S8_S8_S8_S8_EEEEZZNS1_27merge_sort_block_merge_implIS3_NS6_6detail15normal_iteratorINS6_10device_ptrIjEEEENSD_INSE_IS9_EEEEjNS1_19radix_merge_compareILb0ELb0EjNS0_19identity_decomposerEEEEE10hipError_tT0_T1_T2_jT3_P12ihipStream_tbPNSt15iterator_traitsISN_E10value_typeEPNST_ISO_E10value_typeEPSP_NS1_7vsmem_tEENKUlT_SN_SO_SP_E_clISG_PjSI_PS9_EESM_S12_SN_SO_SP_EUlS12_E_NS1_11comp_targetILNS1_3genE3ELNS1_11target_archE908ELNS1_3gpuE7ELNS1_3repE0EEENS1_48merge_mergepath_partition_config_static_selectorELNS0_4arch9wavefront6targetE0EEEvSO_
                                        ; -- End function
	.set _ZN7rocprim17ROCPRIM_400000_NS6detail17trampoline_kernelINS0_14default_configENS1_38merge_sort_block_merge_config_selectorIjN6thrust23THRUST_200600_302600_NS5tupleIffNS6_9null_typeES8_S8_S8_S8_S8_S8_S8_EEEEZZNS1_27merge_sort_block_merge_implIS3_NS6_6detail15normal_iteratorINS6_10device_ptrIjEEEENSD_INSE_IS9_EEEEjNS1_19radix_merge_compareILb0ELb0EjNS0_19identity_decomposerEEEEE10hipError_tT0_T1_T2_jT3_P12ihipStream_tbPNSt15iterator_traitsISN_E10value_typeEPNST_ISO_E10value_typeEPSP_NS1_7vsmem_tEENKUlT_SN_SO_SP_E_clISG_PjSI_PS9_EESM_S12_SN_SO_SP_EUlS12_E_NS1_11comp_targetILNS1_3genE3ELNS1_11target_archE908ELNS1_3gpuE7ELNS1_3repE0EEENS1_48merge_mergepath_partition_config_static_selectorELNS0_4arch9wavefront6targetE0EEEvSO_.num_vgpr, 0
	.set _ZN7rocprim17ROCPRIM_400000_NS6detail17trampoline_kernelINS0_14default_configENS1_38merge_sort_block_merge_config_selectorIjN6thrust23THRUST_200600_302600_NS5tupleIffNS6_9null_typeES8_S8_S8_S8_S8_S8_S8_EEEEZZNS1_27merge_sort_block_merge_implIS3_NS6_6detail15normal_iteratorINS6_10device_ptrIjEEEENSD_INSE_IS9_EEEEjNS1_19radix_merge_compareILb0ELb0EjNS0_19identity_decomposerEEEEE10hipError_tT0_T1_T2_jT3_P12ihipStream_tbPNSt15iterator_traitsISN_E10value_typeEPNST_ISO_E10value_typeEPSP_NS1_7vsmem_tEENKUlT_SN_SO_SP_E_clISG_PjSI_PS9_EESM_S12_SN_SO_SP_EUlS12_E_NS1_11comp_targetILNS1_3genE3ELNS1_11target_archE908ELNS1_3gpuE7ELNS1_3repE0EEENS1_48merge_mergepath_partition_config_static_selectorELNS0_4arch9wavefront6targetE0EEEvSO_.num_agpr, 0
	.set _ZN7rocprim17ROCPRIM_400000_NS6detail17trampoline_kernelINS0_14default_configENS1_38merge_sort_block_merge_config_selectorIjN6thrust23THRUST_200600_302600_NS5tupleIffNS6_9null_typeES8_S8_S8_S8_S8_S8_S8_EEEEZZNS1_27merge_sort_block_merge_implIS3_NS6_6detail15normal_iteratorINS6_10device_ptrIjEEEENSD_INSE_IS9_EEEEjNS1_19radix_merge_compareILb0ELb0EjNS0_19identity_decomposerEEEEE10hipError_tT0_T1_T2_jT3_P12ihipStream_tbPNSt15iterator_traitsISN_E10value_typeEPNST_ISO_E10value_typeEPSP_NS1_7vsmem_tEENKUlT_SN_SO_SP_E_clISG_PjSI_PS9_EESM_S12_SN_SO_SP_EUlS12_E_NS1_11comp_targetILNS1_3genE3ELNS1_11target_archE908ELNS1_3gpuE7ELNS1_3repE0EEENS1_48merge_mergepath_partition_config_static_selectorELNS0_4arch9wavefront6targetE0EEEvSO_.numbered_sgpr, 0
	.set _ZN7rocprim17ROCPRIM_400000_NS6detail17trampoline_kernelINS0_14default_configENS1_38merge_sort_block_merge_config_selectorIjN6thrust23THRUST_200600_302600_NS5tupleIffNS6_9null_typeES8_S8_S8_S8_S8_S8_S8_EEEEZZNS1_27merge_sort_block_merge_implIS3_NS6_6detail15normal_iteratorINS6_10device_ptrIjEEEENSD_INSE_IS9_EEEEjNS1_19radix_merge_compareILb0ELb0EjNS0_19identity_decomposerEEEEE10hipError_tT0_T1_T2_jT3_P12ihipStream_tbPNSt15iterator_traitsISN_E10value_typeEPNST_ISO_E10value_typeEPSP_NS1_7vsmem_tEENKUlT_SN_SO_SP_E_clISG_PjSI_PS9_EESM_S12_SN_SO_SP_EUlS12_E_NS1_11comp_targetILNS1_3genE3ELNS1_11target_archE908ELNS1_3gpuE7ELNS1_3repE0EEENS1_48merge_mergepath_partition_config_static_selectorELNS0_4arch9wavefront6targetE0EEEvSO_.num_named_barrier, 0
	.set _ZN7rocprim17ROCPRIM_400000_NS6detail17trampoline_kernelINS0_14default_configENS1_38merge_sort_block_merge_config_selectorIjN6thrust23THRUST_200600_302600_NS5tupleIffNS6_9null_typeES8_S8_S8_S8_S8_S8_S8_EEEEZZNS1_27merge_sort_block_merge_implIS3_NS6_6detail15normal_iteratorINS6_10device_ptrIjEEEENSD_INSE_IS9_EEEEjNS1_19radix_merge_compareILb0ELb0EjNS0_19identity_decomposerEEEEE10hipError_tT0_T1_T2_jT3_P12ihipStream_tbPNSt15iterator_traitsISN_E10value_typeEPNST_ISO_E10value_typeEPSP_NS1_7vsmem_tEENKUlT_SN_SO_SP_E_clISG_PjSI_PS9_EESM_S12_SN_SO_SP_EUlS12_E_NS1_11comp_targetILNS1_3genE3ELNS1_11target_archE908ELNS1_3gpuE7ELNS1_3repE0EEENS1_48merge_mergepath_partition_config_static_selectorELNS0_4arch9wavefront6targetE0EEEvSO_.private_seg_size, 0
	.set _ZN7rocprim17ROCPRIM_400000_NS6detail17trampoline_kernelINS0_14default_configENS1_38merge_sort_block_merge_config_selectorIjN6thrust23THRUST_200600_302600_NS5tupleIffNS6_9null_typeES8_S8_S8_S8_S8_S8_S8_EEEEZZNS1_27merge_sort_block_merge_implIS3_NS6_6detail15normal_iteratorINS6_10device_ptrIjEEEENSD_INSE_IS9_EEEEjNS1_19radix_merge_compareILb0ELb0EjNS0_19identity_decomposerEEEEE10hipError_tT0_T1_T2_jT3_P12ihipStream_tbPNSt15iterator_traitsISN_E10value_typeEPNST_ISO_E10value_typeEPSP_NS1_7vsmem_tEENKUlT_SN_SO_SP_E_clISG_PjSI_PS9_EESM_S12_SN_SO_SP_EUlS12_E_NS1_11comp_targetILNS1_3genE3ELNS1_11target_archE908ELNS1_3gpuE7ELNS1_3repE0EEENS1_48merge_mergepath_partition_config_static_selectorELNS0_4arch9wavefront6targetE0EEEvSO_.uses_vcc, 0
	.set _ZN7rocprim17ROCPRIM_400000_NS6detail17trampoline_kernelINS0_14default_configENS1_38merge_sort_block_merge_config_selectorIjN6thrust23THRUST_200600_302600_NS5tupleIffNS6_9null_typeES8_S8_S8_S8_S8_S8_S8_EEEEZZNS1_27merge_sort_block_merge_implIS3_NS6_6detail15normal_iteratorINS6_10device_ptrIjEEEENSD_INSE_IS9_EEEEjNS1_19radix_merge_compareILb0ELb0EjNS0_19identity_decomposerEEEEE10hipError_tT0_T1_T2_jT3_P12ihipStream_tbPNSt15iterator_traitsISN_E10value_typeEPNST_ISO_E10value_typeEPSP_NS1_7vsmem_tEENKUlT_SN_SO_SP_E_clISG_PjSI_PS9_EESM_S12_SN_SO_SP_EUlS12_E_NS1_11comp_targetILNS1_3genE3ELNS1_11target_archE908ELNS1_3gpuE7ELNS1_3repE0EEENS1_48merge_mergepath_partition_config_static_selectorELNS0_4arch9wavefront6targetE0EEEvSO_.uses_flat_scratch, 0
	.set _ZN7rocprim17ROCPRIM_400000_NS6detail17trampoline_kernelINS0_14default_configENS1_38merge_sort_block_merge_config_selectorIjN6thrust23THRUST_200600_302600_NS5tupleIffNS6_9null_typeES8_S8_S8_S8_S8_S8_S8_EEEEZZNS1_27merge_sort_block_merge_implIS3_NS6_6detail15normal_iteratorINS6_10device_ptrIjEEEENSD_INSE_IS9_EEEEjNS1_19radix_merge_compareILb0ELb0EjNS0_19identity_decomposerEEEEE10hipError_tT0_T1_T2_jT3_P12ihipStream_tbPNSt15iterator_traitsISN_E10value_typeEPNST_ISO_E10value_typeEPSP_NS1_7vsmem_tEENKUlT_SN_SO_SP_E_clISG_PjSI_PS9_EESM_S12_SN_SO_SP_EUlS12_E_NS1_11comp_targetILNS1_3genE3ELNS1_11target_archE908ELNS1_3gpuE7ELNS1_3repE0EEENS1_48merge_mergepath_partition_config_static_selectorELNS0_4arch9wavefront6targetE0EEEvSO_.has_dyn_sized_stack, 0
	.set _ZN7rocprim17ROCPRIM_400000_NS6detail17trampoline_kernelINS0_14default_configENS1_38merge_sort_block_merge_config_selectorIjN6thrust23THRUST_200600_302600_NS5tupleIffNS6_9null_typeES8_S8_S8_S8_S8_S8_S8_EEEEZZNS1_27merge_sort_block_merge_implIS3_NS6_6detail15normal_iteratorINS6_10device_ptrIjEEEENSD_INSE_IS9_EEEEjNS1_19radix_merge_compareILb0ELb0EjNS0_19identity_decomposerEEEEE10hipError_tT0_T1_T2_jT3_P12ihipStream_tbPNSt15iterator_traitsISN_E10value_typeEPNST_ISO_E10value_typeEPSP_NS1_7vsmem_tEENKUlT_SN_SO_SP_E_clISG_PjSI_PS9_EESM_S12_SN_SO_SP_EUlS12_E_NS1_11comp_targetILNS1_3genE3ELNS1_11target_archE908ELNS1_3gpuE7ELNS1_3repE0EEENS1_48merge_mergepath_partition_config_static_selectorELNS0_4arch9wavefront6targetE0EEEvSO_.has_recursion, 0
	.set _ZN7rocprim17ROCPRIM_400000_NS6detail17trampoline_kernelINS0_14default_configENS1_38merge_sort_block_merge_config_selectorIjN6thrust23THRUST_200600_302600_NS5tupleIffNS6_9null_typeES8_S8_S8_S8_S8_S8_S8_EEEEZZNS1_27merge_sort_block_merge_implIS3_NS6_6detail15normal_iteratorINS6_10device_ptrIjEEEENSD_INSE_IS9_EEEEjNS1_19radix_merge_compareILb0ELb0EjNS0_19identity_decomposerEEEEE10hipError_tT0_T1_T2_jT3_P12ihipStream_tbPNSt15iterator_traitsISN_E10value_typeEPNST_ISO_E10value_typeEPSP_NS1_7vsmem_tEENKUlT_SN_SO_SP_E_clISG_PjSI_PS9_EESM_S12_SN_SO_SP_EUlS12_E_NS1_11comp_targetILNS1_3genE3ELNS1_11target_archE908ELNS1_3gpuE7ELNS1_3repE0EEENS1_48merge_mergepath_partition_config_static_selectorELNS0_4arch9wavefront6targetE0EEEvSO_.has_indirect_call, 0
	.section	.AMDGPU.csdata,"",@progbits
; Kernel info:
; codeLenInByte = 0
; TotalNumSgprs: 0
; NumVgprs: 0
; ScratchSize: 0
; MemoryBound: 0
; FloatMode: 240
; IeeeMode: 1
; LDSByteSize: 0 bytes/workgroup (compile time only)
; SGPRBlocks: 0
; VGPRBlocks: 0
; NumSGPRsForWavesPerEU: 1
; NumVGPRsForWavesPerEU: 1
; NamedBarCnt: 0
; Occupancy: 16
; WaveLimiterHint : 0
; COMPUTE_PGM_RSRC2:SCRATCH_EN: 0
; COMPUTE_PGM_RSRC2:USER_SGPR: 2
; COMPUTE_PGM_RSRC2:TRAP_HANDLER: 0
; COMPUTE_PGM_RSRC2:TGID_X_EN: 1
; COMPUTE_PGM_RSRC2:TGID_Y_EN: 0
; COMPUTE_PGM_RSRC2:TGID_Z_EN: 0
; COMPUTE_PGM_RSRC2:TIDIG_COMP_CNT: 0
	.section	.text._ZN7rocprim17ROCPRIM_400000_NS6detail17trampoline_kernelINS0_14default_configENS1_38merge_sort_block_merge_config_selectorIjN6thrust23THRUST_200600_302600_NS5tupleIffNS6_9null_typeES8_S8_S8_S8_S8_S8_S8_EEEEZZNS1_27merge_sort_block_merge_implIS3_NS6_6detail15normal_iteratorINS6_10device_ptrIjEEEENSD_INSE_IS9_EEEEjNS1_19radix_merge_compareILb0ELb0EjNS0_19identity_decomposerEEEEE10hipError_tT0_T1_T2_jT3_P12ihipStream_tbPNSt15iterator_traitsISN_E10value_typeEPNST_ISO_E10value_typeEPSP_NS1_7vsmem_tEENKUlT_SN_SO_SP_E_clISG_PjSI_PS9_EESM_S12_SN_SO_SP_EUlS12_E_NS1_11comp_targetILNS1_3genE2ELNS1_11target_archE906ELNS1_3gpuE6ELNS1_3repE0EEENS1_48merge_mergepath_partition_config_static_selectorELNS0_4arch9wavefront6targetE0EEEvSO_,"axG",@progbits,_ZN7rocprim17ROCPRIM_400000_NS6detail17trampoline_kernelINS0_14default_configENS1_38merge_sort_block_merge_config_selectorIjN6thrust23THRUST_200600_302600_NS5tupleIffNS6_9null_typeES8_S8_S8_S8_S8_S8_S8_EEEEZZNS1_27merge_sort_block_merge_implIS3_NS6_6detail15normal_iteratorINS6_10device_ptrIjEEEENSD_INSE_IS9_EEEEjNS1_19radix_merge_compareILb0ELb0EjNS0_19identity_decomposerEEEEE10hipError_tT0_T1_T2_jT3_P12ihipStream_tbPNSt15iterator_traitsISN_E10value_typeEPNST_ISO_E10value_typeEPSP_NS1_7vsmem_tEENKUlT_SN_SO_SP_E_clISG_PjSI_PS9_EESM_S12_SN_SO_SP_EUlS12_E_NS1_11comp_targetILNS1_3genE2ELNS1_11target_archE906ELNS1_3gpuE6ELNS1_3repE0EEENS1_48merge_mergepath_partition_config_static_selectorELNS0_4arch9wavefront6targetE0EEEvSO_,comdat
	.protected	_ZN7rocprim17ROCPRIM_400000_NS6detail17trampoline_kernelINS0_14default_configENS1_38merge_sort_block_merge_config_selectorIjN6thrust23THRUST_200600_302600_NS5tupleIffNS6_9null_typeES8_S8_S8_S8_S8_S8_S8_EEEEZZNS1_27merge_sort_block_merge_implIS3_NS6_6detail15normal_iteratorINS6_10device_ptrIjEEEENSD_INSE_IS9_EEEEjNS1_19radix_merge_compareILb0ELb0EjNS0_19identity_decomposerEEEEE10hipError_tT0_T1_T2_jT3_P12ihipStream_tbPNSt15iterator_traitsISN_E10value_typeEPNST_ISO_E10value_typeEPSP_NS1_7vsmem_tEENKUlT_SN_SO_SP_E_clISG_PjSI_PS9_EESM_S12_SN_SO_SP_EUlS12_E_NS1_11comp_targetILNS1_3genE2ELNS1_11target_archE906ELNS1_3gpuE6ELNS1_3repE0EEENS1_48merge_mergepath_partition_config_static_selectorELNS0_4arch9wavefront6targetE0EEEvSO_ ; -- Begin function _ZN7rocprim17ROCPRIM_400000_NS6detail17trampoline_kernelINS0_14default_configENS1_38merge_sort_block_merge_config_selectorIjN6thrust23THRUST_200600_302600_NS5tupleIffNS6_9null_typeES8_S8_S8_S8_S8_S8_S8_EEEEZZNS1_27merge_sort_block_merge_implIS3_NS6_6detail15normal_iteratorINS6_10device_ptrIjEEEENSD_INSE_IS9_EEEEjNS1_19radix_merge_compareILb0ELb0EjNS0_19identity_decomposerEEEEE10hipError_tT0_T1_T2_jT3_P12ihipStream_tbPNSt15iterator_traitsISN_E10value_typeEPNST_ISO_E10value_typeEPSP_NS1_7vsmem_tEENKUlT_SN_SO_SP_E_clISG_PjSI_PS9_EESM_S12_SN_SO_SP_EUlS12_E_NS1_11comp_targetILNS1_3genE2ELNS1_11target_archE906ELNS1_3gpuE6ELNS1_3repE0EEENS1_48merge_mergepath_partition_config_static_selectorELNS0_4arch9wavefront6targetE0EEEvSO_
	.globl	_ZN7rocprim17ROCPRIM_400000_NS6detail17trampoline_kernelINS0_14default_configENS1_38merge_sort_block_merge_config_selectorIjN6thrust23THRUST_200600_302600_NS5tupleIffNS6_9null_typeES8_S8_S8_S8_S8_S8_S8_EEEEZZNS1_27merge_sort_block_merge_implIS3_NS6_6detail15normal_iteratorINS6_10device_ptrIjEEEENSD_INSE_IS9_EEEEjNS1_19radix_merge_compareILb0ELb0EjNS0_19identity_decomposerEEEEE10hipError_tT0_T1_T2_jT3_P12ihipStream_tbPNSt15iterator_traitsISN_E10value_typeEPNST_ISO_E10value_typeEPSP_NS1_7vsmem_tEENKUlT_SN_SO_SP_E_clISG_PjSI_PS9_EESM_S12_SN_SO_SP_EUlS12_E_NS1_11comp_targetILNS1_3genE2ELNS1_11target_archE906ELNS1_3gpuE6ELNS1_3repE0EEENS1_48merge_mergepath_partition_config_static_selectorELNS0_4arch9wavefront6targetE0EEEvSO_
	.p2align	8
	.type	_ZN7rocprim17ROCPRIM_400000_NS6detail17trampoline_kernelINS0_14default_configENS1_38merge_sort_block_merge_config_selectorIjN6thrust23THRUST_200600_302600_NS5tupleIffNS6_9null_typeES8_S8_S8_S8_S8_S8_S8_EEEEZZNS1_27merge_sort_block_merge_implIS3_NS6_6detail15normal_iteratorINS6_10device_ptrIjEEEENSD_INSE_IS9_EEEEjNS1_19radix_merge_compareILb0ELb0EjNS0_19identity_decomposerEEEEE10hipError_tT0_T1_T2_jT3_P12ihipStream_tbPNSt15iterator_traitsISN_E10value_typeEPNST_ISO_E10value_typeEPSP_NS1_7vsmem_tEENKUlT_SN_SO_SP_E_clISG_PjSI_PS9_EESM_S12_SN_SO_SP_EUlS12_E_NS1_11comp_targetILNS1_3genE2ELNS1_11target_archE906ELNS1_3gpuE6ELNS1_3repE0EEENS1_48merge_mergepath_partition_config_static_selectorELNS0_4arch9wavefront6targetE0EEEvSO_,@function
_ZN7rocprim17ROCPRIM_400000_NS6detail17trampoline_kernelINS0_14default_configENS1_38merge_sort_block_merge_config_selectorIjN6thrust23THRUST_200600_302600_NS5tupleIffNS6_9null_typeES8_S8_S8_S8_S8_S8_S8_EEEEZZNS1_27merge_sort_block_merge_implIS3_NS6_6detail15normal_iteratorINS6_10device_ptrIjEEEENSD_INSE_IS9_EEEEjNS1_19radix_merge_compareILb0ELb0EjNS0_19identity_decomposerEEEEE10hipError_tT0_T1_T2_jT3_P12ihipStream_tbPNSt15iterator_traitsISN_E10value_typeEPNST_ISO_E10value_typeEPSP_NS1_7vsmem_tEENKUlT_SN_SO_SP_E_clISG_PjSI_PS9_EESM_S12_SN_SO_SP_EUlS12_E_NS1_11comp_targetILNS1_3genE2ELNS1_11target_archE906ELNS1_3gpuE6ELNS1_3repE0EEENS1_48merge_mergepath_partition_config_static_selectorELNS0_4arch9wavefront6targetE0EEEvSO_: ; @_ZN7rocprim17ROCPRIM_400000_NS6detail17trampoline_kernelINS0_14default_configENS1_38merge_sort_block_merge_config_selectorIjN6thrust23THRUST_200600_302600_NS5tupleIffNS6_9null_typeES8_S8_S8_S8_S8_S8_S8_EEEEZZNS1_27merge_sort_block_merge_implIS3_NS6_6detail15normal_iteratorINS6_10device_ptrIjEEEENSD_INSE_IS9_EEEEjNS1_19radix_merge_compareILb0ELb0EjNS0_19identity_decomposerEEEEE10hipError_tT0_T1_T2_jT3_P12ihipStream_tbPNSt15iterator_traitsISN_E10value_typeEPNST_ISO_E10value_typeEPSP_NS1_7vsmem_tEENKUlT_SN_SO_SP_E_clISG_PjSI_PS9_EESM_S12_SN_SO_SP_EUlS12_E_NS1_11comp_targetILNS1_3genE2ELNS1_11target_archE906ELNS1_3gpuE6ELNS1_3repE0EEENS1_48merge_mergepath_partition_config_static_selectorELNS0_4arch9wavefront6targetE0EEEvSO_
; %bb.0:
	.section	.rodata,"a",@progbits
	.p2align	6, 0x0
	.amdhsa_kernel _ZN7rocprim17ROCPRIM_400000_NS6detail17trampoline_kernelINS0_14default_configENS1_38merge_sort_block_merge_config_selectorIjN6thrust23THRUST_200600_302600_NS5tupleIffNS6_9null_typeES8_S8_S8_S8_S8_S8_S8_EEEEZZNS1_27merge_sort_block_merge_implIS3_NS6_6detail15normal_iteratorINS6_10device_ptrIjEEEENSD_INSE_IS9_EEEEjNS1_19radix_merge_compareILb0ELb0EjNS0_19identity_decomposerEEEEE10hipError_tT0_T1_T2_jT3_P12ihipStream_tbPNSt15iterator_traitsISN_E10value_typeEPNST_ISO_E10value_typeEPSP_NS1_7vsmem_tEENKUlT_SN_SO_SP_E_clISG_PjSI_PS9_EESM_S12_SN_SO_SP_EUlS12_E_NS1_11comp_targetILNS1_3genE2ELNS1_11target_archE906ELNS1_3gpuE6ELNS1_3repE0EEENS1_48merge_mergepath_partition_config_static_selectorELNS0_4arch9wavefront6targetE0EEEvSO_
		.amdhsa_group_segment_fixed_size 0
		.amdhsa_private_segment_fixed_size 0
		.amdhsa_kernarg_size 40
		.amdhsa_user_sgpr_count 2
		.amdhsa_user_sgpr_dispatch_ptr 0
		.amdhsa_user_sgpr_queue_ptr 0
		.amdhsa_user_sgpr_kernarg_segment_ptr 1
		.amdhsa_user_sgpr_dispatch_id 0
		.amdhsa_user_sgpr_kernarg_preload_length 0
		.amdhsa_user_sgpr_kernarg_preload_offset 0
		.amdhsa_user_sgpr_private_segment_size 0
		.amdhsa_wavefront_size32 1
		.amdhsa_uses_dynamic_stack 0
		.amdhsa_enable_private_segment 0
		.amdhsa_system_sgpr_workgroup_id_x 1
		.amdhsa_system_sgpr_workgroup_id_y 0
		.amdhsa_system_sgpr_workgroup_id_z 0
		.amdhsa_system_sgpr_workgroup_info 0
		.amdhsa_system_vgpr_workitem_id 0
		.amdhsa_next_free_vgpr 1
		.amdhsa_next_free_sgpr 1
		.amdhsa_named_barrier_count 0
		.amdhsa_reserve_vcc 0
		.amdhsa_float_round_mode_32 0
		.amdhsa_float_round_mode_16_64 0
		.amdhsa_float_denorm_mode_32 3
		.amdhsa_float_denorm_mode_16_64 3
		.amdhsa_fp16_overflow 0
		.amdhsa_memory_ordered 1
		.amdhsa_forward_progress 1
		.amdhsa_inst_pref_size 0
		.amdhsa_round_robin_scheduling 0
		.amdhsa_exception_fp_ieee_invalid_op 0
		.amdhsa_exception_fp_denorm_src 0
		.amdhsa_exception_fp_ieee_div_zero 0
		.amdhsa_exception_fp_ieee_overflow 0
		.amdhsa_exception_fp_ieee_underflow 0
		.amdhsa_exception_fp_ieee_inexact 0
		.amdhsa_exception_int_div_zero 0
	.end_amdhsa_kernel
	.section	.text._ZN7rocprim17ROCPRIM_400000_NS6detail17trampoline_kernelINS0_14default_configENS1_38merge_sort_block_merge_config_selectorIjN6thrust23THRUST_200600_302600_NS5tupleIffNS6_9null_typeES8_S8_S8_S8_S8_S8_S8_EEEEZZNS1_27merge_sort_block_merge_implIS3_NS6_6detail15normal_iteratorINS6_10device_ptrIjEEEENSD_INSE_IS9_EEEEjNS1_19radix_merge_compareILb0ELb0EjNS0_19identity_decomposerEEEEE10hipError_tT0_T1_T2_jT3_P12ihipStream_tbPNSt15iterator_traitsISN_E10value_typeEPNST_ISO_E10value_typeEPSP_NS1_7vsmem_tEENKUlT_SN_SO_SP_E_clISG_PjSI_PS9_EESM_S12_SN_SO_SP_EUlS12_E_NS1_11comp_targetILNS1_3genE2ELNS1_11target_archE906ELNS1_3gpuE6ELNS1_3repE0EEENS1_48merge_mergepath_partition_config_static_selectorELNS0_4arch9wavefront6targetE0EEEvSO_,"axG",@progbits,_ZN7rocprim17ROCPRIM_400000_NS6detail17trampoline_kernelINS0_14default_configENS1_38merge_sort_block_merge_config_selectorIjN6thrust23THRUST_200600_302600_NS5tupleIffNS6_9null_typeES8_S8_S8_S8_S8_S8_S8_EEEEZZNS1_27merge_sort_block_merge_implIS3_NS6_6detail15normal_iteratorINS6_10device_ptrIjEEEENSD_INSE_IS9_EEEEjNS1_19radix_merge_compareILb0ELb0EjNS0_19identity_decomposerEEEEE10hipError_tT0_T1_T2_jT3_P12ihipStream_tbPNSt15iterator_traitsISN_E10value_typeEPNST_ISO_E10value_typeEPSP_NS1_7vsmem_tEENKUlT_SN_SO_SP_E_clISG_PjSI_PS9_EESM_S12_SN_SO_SP_EUlS12_E_NS1_11comp_targetILNS1_3genE2ELNS1_11target_archE906ELNS1_3gpuE6ELNS1_3repE0EEENS1_48merge_mergepath_partition_config_static_selectorELNS0_4arch9wavefront6targetE0EEEvSO_,comdat
.Lfunc_end54:
	.size	_ZN7rocprim17ROCPRIM_400000_NS6detail17trampoline_kernelINS0_14default_configENS1_38merge_sort_block_merge_config_selectorIjN6thrust23THRUST_200600_302600_NS5tupleIffNS6_9null_typeES8_S8_S8_S8_S8_S8_S8_EEEEZZNS1_27merge_sort_block_merge_implIS3_NS6_6detail15normal_iteratorINS6_10device_ptrIjEEEENSD_INSE_IS9_EEEEjNS1_19radix_merge_compareILb0ELb0EjNS0_19identity_decomposerEEEEE10hipError_tT0_T1_T2_jT3_P12ihipStream_tbPNSt15iterator_traitsISN_E10value_typeEPNST_ISO_E10value_typeEPSP_NS1_7vsmem_tEENKUlT_SN_SO_SP_E_clISG_PjSI_PS9_EESM_S12_SN_SO_SP_EUlS12_E_NS1_11comp_targetILNS1_3genE2ELNS1_11target_archE906ELNS1_3gpuE6ELNS1_3repE0EEENS1_48merge_mergepath_partition_config_static_selectorELNS0_4arch9wavefront6targetE0EEEvSO_, .Lfunc_end54-_ZN7rocprim17ROCPRIM_400000_NS6detail17trampoline_kernelINS0_14default_configENS1_38merge_sort_block_merge_config_selectorIjN6thrust23THRUST_200600_302600_NS5tupleIffNS6_9null_typeES8_S8_S8_S8_S8_S8_S8_EEEEZZNS1_27merge_sort_block_merge_implIS3_NS6_6detail15normal_iteratorINS6_10device_ptrIjEEEENSD_INSE_IS9_EEEEjNS1_19radix_merge_compareILb0ELb0EjNS0_19identity_decomposerEEEEE10hipError_tT0_T1_T2_jT3_P12ihipStream_tbPNSt15iterator_traitsISN_E10value_typeEPNST_ISO_E10value_typeEPSP_NS1_7vsmem_tEENKUlT_SN_SO_SP_E_clISG_PjSI_PS9_EESM_S12_SN_SO_SP_EUlS12_E_NS1_11comp_targetILNS1_3genE2ELNS1_11target_archE906ELNS1_3gpuE6ELNS1_3repE0EEENS1_48merge_mergepath_partition_config_static_selectorELNS0_4arch9wavefront6targetE0EEEvSO_
                                        ; -- End function
	.set _ZN7rocprim17ROCPRIM_400000_NS6detail17trampoline_kernelINS0_14default_configENS1_38merge_sort_block_merge_config_selectorIjN6thrust23THRUST_200600_302600_NS5tupleIffNS6_9null_typeES8_S8_S8_S8_S8_S8_S8_EEEEZZNS1_27merge_sort_block_merge_implIS3_NS6_6detail15normal_iteratorINS6_10device_ptrIjEEEENSD_INSE_IS9_EEEEjNS1_19radix_merge_compareILb0ELb0EjNS0_19identity_decomposerEEEEE10hipError_tT0_T1_T2_jT3_P12ihipStream_tbPNSt15iterator_traitsISN_E10value_typeEPNST_ISO_E10value_typeEPSP_NS1_7vsmem_tEENKUlT_SN_SO_SP_E_clISG_PjSI_PS9_EESM_S12_SN_SO_SP_EUlS12_E_NS1_11comp_targetILNS1_3genE2ELNS1_11target_archE906ELNS1_3gpuE6ELNS1_3repE0EEENS1_48merge_mergepath_partition_config_static_selectorELNS0_4arch9wavefront6targetE0EEEvSO_.num_vgpr, 0
	.set _ZN7rocprim17ROCPRIM_400000_NS6detail17trampoline_kernelINS0_14default_configENS1_38merge_sort_block_merge_config_selectorIjN6thrust23THRUST_200600_302600_NS5tupleIffNS6_9null_typeES8_S8_S8_S8_S8_S8_S8_EEEEZZNS1_27merge_sort_block_merge_implIS3_NS6_6detail15normal_iteratorINS6_10device_ptrIjEEEENSD_INSE_IS9_EEEEjNS1_19radix_merge_compareILb0ELb0EjNS0_19identity_decomposerEEEEE10hipError_tT0_T1_T2_jT3_P12ihipStream_tbPNSt15iterator_traitsISN_E10value_typeEPNST_ISO_E10value_typeEPSP_NS1_7vsmem_tEENKUlT_SN_SO_SP_E_clISG_PjSI_PS9_EESM_S12_SN_SO_SP_EUlS12_E_NS1_11comp_targetILNS1_3genE2ELNS1_11target_archE906ELNS1_3gpuE6ELNS1_3repE0EEENS1_48merge_mergepath_partition_config_static_selectorELNS0_4arch9wavefront6targetE0EEEvSO_.num_agpr, 0
	.set _ZN7rocprim17ROCPRIM_400000_NS6detail17trampoline_kernelINS0_14default_configENS1_38merge_sort_block_merge_config_selectorIjN6thrust23THRUST_200600_302600_NS5tupleIffNS6_9null_typeES8_S8_S8_S8_S8_S8_S8_EEEEZZNS1_27merge_sort_block_merge_implIS3_NS6_6detail15normal_iteratorINS6_10device_ptrIjEEEENSD_INSE_IS9_EEEEjNS1_19radix_merge_compareILb0ELb0EjNS0_19identity_decomposerEEEEE10hipError_tT0_T1_T2_jT3_P12ihipStream_tbPNSt15iterator_traitsISN_E10value_typeEPNST_ISO_E10value_typeEPSP_NS1_7vsmem_tEENKUlT_SN_SO_SP_E_clISG_PjSI_PS9_EESM_S12_SN_SO_SP_EUlS12_E_NS1_11comp_targetILNS1_3genE2ELNS1_11target_archE906ELNS1_3gpuE6ELNS1_3repE0EEENS1_48merge_mergepath_partition_config_static_selectorELNS0_4arch9wavefront6targetE0EEEvSO_.numbered_sgpr, 0
	.set _ZN7rocprim17ROCPRIM_400000_NS6detail17trampoline_kernelINS0_14default_configENS1_38merge_sort_block_merge_config_selectorIjN6thrust23THRUST_200600_302600_NS5tupleIffNS6_9null_typeES8_S8_S8_S8_S8_S8_S8_EEEEZZNS1_27merge_sort_block_merge_implIS3_NS6_6detail15normal_iteratorINS6_10device_ptrIjEEEENSD_INSE_IS9_EEEEjNS1_19radix_merge_compareILb0ELb0EjNS0_19identity_decomposerEEEEE10hipError_tT0_T1_T2_jT3_P12ihipStream_tbPNSt15iterator_traitsISN_E10value_typeEPNST_ISO_E10value_typeEPSP_NS1_7vsmem_tEENKUlT_SN_SO_SP_E_clISG_PjSI_PS9_EESM_S12_SN_SO_SP_EUlS12_E_NS1_11comp_targetILNS1_3genE2ELNS1_11target_archE906ELNS1_3gpuE6ELNS1_3repE0EEENS1_48merge_mergepath_partition_config_static_selectorELNS0_4arch9wavefront6targetE0EEEvSO_.num_named_barrier, 0
	.set _ZN7rocprim17ROCPRIM_400000_NS6detail17trampoline_kernelINS0_14default_configENS1_38merge_sort_block_merge_config_selectorIjN6thrust23THRUST_200600_302600_NS5tupleIffNS6_9null_typeES8_S8_S8_S8_S8_S8_S8_EEEEZZNS1_27merge_sort_block_merge_implIS3_NS6_6detail15normal_iteratorINS6_10device_ptrIjEEEENSD_INSE_IS9_EEEEjNS1_19radix_merge_compareILb0ELb0EjNS0_19identity_decomposerEEEEE10hipError_tT0_T1_T2_jT3_P12ihipStream_tbPNSt15iterator_traitsISN_E10value_typeEPNST_ISO_E10value_typeEPSP_NS1_7vsmem_tEENKUlT_SN_SO_SP_E_clISG_PjSI_PS9_EESM_S12_SN_SO_SP_EUlS12_E_NS1_11comp_targetILNS1_3genE2ELNS1_11target_archE906ELNS1_3gpuE6ELNS1_3repE0EEENS1_48merge_mergepath_partition_config_static_selectorELNS0_4arch9wavefront6targetE0EEEvSO_.private_seg_size, 0
	.set _ZN7rocprim17ROCPRIM_400000_NS6detail17trampoline_kernelINS0_14default_configENS1_38merge_sort_block_merge_config_selectorIjN6thrust23THRUST_200600_302600_NS5tupleIffNS6_9null_typeES8_S8_S8_S8_S8_S8_S8_EEEEZZNS1_27merge_sort_block_merge_implIS3_NS6_6detail15normal_iteratorINS6_10device_ptrIjEEEENSD_INSE_IS9_EEEEjNS1_19radix_merge_compareILb0ELb0EjNS0_19identity_decomposerEEEEE10hipError_tT0_T1_T2_jT3_P12ihipStream_tbPNSt15iterator_traitsISN_E10value_typeEPNST_ISO_E10value_typeEPSP_NS1_7vsmem_tEENKUlT_SN_SO_SP_E_clISG_PjSI_PS9_EESM_S12_SN_SO_SP_EUlS12_E_NS1_11comp_targetILNS1_3genE2ELNS1_11target_archE906ELNS1_3gpuE6ELNS1_3repE0EEENS1_48merge_mergepath_partition_config_static_selectorELNS0_4arch9wavefront6targetE0EEEvSO_.uses_vcc, 0
	.set _ZN7rocprim17ROCPRIM_400000_NS6detail17trampoline_kernelINS0_14default_configENS1_38merge_sort_block_merge_config_selectorIjN6thrust23THRUST_200600_302600_NS5tupleIffNS6_9null_typeES8_S8_S8_S8_S8_S8_S8_EEEEZZNS1_27merge_sort_block_merge_implIS3_NS6_6detail15normal_iteratorINS6_10device_ptrIjEEEENSD_INSE_IS9_EEEEjNS1_19radix_merge_compareILb0ELb0EjNS0_19identity_decomposerEEEEE10hipError_tT0_T1_T2_jT3_P12ihipStream_tbPNSt15iterator_traitsISN_E10value_typeEPNST_ISO_E10value_typeEPSP_NS1_7vsmem_tEENKUlT_SN_SO_SP_E_clISG_PjSI_PS9_EESM_S12_SN_SO_SP_EUlS12_E_NS1_11comp_targetILNS1_3genE2ELNS1_11target_archE906ELNS1_3gpuE6ELNS1_3repE0EEENS1_48merge_mergepath_partition_config_static_selectorELNS0_4arch9wavefront6targetE0EEEvSO_.uses_flat_scratch, 0
	.set _ZN7rocprim17ROCPRIM_400000_NS6detail17trampoline_kernelINS0_14default_configENS1_38merge_sort_block_merge_config_selectorIjN6thrust23THRUST_200600_302600_NS5tupleIffNS6_9null_typeES8_S8_S8_S8_S8_S8_S8_EEEEZZNS1_27merge_sort_block_merge_implIS3_NS6_6detail15normal_iteratorINS6_10device_ptrIjEEEENSD_INSE_IS9_EEEEjNS1_19radix_merge_compareILb0ELb0EjNS0_19identity_decomposerEEEEE10hipError_tT0_T1_T2_jT3_P12ihipStream_tbPNSt15iterator_traitsISN_E10value_typeEPNST_ISO_E10value_typeEPSP_NS1_7vsmem_tEENKUlT_SN_SO_SP_E_clISG_PjSI_PS9_EESM_S12_SN_SO_SP_EUlS12_E_NS1_11comp_targetILNS1_3genE2ELNS1_11target_archE906ELNS1_3gpuE6ELNS1_3repE0EEENS1_48merge_mergepath_partition_config_static_selectorELNS0_4arch9wavefront6targetE0EEEvSO_.has_dyn_sized_stack, 0
	.set _ZN7rocprim17ROCPRIM_400000_NS6detail17trampoline_kernelINS0_14default_configENS1_38merge_sort_block_merge_config_selectorIjN6thrust23THRUST_200600_302600_NS5tupleIffNS6_9null_typeES8_S8_S8_S8_S8_S8_S8_EEEEZZNS1_27merge_sort_block_merge_implIS3_NS6_6detail15normal_iteratorINS6_10device_ptrIjEEEENSD_INSE_IS9_EEEEjNS1_19radix_merge_compareILb0ELb0EjNS0_19identity_decomposerEEEEE10hipError_tT0_T1_T2_jT3_P12ihipStream_tbPNSt15iterator_traitsISN_E10value_typeEPNST_ISO_E10value_typeEPSP_NS1_7vsmem_tEENKUlT_SN_SO_SP_E_clISG_PjSI_PS9_EESM_S12_SN_SO_SP_EUlS12_E_NS1_11comp_targetILNS1_3genE2ELNS1_11target_archE906ELNS1_3gpuE6ELNS1_3repE0EEENS1_48merge_mergepath_partition_config_static_selectorELNS0_4arch9wavefront6targetE0EEEvSO_.has_recursion, 0
	.set _ZN7rocprim17ROCPRIM_400000_NS6detail17trampoline_kernelINS0_14default_configENS1_38merge_sort_block_merge_config_selectorIjN6thrust23THRUST_200600_302600_NS5tupleIffNS6_9null_typeES8_S8_S8_S8_S8_S8_S8_EEEEZZNS1_27merge_sort_block_merge_implIS3_NS6_6detail15normal_iteratorINS6_10device_ptrIjEEEENSD_INSE_IS9_EEEEjNS1_19radix_merge_compareILb0ELb0EjNS0_19identity_decomposerEEEEE10hipError_tT0_T1_T2_jT3_P12ihipStream_tbPNSt15iterator_traitsISN_E10value_typeEPNST_ISO_E10value_typeEPSP_NS1_7vsmem_tEENKUlT_SN_SO_SP_E_clISG_PjSI_PS9_EESM_S12_SN_SO_SP_EUlS12_E_NS1_11comp_targetILNS1_3genE2ELNS1_11target_archE906ELNS1_3gpuE6ELNS1_3repE0EEENS1_48merge_mergepath_partition_config_static_selectorELNS0_4arch9wavefront6targetE0EEEvSO_.has_indirect_call, 0
	.section	.AMDGPU.csdata,"",@progbits
; Kernel info:
; codeLenInByte = 0
; TotalNumSgprs: 0
; NumVgprs: 0
; ScratchSize: 0
; MemoryBound: 0
; FloatMode: 240
; IeeeMode: 1
; LDSByteSize: 0 bytes/workgroup (compile time only)
; SGPRBlocks: 0
; VGPRBlocks: 0
; NumSGPRsForWavesPerEU: 1
; NumVGPRsForWavesPerEU: 1
; NamedBarCnt: 0
; Occupancy: 16
; WaveLimiterHint : 0
; COMPUTE_PGM_RSRC2:SCRATCH_EN: 0
; COMPUTE_PGM_RSRC2:USER_SGPR: 2
; COMPUTE_PGM_RSRC2:TRAP_HANDLER: 0
; COMPUTE_PGM_RSRC2:TGID_X_EN: 1
; COMPUTE_PGM_RSRC2:TGID_Y_EN: 0
; COMPUTE_PGM_RSRC2:TGID_Z_EN: 0
; COMPUTE_PGM_RSRC2:TIDIG_COMP_CNT: 0
	.section	.text._ZN7rocprim17ROCPRIM_400000_NS6detail17trampoline_kernelINS0_14default_configENS1_38merge_sort_block_merge_config_selectorIjN6thrust23THRUST_200600_302600_NS5tupleIffNS6_9null_typeES8_S8_S8_S8_S8_S8_S8_EEEEZZNS1_27merge_sort_block_merge_implIS3_NS6_6detail15normal_iteratorINS6_10device_ptrIjEEEENSD_INSE_IS9_EEEEjNS1_19radix_merge_compareILb0ELb0EjNS0_19identity_decomposerEEEEE10hipError_tT0_T1_T2_jT3_P12ihipStream_tbPNSt15iterator_traitsISN_E10value_typeEPNST_ISO_E10value_typeEPSP_NS1_7vsmem_tEENKUlT_SN_SO_SP_E_clISG_PjSI_PS9_EESM_S12_SN_SO_SP_EUlS12_E_NS1_11comp_targetILNS1_3genE9ELNS1_11target_archE1100ELNS1_3gpuE3ELNS1_3repE0EEENS1_48merge_mergepath_partition_config_static_selectorELNS0_4arch9wavefront6targetE0EEEvSO_,"axG",@progbits,_ZN7rocprim17ROCPRIM_400000_NS6detail17trampoline_kernelINS0_14default_configENS1_38merge_sort_block_merge_config_selectorIjN6thrust23THRUST_200600_302600_NS5tupleIffNS6_9null_typeES8_S8_S8_S8_S8_S8_S8_EEEEZZNS1_27merge_sort_block_merge_implIS3_NS6_6detail15normal_iteratorINS6_10device_ptrIjEEEENSD_INSE_IS9_EEEEjNS1_19radix_merge_compareILb0ELb0EjNS0_19identity_decomposerEEEEE10hipError_tT0_T1_T2_jT3_P12ihipStream_tbPNSt15iterator_traitsISN_E10value_typeEPNST_ISO_E10value_typeEPSP_NS1_7vsmem_tEENKUlT_SN_SO_SP_E_clISG_PjSI_PS9_EESM_S12_SN_SO_SP_EUlS12_E_NS1_11comp_targetILNS1_3genE9ELNS1_11target_archE1100ELNS1_3gpuE3ELNS1_3repE0EEENS1_48merge_mergepath_partition_config_static_selectorELNS0_4arch9wavefront6targetE0EEEvSO_,comdat
	.protected	_ZN7rocprim17ROCPRIM_400000_NS6detail17trampoline_kernelINS0_14default_configENS1_38merge_sort_block_merge_config_selectorIjN6thrust23THRUST_200600_302600_NS5tupleIffNS6_9null_typeES8_S8_S8_S8_S8_S8_S8_EEEEZZNS1_27merge_sort_block_merge_implIS3_NS6_6detail15normal_iteratorINS6_10device_ptrIjEEEENSD_INSE_IS9_EEEEjNS1_19radix_merge_compareILb0ELb0EjNS0_19identity_decomposerEEEEE10hipError_tT0_T1_T2_jT3_P12ihipStream_tbPNSt15iterator_traitsISN_E10value_typeEPNST_ISO_E10value_typeEPSP_NS1_7vsmem_tEENKUlT_SN_SO_SP_E_clISG_PjSI_PS9_EESM_S12_SN_SO_SP_EUlS12_E_NS1_11comp_targetILNS1_3genE9ELNS1_11target_archE1100ELNS1_3gpuE3ELNS1_3repE0EEENS1_48merge_mergepath_partition_config_static_selectorELNS0_4arch9wavefront6targetE0EEEvSO_ ; -- Begin function _ZN7rocprim17ROCPRIM_400000_NS6detail17trampoline_kernelINS0_14default_configENS1_38merge_sort_block_merge_config_selectorIjN6thrust23THRUST_200600_302600_NS5tupleIffNS6_9null_typeES8_S8_S8_S8_S8_S8_S8_EEEEZZNS1_27merge_sort_block_merge_implIS3_NS6_6detail15normal_iteratorINS6_10device_ptrIjEEEENSD_INSE_IS9_EEEEjNS1_19radix_merge_compareILb0ELb0EjNS0_19identity_decomposerEEEEE10hipError_tT0_T1_T2_jT3_P12ihipStream_tbPNSt15iterator_traitsISN_E10value_typeEPNST_ISO_E10value_typeEPSP_NS1_7vsmem_tEENKUlT_SN_SO_SP_E_clISG_PjSI_PS9_EESM_S12_SN_SO_SP_EUlS12_E_NS1_11comp_targetILNS1_3genE9ELNS1_11target_archE1100ELNS1_3gpuE3ELNS1_3repE0EEENS1_48merge_mergepath_partition_config_static_selectorELNS0_4arch9wavefront6targetE0EEEvSO_
	.globl	_ZN7rocprim17ROCPRIM_400000_NS6detail17trampoline_kernelINS0_14default_configENS1_38merge_sort_block_merge_config_selectorIjN6thrust23THRUST_200600_302600_NS5tupleIffNS6_9null_typeES8_S8_S8_S8_S8_S8_S8_EEEEZZNS1_27merge_sort_block_merge_implIS3_NS6_6detail15normal_iteratorINS6_10device_ptrIjEEEENSD_INSE_IS9_EEEEjNS1_19radix_merge_compareILb0ELb0EjNS0_19identity_decomposerEEEEE10hipError_tT0_T1_T2_jT3_P12ihipStream_tbPNSt15iterator_traitsISN_E10value_typeEPNST_ISO_E10value_typeEPSP_NS1_7vsmem_tEENKUlT_SN_SO_SP_E_clISG_PjSI_PS9_EESM_S12_SN_SO_SP_EUlS12_E_NS1_11comp_targetILNS1_3genE9ELNS1_11target_archE1100ELNS1_3gpuE3ELNS1_3repE0EEENS1_48merge_mergepath_partition_config_static_selectorELNS0_4arch9wavefront6targetE0EEEvSO_
	.p2align	8
	.type	_ZN7rocprim17ROCPRIM_400000_NS6detail17trampoline_kernelINS0_14default_configENS1_38merge_sort_block_merge_config_selectorIjN6thrust23THRUST_200600_302600_NS5tupleIffNS6_9null_typeES8_S8_S8_S8_S8_S8_S8_EEEEZZNS1_27merge_sort_block_merge_implIS3_NS6_6detail15normal_iteratorINS6_10device_ptrIjEEEENSD_INSE_IS9_EEEEjNS1_19radix_merge_compareILb0ELb0EjNS0_19identity_decomposerEEEEE10hipError_tT0_T1_T2_jT3_P12ihipStream_tbPNSt15iterator_traitsISN_E10value_typeEPNST_ISO_E10value_typeEPSP_NS1_7vsmem_tEENKUlT_SN_SO_SP_E_clISG_PjSI_PS9_EESM_S12_SN_SO_SP_EUlS12_E_NS1_11comp_targetILNS1_3genE9ELNS1_11target_archE1100ELNS1_3gpuE3ELNS1_3repE0EEENS1_48merge_mergepath_partition_config_static_selectorELNS0_4arch9wavefront6targetE0EEEvSO_,@function
_ZN7rocprim17ROCPRIM_400000_NS6detail17trampoline_kernelINS0_14default_configENS1_38merge_sort_block_merge_config_selectorIjN6thrust23THRUST_200600_302600_NS5tupleIffNS6_9null_typeES8_S8_S8_S8_S8_S8_S8_EEEEZZNS1_27merge_sort_block_merge_implIS3_NS6_6detail15normal_iteratorINS6_10device_ptrIjEEEENSD_INSE_IS9_EEEEjNS1_19radix_merge_compareILb0ELb0EjNS0_19identity_decomposerEEEEE10hipError_tT0_T1_T2_jT3_P12ihipStream_tbPNSt15iterator_traitsISN_E10value_typeEPNST_ISO_E10value_typeEPSP_NS1_7vsmem_tEENKUlT_SN_SO_SP_E_clISG_PjSI_PS9_EESM_S12_SN_SO_SP_EUlS12_E_NS1_11comp_targetILNS1_3genE9ELNS1_11target_archE1100ELNS1_3gpuE3ELNS1_3repE0EEENS1_48merge_mergepath_partition_config_static_selectorELNS0_4arch9wavefront6targetE0EEEvSO_: ; @_ZN7rocprim17ROCPRIM_400000_NS6detail17trampoline_kernelINS0_14default_configENS1_38merge_sort_block_merge_config_selectorIjN6thrust23THRUST_200600_302600_NS5tupleIffNS6_9null_typeES8_S8_S8_S8_S8_S8_S8_EEEEZZNS1_27merge_sort_block_merge_implIS3_NS6_6detail15normal_iteratorINS6_10device_ptrIjEEEENSD_INSE_IS9_EEEEjNS1_19radix_merge_compareILb0ELb0EjNS0_19identity_decomposerEEEEE10hipError_tT0_T1_T2_jT3_P12ihipStream_tbPNSt15iterator_traitsISN_E10value_typeEPNST_ISO_E10value_typeEPSP_NS1_7vsmem_tEENKUlT_SN_SO_SP_E_clISG_PjSI_PS9_EESM_S12_SN_SO_SP_EUlS12_E_NS1_11comp_targetILNS1_3genE9ELNS1_11target_archE1100ELNS1_3gpuE3ELNS1_3repE0EEENS1_48merge_mergepath_partition_config_static_selectorELNS0_4arch9wavefront6targetE0EEEvSO_
; %bb.0:
	.section	.rodata,"a",@progbits
	.p2align	6, 0x0
	.amdhsa_kernel _ZN7rocprim17ROCPRIM_400000_NS6detail17trampoline_kernelINS0_14default_configENS1_38merge_sort_block_merge_config_selectorIjN6thrust23THRUST_200600_302600_NS5tupleIffNS6_9null_typeES8_S8_S8_S8_S8_S8_S8_EEEEZZNS1_27merge_sort_block_merge_implIS3_NS6_6detail15normal_iteratorINS6_10device_ptrIjEEEENSD_INSE_IS9_EEEEjNS1_19radix_merge_compareILb0ELb0EjNS0_19identity_decomposerEEEEE10hipError_tT0_T1_T2_jT3_P12ihipStream_tbPNSt15iterator_traitsISN_E10value_typeEPNST_ISO_E10value_typeEPSP_NS1_7vsmem_tEENKUlT_SN_SO_SP_E_clISG_PjSI_PS9_EESM_S12_SN_SO_SP_EUlS12_E_NS1_11comp_targetILNS1_3genE9ELNS1_11target_archE1100ELNS1_3gpuE3ELNS1_3repE0EEENS1_48merge_mergepath_partition_config_static_selectorELNS0_4arch9wavefront6targetE0EEEvSO_
		.amdhsa_group_segment_fixed_size 0
		.amdhsa_private_segment_fixed_size 0
		.amdhsa_kernarg_size 40
		.amdhsa_user_sgpr_count 2
		.amdhsa_user_sgpr_dispatch_ptr 0
		.amdhsa_user_sgpr_queue_ptr 0
		.amdhsa_user_sgpr_kernarg_segment_ptr 1
		.amdhsa_user_sgpr_dispatch_id 0
		.amdhsa_user_sgpr_kernarg_preload_length 0
		.amdhsa_user_sgpr_kernarg_preload_offset 0
		.amdhsa_user_sgpr_private_segment_size 0
		.amdhsa_wavefront_size32 1
		.amdhsa_uses_dynamic_stack 0
		.amdhsa_enable_private_segment 0
		.amdhsa_system_sgpr_workgroup_id_x 1
		.amdhsa_system_sgpr_workgroup_id_y 0
		.amdhsa_system_sgpr_workgroup_id_z 0
		.amdhsa_system_sgpr_workgroup_info 0
		.amdhsa_system_vgpr_workitem_id 0
		.amdhsa_next_free_vgpr 1
		.amdhsa_next_free_sgpr 1
		.amdhsa_named_barrier_count 0
		.amdhsa_reserve_vcc 0
		.amdhsa_float_round_mode_32 0
		.amdhsa_float_round_mode_16_64 0
		.amdhsa_float_denorm_mode_32 3
		.amdhsa_float_denorm_mode_16_64 3
		.amdhsa_fp16_overflow 0
		.amdhsa_memory_ordered 1
		.amdhsa_forward_progress 1
		.amdhsa_inst_pref_size 0
		.amdhsa_round_robin_scheduling 0
		.amdhsa_exception_fp_ieee_invalid_op 0
		.amdhsa_exception_fp_denorm_src 0
		.amdhsa_exception_fp_ieee_div_zero 0
		.amdhsa_exception_fp_ieee_overflow 0
		.amdhsa_exception_fp_ieee_underflow 0
		.amdhsa_exception_fp_ieee_inexact 0
		.amdhsa_exception_int_div_zero 0
	.end_amdhsa_kernel
	.section	.text._ZN7rocprim17ROCPRIM_400000_NS6detail17trampoline_kernelINS0_14default_configENS1_38merge_sort_block_merge_config_selectorIjN6thrust23THRUST_200600_302600_NS5tupleIffNS6_9null_typeES8_S8_S8_S8_S8_S8_S8_EEEEZZNS1_27merge_sort_block_merge_implIS3_NS6_6detail15normal_iteratorINS6_10device_ptrIjEEEENSD_INSE_IS9_EEEEjNS1_19radix_merge_compareILb0ELb0EjNS0_19identity_decomposerEEEEE10hipError_tT0_T1_T2_jT3_P12ihipStream_tbPNSt15iterator_traitsISN_E10value_typeEPNST_ISO_E10value_typeEPSP_NS1_7vsmem_tEENKUlT_SN_SO_SP_E_clISG_PjSI_PS9_EESM_S12_SN_SO_SP_EUlS12_E_NS1_11comp_targetILNS1_3genE9ELNS1_11target_archE1100ELNS1_3gpuE3ELNS1_3repE0EEENS1_48merge_mergepath_partition_config_static_selectorELNS0_4arch9wavefront6targetE0EEEvSO_,"axG",@progbits,_ZN7rocprim17ROCPRIM_400000_NS6detail17trampoline_kernelINS0_14default_configENS1_38merge_sort_block_merge_config_selectorIjN6thrust23THRUST_200600_302600_NS5tupleIffNS6_9null_typeES8_S8_S8_S8_S8_S8_S8_EEEEZZNS1_27merge_sort_block_merge_implIS3_NS6_6detail15normal_iteratorINS6_10device_ptrIjEEEENSD_INSE_IS9_EEEEjNS1_19radix_merge_compareILb0ELb0EjNS0_19identity_decomposerEEEEE10hipError_tT0_T1_T2_jT3_P12ihipStream_tbPNSt15iterator_traitsISN_E10value_typeEPNST_ISO_E10value_typeEPSP_NS1_7vsmem_tEENKUlT_SN_SO_SP_E_clISG_PjSI_PS9_EESM_S12_SN_SO_SP_EUlS12_E_NS1_11comp_targetILNS1_3genE9ELNS1_11target_archE1100ELNS1_3gpuE3ELNS1_3repE0EEENS1_48merge_mergepath_partition_config_static_selectorELNS0_4arch9wavefront6targetE0EEEvSO_,comdat
.Lfunc_end55:
	.size	_ZN7rocprim17ROCPRIM_400000_NS6detail17trampoline_kernelINS0_14default_configENS1_38merge_sort_block_merge_config_selectorIjN6thrust23THRUST_200600_302600_NS5tupleIffNS6_9null_typeES8_S8_S8_S8_S8_S8_S8_EEEEZZNS1_27merge_sort_block_merge_implIS3_NS6_6detail15normal_iteratorINS6_10device_ptrIjEEEENSD_INSE_IS9_EEEEjNS1_19radix_merge_compareILb0ELb0EjNS0_19identity_decomposerEEEEE10hipError_tT0_T1_T2_jT3_P12ihipStream_tbPNSt15iterator_traitsISN_E10value_typeEPNST_ISO_E10value_typeEPSP_NS1_7vsmem_tEENKUlT_SN_SO_SP_E_clISG_PjSI_PS9_EESM_S12_SN_SO_SP_EUlS12_E_NS1_11comp_targetILNS1_3genE9ELNS1_11target_archE1100ELNS1_3gpuE3ELNS1_3repE0EEENS1_48merge_mergepath_partition_config_static_selectorELNS0_4arch9wavefront6targetE0EEEvSO_, .Lfunc_end55-_ZN7rocprim17ROCPRIM_400000_NS6detail17trampoline_kernelINS0_14default_configENS1_38merge_sort_block_merge_config_selectorIjN6thrust23THRUST_200600_302600_NS5tupleIffNS6_9null_typeES8_S8_S8_S8_S8_S8_S8_EEEEZZNS1_27merge_sort_block_merge_implIS3_NS6_6detail15normal_iteratorINS6_10device_ptrIjEEEENSD_INSE_IS9_EEEEjNS1_19radix_merge_compareILb0ELb0EjNS0_19identity_decomposerEEEEE10hipError_tT0_T1_T2_jT3_P12ihipStream_tbPNSt15iterator_traitsISN_E10value_typeEPNST_ISO_E10value_typeEPSP_NS1_7vsmem_tEENKUlT_SN_SO_SP_E_clISG_PjSI_PS9_EESM_S12_SN_SO_SP_EUlS12_E_NS1_11comp_targetILNS1_3genE9ELNS1_11target_archE1100ELNS1_3gpuE3ELNS1_3repE0EEENS1_48merge_mergepath_partition_config_static_selectorELNS0_4arch9wavefront6targetE0EEEvSO_
                                        ; -- End function
	.set _ZN7rocprim17ROCPRIM_400000_NS6detail17trampoline_kernelINS0_14default_configENS1_38merge_sort_block_merge_config_selectorIjN6thrust23THRUST_200600_302600_NS5tupleIffNS6_9null_typeES8_S8_S8_S8_S8_S8_S8_EEEEZZNS1_27merge_sort_block_merge_implIS3_NS6_6detail15normal_iteratorINS6_10device_ptrIjEEEENSD_INSE_IS9_EEEEjNS1_19radix_merge_compareILb0ELb0EjNS0_19identity_decomposerEEEEE10hipError_tT0_T1_T2_jT3_P12ihipStream_tbPNSt15iterator_traitsISN_E10value_typeEPNST_ISO_E10value_typeEPSP_NS1_7vsmem_tEENKUlT_SN_SO_SP_E_clISG_PjSI_PS9_EESM_S12_SN_SO_SP_EUlS12_E_NS1_11comp_targetILNS1_3genE9ELNS1_11target_archE1100ELNS1_3gpuE3ELNS1_3repE0EEENS1_48merge_mergepath_partition_config_static_selectorELNS0_4arch9wavefront6targetE0EEEvSO_.num_vgpr, 0
	.set _ZN7rocprim17ROCPRIM_400000_NS6detail17trampoline_kernelINS0_14default_configENS1_38merge_sort_block_merge_config_selectorIjN6thrust23THRUST_200600_302600_NS5tupleIffNS6_9null_typeES8_S8_S8_S8_S8_S8_S8_EEEEZZNS1_27merge_sort_block_merge_implIS3_NS6_6detail15normal_iteratorINS6_10device_ptrIjEEEENSD_INSE_IS9_EEEEjNS1_19radix_merge_compareILb0ELb0EjNS0_19identity_decomposerEEEEE10hipError_tT0_T1_T2_jT3_P12ihipStream_tbPNSt15iterator_traitsISN_E10value_typeEPNST_ISO_E10value_typeEPSP_NS1_7vsmem_tEENKUlT_SN_SO_SP_E_clISG_PjSI_PS9_EESM_S12_SN_SO_SP_EUlS12_E_NS1_11comp_targetILNS1_3genE9ELNS1_11target_archE1100ELNS1_3gpuE3ELNS1_3repE0EEENS1_48merge_mergepath_partition_config_static_selectorELNS0_4arch9wavefront6targetE0EEEvSO_.num_agpr, 0
	.set _ZN7rocprim17ROCPRIM_400000_NS6detail17trampoline_kernelINS0_14default_configENS1_38merge_sort_block_merge_config_selectorIjN6thrust23THRUST_200600_302600_NS5tupleIffNS6_9null_typeES8_S8_S8_S8_S8_S8_S8_EEEEZZNS1_27merge_sort_block_merge_implIS3_NS6_6detail15normal_iteratorINS6_10device_ptrIjEEEENSD_INSE_IS9_EEEEjNS1_19radix_merge_compareILb0ELb0EjNS0_19identity_decomposerEEEEE10hipError_tT0_T1_T2_jT3_P12ihipStream_tbPNSt15iterator_traitsISN_E10value_typeEPNST_ISO_E10value_typeEPSP_NS1_7vsmem_tEENKUlT_SN_SO_SP_E_clISG_PjSI_PS9_EESM_S12_SN_SO_SP_EUlS12_E_NS1_11comp_targetILNS1_3genE9ELNS1_11target_archE1100ELNS1_3gpuE3ELNS1_3repE0EEENS1_48merge_mergepath_partition_config_static_selectorELNS0_4arch9wavefront6targetE0EEEvSO_.numbered_sgpr, 0
	.set _ZN7rocprim17ROCPRIM_400000_NS6detail17trampoline_kernelINS0_14default_configENS1_38merge_sort_block_merge_config_selectorIjN6thrust23THRUST_200600_302600_NS5tupleIffNS6_9null_typeES8_S8_S8_S8_S8_S8_S8_EEEEZZNS1_27merge_sort_block_merge_implIS3_NS6_6detail15normal_iteratorINS6_10device_ptrIjEEEENSD_INSE_IS9_EEEEjNS1_19radix_merge_compareILb0ELb0EjNS0_19identity_decomposerEEEEE10hipError_tT0_T1_T2_jT3_P12ihipStream_tbPNSt15iterator_traitsISN_E10value_typeEPNST_ISO_E10value_typeEPSP_NS1_7vsmem_tEENKUlT_SN_SO_SP_E_clISG_PjSI_PS9_EESM_S12_SN_SO_SP_EUlS12_E_NS1_11comp_targetILNS1_3genE9ELNS1_11target_archE1100ELNS1_3gpuE3ELNS1_3repE0EEENS1_48merge_mergepath_partition_config_static_selectorELNS0_4arch9wavefront6targetE0EEEvSO_.num_named_barrier, 0
	.set _ZN7rocprim17ROCPRIM_400000_NS6detail17trampoline_kernelINS0_14default_configENS1_38merge_sort_block_merge_config_selectorIjN6thrust23THRUST_200600_302600_NS5tupleIffNS6_9null_typeES8_S8_S8_S8_S8_S8_S8_EEEEZZNS1_27merge_sort_block_merge_implIS3_NS6_6detail15normal_iteratorINS6_10device_ptrIjEEEENSD_INSE_IS9_EEEEjNS1_19radix_merge_compareILb0ELb0EjNS0_19identity_decomposerEEEEE10hipError_tT0_T1_T2_jT3_P12ihipStream_tbPNSt15iterator_traitsISN_E10value_typeEPNST_ISO_E10value_typeEPSP_NS1_7vsmem_tEENKUlT_SN_SO_SP_E_clISG_PjSI_PS9_EESM_S12_SN_SO_SP_EUlS12_E_NS1_11comp_targetILNS1_3genE9ELNS1_11target_archE1100ELNS1_3gpuE3ELNS1_3repE0EEENS1_48merge_mergepath_partition_config_static_selectorELNS0_4arch9wavefront6targetE0EEEvSO_.private_seg_size, 0
	.set _ZN7rocprim17ROCPRIM_400000_NS6detail17trampoline_kernelINS0_14default_configENS1_38merge_sort_block_merge_config_selectorIjN6thrust23THRUST_200600_302600_NS5tupleIffNS6_9null_typeES8_S8_S8_S8_S8_S8_S8_EEEEZZNS1_27merge_sort_block_merge_implIS3_NS6_6detail15normal_iteratorINS6_10device_ptrIjEEEENSD_INSE_IS9_EEEEjNS1_19radix_merge_compareILb0ELb0EjNS0_19identity_decomposerEEEEE10hipError_tT0_T1_T2_jT3_P12ihipStream_tbPNSt15iterator_traitsISN_E10value_typeEPNST_ISO_E10value_typeEPSP_NS1_7vsmem_tEENKUlT_SN_SO_SP_E_clISG_PjSI_PS9_EESM_S12_SN_SO_SP_EUlS12_E_NS1_11comp_targetILNS1_3genE9ELNS1_11target_archE1100ELNS1_3gpuE3ELNS1_3repE0EEENS1_48merge_mergepath_partition_config_static_selectorELNS0_4arch9wavefront6targetE0EEEvSO_.uses_vcc, 0
	.set _ZN7rocprim17ROCPRIM_400000_NS6detail17trampoline_kernelINS0_14default_configENS1_38merge_sort_block_merge_config_selectorIjN6thrust23THRUST_200600_302600_NS5tupleIffNS6_9null_typeES8_S8_S8_S8_S8_S8_S8_EEEEZZNS1_27merge_sort_block_merge_implIS3_NS6_6detail15normal_iteratorINS6_10device_ptrIjEEEENSD_INSE_IS9_EEEEjNS1_19radix_merge_compareILb0ELb0EjNS0_19identity_decomposerEEEEE10hipError_tT0_T1_T2_jT3_P12ihipStream_tbPNSt15iterator_traitsISN_E10value_typeEPNST_ISO_E10value_typeEPSP_NS1_7vsmem_tEENKUlT_SN_SO_SP_E_clISG_PjSI_PS9_EESM_S12_SN_SO_SP_EUlS12_E_NS1_11comp_targetILNS1_3genE9ELNS1_11target_archE1100ELNS1_3gpuE3ELNS1_3repE0EEENS1_48merge_mergepath_partition_config_static_selectorELNS0_4arch9wavefront6targetE0EEEvSO_.uses_flat_scratch, 0
	.set _ZN7rocprim17ROCPRIM_400000_NS6detail17trampoline_kernelINS0_14default_configENS1_38merge_sort_block_merge_config_selectorIjN6thrust23THRUST_200600_302600_NS5tupleIffNS6_9null_typeES8_S8_S8_S8_S8_S8_S8_EEEEZZNS1_27merge_sort_block_merge_implIS3_NS6_6detail15normal_iteratorINS6_10device_ptrIjEEEENSD_INSE_IS9_EEEEjNS1_19radix_merge_compareILb0ELb0EjNS0_19identity_decomposerEEEEE10hipError_tT0_T1_T2_jT3_P12ihipStream_tbPNSt15iterator_traitsISN_E10value_typeEPNST_ISO_E10value_typeEPSP_NS1_7vsmem_tEENKUlT_SN_SO_SP_E_clISG_PjSI_PS9_EESM_S12_SN_SO_SP_EUlS12_E_NS1_11comp_targetILNS1_3genE9ELNS1_11target_archE1100ELNS1_3gpuE3ELNS1_3repE0EEENS1_48merge_mergepath_partition_config_static_selectorELNS0_4arch9wavefront6targetE0EEEvSO_.has_dyn_sized_stack, 0
	.set _ZN7rocprim17ROCPRIM_400000_NS6detail17trampoline_kernelINS0_14default_configENS1_38merge_sort_block_merge_config_selectorIjN6thrust23THRUST_200600_302600_NS5tupleIffNS6_9null_typeES8_S8_S8_S8_S8_S8_S8_EEEEZZNS1_27merge_sort_block_merge_implIS3_NS6_6detail15normal_iteratorINS6_10device_ptrIjEEEENSD_INSE_IS9_EEEEjNS1_19radix_merge_compareILb0ELb0EjNS0_19identity_decomposerEEEEE10hipError_tT0_T1_T2_jT3_P12ihipStream_tbPNSt15iterator_traitsISN_E10value_typeEPNST_ISO_E10value_typeEPSP_NS1_7vsmem_tEENKUlT_SN_SO_SP_E_clISG_PjSI_PS9_EESM_S12_SN_SO_SP_EUlS12_E_NS1_11comp_targetILNS1_3genE9ELNS1_11target_archE1100ELNS1_3gpuE3ELNS1_3repE0EEENS1_48merge_mergepath_partition_config_static_selectorELNS0_4arch9wavefront6targetE0EEEvSO_.has_recursion, 0
	.set _ZN7rocprim17ROCPRIM_400000_NS6detail17trampoline_kernelINS0_14default_configENS1_38merge_sort_block_merge_config_selectorIjN6thrust23THRUST_200600_302600_NS5tupleIffNS6_9null_typeES8_S8_S8_S8_S8_S8_S8_EEEEZZNS1_27merge_sort_block_merge_implIS3_NS6_6detail15normal_iteratorINS6_10device_ptrIjEEEENSD_INSE_IS9_EEEEjNS1_19radix_merge_compareILb0ELb0EjNS0_19identity_decomposerEEEEE10hipError_tT0_T1_T2_jT3_P12ihipStream_tbPNSt15iterator_traitsISN_E10value_typeEPNST_ISO_E10value_typeEPSP_NS1_7vsmem_tEENKUlT_SN_SO_SP_E_clISG_PjSI_PS9_EESM_S12_SN_SO_SP_EUlS12_E_NS1_11comp_targetILNS1_3genE9ELNS1_11target_archE1100ELNS1_3gpuE3ELNS1_3repE0EEENS1_48merge_mergepath_partition_config_static_selectorELNS0_4arch9wavefront6targetE0EEEvSO_.has_indirect_call, 0
	.section	.AMDGPU.csdata,"",@progbits
; Kernel info:
; codeLenInByte = 0
; TotalNumSgprs: 0
; NumVgprs: 0
; ScratchSize: 0
; MemoryBound: 0
; FloatMode: 240
; IeeeMode: 1
; LDSByteSize: 0 bytes/workgroup (compile time only)
; SGPRBlocks: 0
; VGPRBlocks: 0
; NumSGPRsForWavesPerEU: 1
; NumVGPRsForWavesPerEU: 1
; NamedBarCnt: 0
; Occupancy: 16
; WaveLimiterHint : 0
; COMPUTE_PGM_RSRC2:SCRATCH_EN: 0
; COMPUTE_PGM_RSRC2:USER_SGPR: 2
; COMPUTE_PGM_RSRC2:TRAP_HANDLER: 0
; COMPUTE_PGM_RSRC2:TGID_X_EN: 1
; COMPUTE_PGM_RSRC2:TGID_Y_EN: 0
; COMPUTE_PGM_RSRC2:TGID_Z_EN: 0
; COMPUTE_PGM_RSRC2:TIDIG_COMP_CNT: 0
	.section	.text._ZN7rocprim17ROCPRIM_400000_NS6detail17trampoline_kernelINS0_14default_configENS1_38merge_sort_block_merge_config_selectorIjN6thrust23THRUST_200600_302600_NS5tupleIffNS6_9null_typeES8_S8_S8_S8_S8_S8_S8_EEEEZZNS1_27merge_sort_block_merge_implIS3_NS6_6detail15normal_iteratorINS6_10device_ptrIjEEEENSD_INSE_IS9_EEEEjNS1_19radix_merge_compareILb0ELb0EjNS0_19identity_decomposerEEEEE10hipError_tT0_T1_T2_jT3_P12ihipStream_tbPNSt15iterator_traitsISN_E10value_typeEPNST_ISO_E10value_typeEPSP_NS1_7vsmem_tEENKUlT_SN_SO_SP_E_clISG_PjSI_PS9_EESM_S12_SN_SO_SP_EUlS12_E_NS1_11comp_targetILNS1_3genE8ELNS1_11target_archE1030ELNS1_3gpuE2ELNS1_3repE0EEENS1_48merge_mergepath_partition_config_static_selectorELNS0_4arch9wavefront6targetE0EEEvSO_,"axG",@progbits,_ZN7rocprim17ROCPRIM_400000_NS6detail17trampoline_kernelINS0_14default_configENS1_38merge_sort_block_merge_config_selectorIjN6thrust23THRUST_200600_302600_NS5tupleIffNS6_9null_typeES8_S8_S8_S8_S8_S8_S8_EEEEZZNS1_27merge_sort_block_merge_implIS3_NS6_6detail15normal_iteratorINS6_10device_ptrIjEEEENSD_INSE_IS9_EEEEjNS1_19radix_merge_compareILb0ELb0EjNS0_19identity_decomposerEEEEE10hipError_tT0_T1_T2_jT3_P12ihipStream_tbPNSt15iterator_traitsISN_E10value_typeEPNST_ISO_E10value_typeEPSP_NS1_7vsmem_tEENKUlT_SN_SO_SP_E_clISG_PjSI_PS9_EESM_S12_SN_SO_SP_EUlS12_E_NS1_11comp_targetILNS1_3genE8ELNS1_11target_archE1030ELNS1_3gpuE2ELNS1_3repE0EEENS1_48merge_mergepath_partition_config_static_selectorELNS0_4arch9wavefront6targetE0EEEvSO_,comdat
	.protected	_ZN7rocprim17ROCPRIM_400000_NS6detail17trampoline_kernelINS0_14default_configENS1_38merge_sort_block_merge_config_selectorIjN6thrust23THRUST_200600_302600_NS5tupleIffNS6_9null_typeES8_S8_S8_S8_S8_S8_S8_EEEEZZNS1_27merge_sort_block_merge_implIS3_NS6_6detail15normal_iteratorINS6_10device_ptrIjEEEENSD_INSE_IS9_EEEEjNS1_19radix_merge_compareILb0ELb0EjNS0_19identity_decomposerEEEEE10hipError_tT0_T1_T2_jT3_P12ihipStream_tbPNSt15iterator_traitsISN_E10value_typeEPNST_ISO_E10value_typeEPSP_NS1_7vsmem_tEENKUlT_SN_SO_SP_E_clISG_PjSI_PS9_EESM_S12_SN_SO_SP_EUlS12_E_NS1_11comp_targetILNS1_3genE8ELNS1_11target_archE1030ELNS1_3gpuE2ELNS1_3repE0EEENS1_48merge_mergepath_partition_config_static_selectorELNS0_4arch9wavefront6targetE0EEEvSO_ ; -- Begin function _ZN7rocprim17ROCPRIM_400000_NS6detail17trampoline_kernelINS0_14default_configENS1_38merge_sort_block_merge_config_selectorIjN6thrust23THRUST_200600_302600_NS5tupleIffNS6_9null_typeES8_S8_S8_S8_S8_S8_S8_EEEEZZNS1_27merge_sort_block_merge_implIS3_NS6_6detail15normal_iteratorINS6_10device_ptrIjEEEENSD_INSE_IS9_EEEEjNS1_19radix_merge_compareILb0ELb0EjNS0_19identity_decomposerEEEEE10hipError_tT0_T1_T2_jT3_P12ihipStream_tbPNSt15iterator_traitsISN_E10value_typeEPNST_ISO_E10value_typeEPSP_NS1_7vsmem_tEENKUlT_SN_SO_SP_E_clISG_PjSI_PS9_EESM_S12_SN_SO_SP_EUlS12_E_NS1_11comp_targetILNS1_3genE8ELNS1_11target_archE1030ELNS1_3gpuE2ELNS1_3repE0EEENS1_48merge_mergepath_partition_config_static_selectorELNS0_4arch9wavefront6targetE0EEEvSO_
	.globl	_ZN7rocprim17ROCPRIM_400000_NS6detail17trampoline_kernelINS0_14default_configENS1_38merge_sort_block_merge_config_selectorIjN6thrust23THRUST_200600_302600_NS5tupleIffNS6_9null_typeES8_S8_S8_S8_S8_S8_S8_EEEEZZNS1_27merge_sort_block_merge_implIS3_NS6_6detail15normal_iteratorINS6_10device_ptrIjEEEENSD_INSE_IS9_EEEEjNS1_19radix_merge_compareILb0ELb0EjNS0_19identity_decomposerEEEEE10hipError_tT0_T1_T2_jT3_P12ihipStream_tbPNSt15iterator_traitsISN_E10value_typeEPNST_ISO_E10value_typeEPSP_NS1_7vsmem_tEENKUlT_SN_SO_SP_E_clISG_PjSI_PS9_EESM_S12_SN_SO_SP_EUlS12_E_NS1_11comp_targetILNS1_3genE8ELNS1_11target_archE1030ELNS1_3gpuE2ELNS1_3repE0EEENS1_48merge_mergepath_partition_config_static_selectorELNS0_4arch9wavefront6targetE0EEEvSO_
	.p2align	8
	.type	_ZN7rocprim17ROCPRIM_400000_NS6detail17trampoline_kernelINS0_14default_configENS1_38merge_sort_block_merge_config_selectorIjN6thrust23THRUST_200600_302600_NS5tupleIffNS6_9null_typeES8_S8_S8_S8_S8_S8_S8_EEEEZZNS1_27merge_sort_block_merge_implIS3_NS6_6detail15normal_iteratorINS6_10device_ptrIjEEEENSD_INSE_IS9_EEEEjNS1_19radix_merge_compareILb0ELb0EjNS0_19identity_decomposerEEEEE10hipError_tT0_T1_T2_jT3_P12ihipStream_tbPNSt15iterator_traitsISN_E10value_typeEPNST_ISO_E10value_typeEPSP_NS1_7vsmem_tEENKUlT_SN_SO_SP_E_clISG_PjSI_PS9_EESM_S12_SN_SO_SP_EUlS12_E_NS1_11comp_targetILNS1_3genE8ELNS1_11target_archE1030ELNS1_3gpuE2ELNS1_3repE0EEENS1_48merge_mergepath_partition_config_static_selectorELNS0_4arch9wavefront6targetE0EEEvSO_,@function
_ZN7rocprim17ROCPRIM_400000_NS6detail17trampoline_kernelINS0_14default_configENS1_38merge_sort_block_merge_config_selectorIjN6thrust23THRUST_200600_302600_NS5tupleIffNS6_9null_typeES8_S8_S8_S8_S8_S8_S8_EEEEZZNS1_27merge_sort_block_merge_implIS3_NS6_6detail15normal_iteratorINS6_10device_ptrIjEEEENSD_INSE_IS9_EEEEjNS1_19radix_merge_compareILb0ELb0EjNS0_19identity_decomposerEEEEE10hipError_tT0_T1_T2_jT3_P12ihipStream_tbPNSt15iterator_traitsISN_E10value_typeEPNST_ISO_E10value_typeEPSP_NS1_7vsmem_tEENKUlT_SN_SO_SP_E_clISG_PjSI_PS9_EESM_S12_SN_SO_SP_EUlS12_E_NS1_11comp_targetILNS1_3genE8ELNS1_11target_archE1030ELNS1_3gpuE2ELNS1_3repE0EEENS1_48merge_mergepath_partition_config_static_selectorELNS0_4arch9wavefront6targetE0EEEvSO_: ; @_ZN7rocprim17ROCPRIM_400000_NS6detail17trampoline_kernelINS0_14default_configENS1_38merge_sort_block_merge_config_selectorIjN6thrust23THRUST_200600_302600_NS5tupleIffNS6_9null_typeES8_S8_S8_S8_S8_S8_S8_EEEEZZNS1_27merge_sort_block_merge_implIS3_NS6_6detail15normal_iteratorINS6_10device_ptrIjEEEENSD_INSE_IS9_EEEEjNS1_19radix_merge_compareILb0ELb0EjNS0_19identity_decomposerEEEEE10hipError_tT0_T1_T2_jT3_P12ihipStream_tbPNSt15iterator_traitsISN_E10value_typeEPNST_ISO_E10value_typeEPSP_NS1_7vsmem_tEENKUlT_SN_SO_SP_E_clISG_PjSI_PS9_EESM_S12_SN_SO_SP_EUlS12_E_NS1_11comp_targetILNS1_3genE8ELNS1_11target_archE1030ELNS1_3gpuE2ELNS1_3repE0EEENS1_48merge_mergepath_partition_config_static_selectorELNS0_4arch9wavefront6targetE0EEEvSO_
; %bb.0:
	.section	.rodata,"a",@progbits
	.p2align	6, 0x0
	.amdhsa_kernel _ZN7rocprim17ROCPRIM_400000_NS6detail17trampoline_kernelINS0_14default_configENS1_38merge_sort_block_merge_config_selectorIjN6thrust23THRUST_200600_302600_NS5tupleIffNS6_9null_typeES8_S8_S8_S8_S8_S8_S8_EEEEZZNS1_27merge_sort_block_merge_implIS3_NS6_6detail15normal_iteratorINS6_10device_ptrIjEEEENSD_INSE_IS9_EEEEjNS1_19radix_merge_compareILb0ELb0EjNS0_19identity_decomposerEEEEE10hipError_tT0_T1_T2_jT3_P12ihipStream_tbPNSt15iterator_traitsISN_E10value_typeEPNST_ISO_E10value_typeEPSP_NS1_7vsmem_tEENKUlT_SN_SO_SP_E_clISG_PjSI_PS9_EESM_S12_SN_SO_SP_EUlS12_E_NS1_11comp_targetILNS1_3genE8ELNS1_11target_archE1030ELNS1_3gpuE2ELNS1_3repE0EEENS1_48merge_mergepath_partition_config_static_selectorELNS0_4arch9wavefront6targetE0EEEvSO_
		.amdhsa_group_segment_fixed_size 0
		.amdhsa_private_segment_fixed_size 0
		.amdhsa_kernarg_size 40
		.amdhsa_user_sgpr_count 2
		.amdhsa_user_sgpr_dispatch_ptr 0
		.amdhsa_user_sgpr_queue_ptr 0
		.amdhsa_user_sgpr_kernarg_segment_ptr 1
		.amdhsa_user_sgpr_dispatch_id 0
		.amdhsa_user_sgpr_kernarg_preload_length 0
		.amdhsa_user_sgpr_kernarg_preload_offset 0
		.amdhsa_user_sgpr_private_segment_size 0
		.amdhsa_wavefront_size32 1
		.amdhsa_uses_dynamic_stack 0
		.amdhsa_enable_private_segment 0
		.amdhsa_system_sgpr_workgroup_id_x 1
		.amdhsa_system_sgpr_workgroup_id_y 0
		.amdhsa_system_sgpr_workgroup_id_z 0
		.amdhsa_system_sgpr_workgroup_info 0
		.amdhsa_system_vgpr_workitem_id 0
		.amdhsa_next_free_vgpr 1
		.amdhsa_next_free_sgpr 1
		.amdhsa_named_barrier_count 0
		.amdhsa_reserve_vcc 0
		.amdhsa_float_round_mode_32 0
		.amdhsa_float_round_mode_16_64 0
		.amdhsa_float_denorm_mode_32 3
		.amdhsa_float_denorm_mode_16_64 3
		.amdhsa_fp16_overflow 0
		.amdhsa_memory_ordered 1
		.amdhsa_forward_progress 1
		.amdhsa_inst_pref_size 0
		.amdhsa_round_robin_scheduling 0
		.amdhsa_exception_fp_ieee_invalid_op 0
		.amdhsa_exception_fp_denorm_src 0
		.amdhsa_exception_fp_ieee_div_zero 0
		.amdhsa_exception_fp_ieee_overflow 0
		.amdhsa_exception_fp_ieee_underflow 0
		.amdhsa_exception_fp_ieee_inexact 0
		.amdhsa_exception_int_div_zero 0
	.end_amdhsa_kernel
	.section	.text._ZN7rocprim17ROCPRIM_400000_NS6detail17trampoline_kernelINS0_14default_configENS1_38merge_sort_block_merge_config_selectorIjN6thrust23THRUST_200600_302600_NS5tupleIffNS6_9null_typeES8_S8_S8_S8_S8_S8_S8_EEEEZZNS1_27merge_sort_block_merge_implIS3_NS6_6detail15normal_iteratorINS6_10device_ptrIjEEEENSD_INSE_IS9_EEEEjNS1_19radix_merge_compareILb0ELb0EjNS0_19identity_decomposerEEEEE10hipError_tT0_T1_T2_jT3_P12ihipStream_tbPNSt15iterator_traitsISN_E10value_typeEPNST_ISO_E10value_typeEPSP_NS1_7vsmem_tEENKUlT_SN_SO_SP_E_clISG_PjSI_PS9_EESM_S12_SN_SO_SP_EUlS12_E_NS1_11comp_targetILNS1_3genE8ELNS1_11target_archE1030ELNS1_3gpuE2ELNS1_3repE0EEENS1_48merge_mergepath_partition_config_static_selectorELNS0_4arch9wavefront6targetE0EEEvSO_,"axG",@progbits,_ZN7rocprim17ROCPRIM_400000_NS6detail17trampoline_kernelINS0_14default_configENS1_38merge_sort_block_merge_config_selectorIjN6thrust23THRUST_200600_302600_NS5tupleIffNS6_9null_typeES8_S8_S8_S8_S8_S8_S8_EEEEZZNS1_27merge_sort_block_merge_implIS3_NS6_6detail15normal_iteratorINS6_10device_ptrIjEEEENSD_INSE_IS9_EEEEjNS1_19radix_merge_compareILb0ELb0EjNS0_19identity_decomposerEEEEE10hipError_tT0_T1_T2_jT3_P12ihipStream_tbPNSt15iterator_traitsISN_E10value_typeEPNST_ISO_E10value_typeEPSP_NS1_7vsmem_tEENKUlT_SN_SO_SP_E_clISG_PjSI_PS9_EESM_S12_SN_SO_SP_EUlS12_E_NS1_11comp_targetILNS1_3genE8ELNS1_11target_archE1030ELNS1_3gpuE2ELNS1_3repE0EEENS1_48merge_mergepath_partition_config_static_selectorELNS0_4arch9wavefront6targetE0EEEvSO_,comdat
.Lfunc_end56:
	.size	_ZN7rocprim17ROCPRIM_400000_NS6detail17trampoline_kernelINS0_14default_configENS1_38merge_sort_block_merge_config_selectorIjN6thrust23THRUST_200600_302600_NS5tupleIffNS6_9null_typeES8_S8_S8_S8_S8_S8_S8_EEEEZZNS1_27merge_sort_block_merge_implIS3_NS6_6detail15normal_iteratorINS6_10device_ptrIjEEEENSD_INSE_IS9_EEEEjNS1_19radix_merge_compareILb0ELb0EjNS0_19identity_decomposerEEEEE10hipError_tT0_T1_T2_jT3_P12ihipStream_tbPNSt15iterator_traitsISN_E10value_typeEPNST_ISO_E10value_typeEPSP_NS1_7vsmem_tEENKUlT_SN_SO_SP_E_clISG_PjSI_PS9_EESM_S12_SN_SO_SP_EUlS12_E_NS1_11comp_targetILNS1_3genE8ELNS1_11target_archE1030ELNS1_3gpuE2ELNS1_3repE0EEENS1_48merge_mergepath_partition_config_static_selectorELNS0_4arch9wavefront6targetE0EEEvSO_, .Lfunc_end56-_ZN7rocprim17ROCPRIM_400000_NS6detail17trampoline_kernelINS0_14default_configENS1_38merge_sort_block_merge_config_selectorIjN6thrust23THRUST_200600_302600_NS5tupleIffNS6_9null_typeES8_S8_S8_S8_S8_S8_S8_EEEEZZNS1_27merge_sort_block_merge_implIS3_NS6_6detail15normal_iteratorINS6_10device_ptrIjEEEENSD_INSE_IS9_EEEEjNS1_19radix_merge_compareILb0ELb0EjNS0_19identity_decomposerEEEEE10hipError_tT0_T1_T2_jT3_P12ihipStream_tbPNSt15iterator_traitsISN_E10value_typeEPNST_ISO_E10value_typeEPSP_NS1_7vsmem_tEENKUlT_SN_SO_SP_E_clISG_PjSI_PS9_EESM_S12_SN_SO_SP_EUlS12_E_NS1_11comp_targetILNS1_3genE8ELNS1_11target_archE1030ELNS1_3gpuE2ELNS1_3repE0EEENS1_48merge_mergepath_partition_config_static_selectorELNS0_4arch9wavefront6targetE0EEEvSO_
                                        ; -- End function
	.set _ZN7rocprim17ROCPRIM_400000_NS6detail17trampoline_kernelINS0_14default_configENS1_38merge_sort_block_merge_config_selectorIjN6thrust23THRUST_200600_302600_NS5tupleIffNS6_9null_typeES8_S8_S8_S8_S8_S8_S8_EEEEZZNS1_27merge_sort_block_merge_implIS3_NS6_6detail15normal_iteratorINS6_10device_ptrIjEEEENSD_INSE_IS9_EEEEjNS1_19radix_merge_compareILb0ELb0EjNS0_19identity_decomposerEEEEE10hipError_tT0_T1_T2_jT3_P12ihipStream_tbPNSt15iterator_traitsISN_E10value_typeEPNST_ISO_E10value_typeEPSP_NS1_7vsmem_tEENKUlT_SN_SO_SP_E_clISG_PjSI_PS9_EESM_S12_SN_SO_SP_EUlS12_E_NS1_11comp_targetILNS1_3genE8ELNS1_11target_archE1030ELNS1_3gpuE2ELNS1_3repE0EEENS1_48merge_mergepath_partition_config_static_selectorELNS0_4arch9wavefront6targetE0EEEvSO_.num_vgpr, 0
	.set _ZN7rocprim17ROCPRIM_400000_NS6detail17trampoline_kernelINS0_14default_configENS1_38merge_sort_block_merge_config_selectorIjN6thrust23THRUST_200600_302600_NS5tupleIffNS6_9null_typeES8_S8_S8_S8_S8_S8_S8_EEEEZZNS1_27merge_sort_block_merge_implIS3_NS6_6detail15normal_iteratorINS6_10device_ptrIjEEEENSD_INSE_IS9_EEEEjNS1_19radix_merge_compareILb0ELb0EjNS0_19identity_decomposerEEEEE10hipError_tT0_T1_T2_jT3_P12ihipStream_tbPNSt15iterator_traitsISN_E10value_typeEPNST_ISO_E10value_typeEPSP_NS1_7vsmem_tEENKUlT_SN_SO_SP_E_clISG_PjSI_PS9_EESM_S12_SN_SO_SP_EUlS12_E_NS1_11comp_targetILNS1_3genE8ELNS1_11target_archE1030ELNS1_3gpuE2ELNS1_3repE0EEENS1_48merge_mergepath_partition_config_static_selectorELNS0_4arch9wavefront6targetE0EEEvSO_.num_agpr, 0
	.set _ZN7rocprim17ROCPRIM_400000_NS6detail17trampoline_kernelINS0_14default_configENS1_38merge_sort_block_merge_config_selectorIjN6thrust23THRUST_200600_302600_NS5tupleIffNS6_9null_typeES8_S8_S8_S8_S8_S8_S8_EEEEZZNS1_27merge_sort_block_merge_implIS3_NS6_6detail15normal_iteratorINS6_10device_ptrIjEEEENSD_INSE_IS9_EEEEjNS1_19radix_merge_compareILb0ELb0EjNS0_19identity_decomposerEEEEE10hipError_tT0_T1_T2_jT3_P12ihipStream_tbPNSt15iterator_traitsISN_E10value_typeEPNST_ISO_E10value_typeEPSP_NS1_7vsmem_tEENKUlT_SN_SO_SP_E_clISG_PjSI_PS9_EESM_S12_SN_SO_SP_EUlS12_E_NS1_11comp_targetILNS1_3genE8ELNS1_11target_archE1030ELNS1_3gpuE2ELNS1_3repE0EEENS1_48merge_mergepath_partition_config_static_selectorELNS0_4arch9wavefront6targetE0EEEvSO_.numbered_sgpr, 0
	.set _ZN7rocprim17ROCPRIM_400000_NS6detail17trampoline_kernelINS0_14default_configENS1_38merge_sort_block_merge_config_selectorIjN6thrust23THRUST_200600_302600_NS5tupleIffNS6_9null_typeES8_S8_S8_S8_S8_S8_S8_EEEEZZNS1_27merge_sort_block_merge_implIS3_NS6_6detail15normal_iteratorINS6_10device_ptrIjEEEENSD_INSE_IS9_EEEEjNS1_19radix_merge_compareILb0ELb0EjNS0_19identity_decomposerEEEEE10hipError_tT0_T1_T2_jT3_P12ihipStream_tbPNSt15iterator_traitsISN_E10value_typeEPNST_ISO_E10value_typeEPSP_NS1_7vsmem_tEENKUlT_SN_SO_SP_E_clISG_PjSI_PS9_EESM_S12_SN_SO_SP_EUlS12_E_NS1_11comp_targetILNS1_3genE8ELNS1_11target_archE1030ELNS1_3gpuE2ELNS1_3repE0EEENS1_48merge_mergepath_partition_config_static_selectorELNS0_4arch9wavefront6targetE0EEEvSO_.num_named_barrier, 0
	.set _ZN7rocprim17ROCPRIM_400000_NS6detail17trampoline_kernelINS0_14default_configENS1_38merge_sort_block_merge_config_selectorIjN6thrust23THRUST_200600_302600_NS5tupleIffNS6_9null_typeES8_S8_S8_S8_S8_S8_S8_EEEEZZNS1_27merge_sort_block_merge_implIS3_NS6_6detail15normal_iteratorINS6_10device_ptrIjEEEENSD_INSE_IS9_EEEEjNS1_19radix_merge_compareILb0ELb0EjNS0_19identity_decomposerEEEEE10hipError_tT0_T1_T2_jT3_P12ihipStream_tbPNSt15iterator_traitsISN_E10value_typeEPNST_ISO_E10value_typeEPSP_NS1_7vsmem_tEENKUlT_SN_SO_SP_E_clISG_PjSI_PS9_EESM_S12_SN_SO_SP_EUlS12_E_NS1_11comp_targetILNS1_3genE8ELNS1_11target_archE1030ELNS1_3gpuE2ELNS1_3repE0EEENS1_48merge_mergepath_partition_config_static_selectorELNS0_4arch9wavefront6targetE0EEEvSO_.private_seg_size, 0
	.set _ZN7rocprim17ROCPRIM_400000_NS6detail17trampoline_kernelINS0_14default_configENS1_38merge_sort_block_merge_config_selectorIjN6thrust23THRUST_200600_302600_NS5tupleIffNS6_9null_typeES8_S8_S8_S8_S8_S8_S8_EEEEZZNS1_27merge_sort_block_merge_implIS3_NS6_6detail15normal_iteratorINS6_10device_ptrIjEEEENSD_INSE_IS9_EEEEjNS1_19radix_merge_compareILb0ELb0EjNS0_19identity_decomposerEEEEE10hipError_tT0_T1_T2_jT3_P12ihipStream_tbPNSt15iterator_traitsISN_E10value_typeEPNST_ISO_E10value_typeEPSP_NS1_7vsmem_tEENKUlT_SN_SO_SP_E_clISG_PjSI_PS9_EESM_S12_SN_SO_SP_EUlS12_E_NS1_11comp_targetILNS1_3genE8ELNS1_11target_archE1030ELNS1_3gpuE2ELNS1_3repE0EEENS1_48merge_mergepath_partition_config_static_selectorELNS0_4arch9wavefront6targetE0EEEvSO_.uses_vcc, 0
	.set _ZN7rocprim17ROCPRIM_400000_NS6detail17trampoline_kernelINS0_14default_configENS1_38merge_sort_block_merge_config_selectorIjN6thrust23THRUST_200600_302600_NS5tupleIffNS6_9null_typeES8_S8_S8_S8_S8_S8_S8_EEEEZZNS1_27merge_sort_block_merge_implIS3_NS6_6detail15normal_iteratorINS6_10device_ptrIjEEEENSD_INSE_IS9_EEEEjNS1_19radix_merge_compareILb0ELb0EjNS0_19identity_decomposerEEEEE10hipError_tT0_T1_T2_jT3_P12ihipStream_tbPNSt15iterator_traitsISN_E10value_typeEPNST_ISO_E10value_typeEPSP_NS1_7vsmem_tEENKUlT_SN_SO_SP_E_clISG_PjSI_PS9_EESM_S12_SN_SO_SP_EUlS12_E_NS1_11comp_targetILNS1_3genE8ELNS1_11target_archE1030ELNS1_3gpuE2ELNS1_3repE0EEENS1_48merge_mergepath_partition_config_static_selectorELNS0_4arch9wavefront6targetE0EEEvSO_.uses_flat_scratch, 0
	.set _ZN7rocprim17ROCPRIM_400000_NS6detail17trampoline_kernelINS0_14default_configENS1_38merge_sort_block_merge_config_selectorIjN6thrust23THRUST_200600_302600_NS5tupleIffNS6_9null_typeES8_S8_S8_S8_S8_S8_S8_EEEEZZNS1_27merge_sort_block_merge_implIS3_NS6_6detail15normal_iteratorINS6_10device_ptrIjEEEENSD_INSE_IS9_EEEEjNS1_19radix_merge_compareILb0ELb0EjNS0_19identity_decomposerEEEEE10hipError_tT0_T1_T2_jT3_P12ihipStream_tbPNSt15iterator_traitsISN_E10value_typeEPNST_ISO_E10value_typeEPSP_NS1_7vsmem_tEENKUlT_SN_SO_SP_E_clISG_PjSI_PS9_EESM_S12_SN_SO_SP_EUlS12_E_NS1_11comp_targetILNS1_3genE8ELNS1_11target_archE1030ELNS1_3gpuE2ELNS1_3repE0EEENS1_48merge_mergepath_partition_config_static_selectorELNS0_4arch9wavefront6targetE0EEEvSO_.has_dyn_sized_stack, 0
	.set _ZN7rocprim17ROCPRIM_400000_NS6detail17trampoline_kernelINS0_14default_configENS1_38merge_sort_block_merge_config_selectorIjN6thrust23THRUST_200600_302600_NS5tupleIffNS6_9null_typeES8_S8_S8_S8_S8_S8_S8_EEEEZZNS1_27merge_sort_block_merge_implIS3_NS6_6detail15normal_iteratorINS6_10device_ptrIjEEEENSD_INSE_IS9_EEEEjNS1_19radix_merge_compareILb0ELb0EjNS0_19identity_decomposerEEEEE10hipError_tT0_T1_T2_jT3_P12ihipStream_tbPNSt15iterator_traitsISN_E10value_typeEPNST_ISO_E10value_typeEPSP_NS1_7vsmem_tEENKUlT_SN_SO_SP_E_clISG_PjSI_PS9_EESM_S12_SN_SO_SP_EUlS12_E_NS1_11comp_targetILNS1_3genE8ELNS1_11target_archE1030ELNS1_3gpuE2ELNS1_3repE0EEENS1_48merge_mergepath_partition_config_static_selectorELNS0_4arch9wavefront6targetE0EEEvSO_.has_recursion, 0
	.set _ZN7rocprim17ROCPRIM_400000_NS6detail17trampoline_kernelINS0_14default_configENS1_38merge_sort_block_merge_config_selectorIjN6thrust23THRUST_200600_302600_NS5tupleIffNS6_9null_typeES8_S8_S8_S8_S8_S8_S8_EEEEZZNS1_27merge_sort_block_merge_implIS3_NS6_6detail15normal_iteratorINS6_10device_ptrIjEEEENSD_INSE_IS9_EEEEjNS1_19radix_merge_compareILb0ELb0EjNS0_19identity_decomposerEEEEE10hipError_tT0_T1_T2_jT3_P12ihipStream_tbPNSt15iterator_traitsISN_E10value_typeEPNST_ISO_E10value_typeEPSP_NS1_7vsmem_tEENKUlT_SN_SO_SP_E_clISG_PjSI_PS9_EESM_S12_SN_SO_SP_EUlS12_E_NS1_11comp_targetILNS1_3genE8ELNS1_11target_archE1030ELNS1_3gpuE2ELNS1_3repE0EEENS1_48merge_mergepath_partition_config_static_selectorELNS0_4arch9wavefront6targetE0EEEvSO_.has_indirect_call, 0
	.section	.AMDGPU.csdata,"",@progbits
; Kernel info:
; codeLenInByte = 0
; TotalNumSgprs: 0
; NumVgprs: 0
; ScratchSize: 0
; MemoryBound: 0
; FloatMode: 240
; IeeeMode: 1
; LDSByteSize: 0 bytes/workgroup (compile time only)
; SGPRBlocks: 0
; VGPRBlocks: 0
; NumSGPRsForWavesPerEU: 1
; NumVGPRsForWavesPerEU: 1
; NamedBarCnt: 0
; Occupancy: 16
; WaveLimiterHint : 0
; COMPUTE_PGM_RSRC2:SCRATCH_EN: 0
; COMPUTE_PGM_RSRC2:USER_SGPR: 2
; COMPUTE_PGM_RSRC2:TRAP_HANDLER: 0
; COMPUTE_PGM_RSRC2:TGID_X_EN: 1
; COMPUTE_PGM_RSRC2:TGID_Y_EN: 0
; COMPUTE_PGM_RSRC2:TGID_Z_EN: 0
; COMPUTE_PGM_RSRC2:TIDIG_COMP_CNT: 0
	.section	.text._ZN7rocprim17ROCPRIM_400000_NS6detail17trampoline_kernelINS0_14default_configENS1_38merge_sort_block_merge_config_selectorIjN6thrust23THRUST_200600_302600_NS5tupleIffNS6_9null_typeES8_S8_S8_S8_S8_S8_S8_EEEEZZNS1_27merge_sort_block_merge_implIS3_NS6_6detail15normal_iteratorINS6_10device_ptrIjEEEENSD_INSE_IS9_EEEEjNS1_19radix_merge_compareILb0ELb0EjNS0_19identity_decomposerEEEEE10hipError_tT0_T1_T2_jT3_P12ihipStream_tbPNSt15iterator_traitsISN_E10value_typeEPNST_ISO_E10value_typeEPSP_NS1_7vsmem_tEENKUlT_SN_SO_SP_E_clISG_PjSI_PS9_EESM_S12_SN_SO_SP_EUlS12_E0_NS1_11comp_targetILNS1_3genE0ELNS1_11target_archE4294967295ELNS1_3gpuE0ELNS1_3repE0EEENS1_38merge_mergepath_config_static_selectorELNS0_4arch9wavefront6targetE0EEEvSO_,"axG",@progbits,_ZN7rocprim17ROCPRIM_400000_NS6detail17trampoline_kernelINS0_14default_configENS1_38merge_sort_block_merge_config_selectorIjN6thrust23THRUST_200600_302600_NS5tupleIffNS6_9null_typeES8_S8_S8_S8_S8_S8_S8_EEEEZZNS1_27merge_sort_block_merge_implIS3_NS6_6detail15normal_iteratorINS6_10device_ptrIjEEEENSD_INSE_IS9_EEEEjNS1_19radix_merge_compareILb0ELb0EjNS0_19identity_decomposerEEEEE10hipError_tT0_T1_T2_jT3_P12ihipStream_tbPNSt15iterator_traitsISN_E10value_typeEPNST_ISO_E10value_typeEPSP_NS1_7vsmem_tEENKUlT_SN_SO_SP_E_clISG_PjSI_PS9_EESM_S12_SN_SO_SP_EUlS12_E0_NS1_11comp_targetILNS1_3genE0ELNS1_11target_archE4294967295ELNS1_3gpuE0ELNS1_3repE0EEENS1_38merge_mergepath_config_static_selectorELNS0_4arch9wavefront6targetE0EEEvSO_,comdat
	.protected	_ZN7rocprim17ROCPRIM_400000_NS6detail17trampoline_kernelINS0_14default_configENS1_38merge_sort_block_merge_config_selectorIjN6thrust23THRUST_200600_302600_NS5tupleIffNS6_9null_typeES8_S8_S8_S8_S8_S8_S8_EEEEZZNS1_27merge_sort_block_merge_implIS3_NS6_6detail15normal_iteratorINS6_10device_ptrIjEEEENSD_INSE_IS9_EEEEjNS1_19radix_merge_compareILb0ELb0EjNS0_19identity_decomposerEEEEE10hipError_tT0_T1_T2_jT3_P12ihipStream_tbPNSt15iterator_traitsISN_E10value_typeEPNST_ISO_E10value_typeEPSP_NS1_7vsmem_tEENKUlT_SN_SO_SP_E_clISG_PjSI_PS9_EESM_S12_SN_SO_SP_EUlS12_E0_NS1_11comp_targetILNS1_3genE0ELNS1_11target_archE4294967295ELNS1_3gpuE0ELNS1_3repE0EEENS1_38merge_mergepath_config_static_selectorELNS0_4arch9wavefront6targetE0EEEvSO_ ; -- Begin function _ZN7rocprim17ROCPRIM_400000_NS6detail17trampoline_kernelINS0_14default_configENS1_38merge_sort_block_merge_config_selectorIjN6thrust23THRUST_200600_302600_NS5tupleIffNS6_9null_typeES8_S8_S8_S8_S8_S8_S8_EEEEZZNS1_27merge_sort_block_merge_implIS3_NS6_6detail15normal_iteratorINS6_10device_ptrIjEEEENSD_INSE_IS9_EEEEjNS1_19radix_merge_compareILb0ELb0EjNS0_19identity_decomposerEEEEE10hipError_tT0_T1_T2_jT3_P12ihipStream_tbPNSt15iterator_traitsISN_E10value_typeEPNST_ISO_E10value_typeEPSP_NS1_7vsmem_tEENKUlT_SN_SO_SP_E_clISG_PjSI_PS9_EESM_S12_SN_SO_SP_EUlS12_E0_NS1_11comp_targetILNS1_3genE0ELNS1_11target_archE4294967295ELNS1_3gpuE0ELNS1_3repE0EEENS1_38merge_mergepath_config_static_selectorELNS0_4arch9wavefront6targetE0EEEvSO_
	.globl	_ZN7rocprim17ROCPRIM_400000_NS6detail17trampoline_kernelINS0_14default_configENS1_38merge_sort_block_merge_config_selectorIjN6thrust23THRUST_200600_302600_NS5tupleIffNS6_9null_typeES8_S8_S8_S8_S8_S8_S8_EEEEZZNS1_27merge_sort_block_merge_implIS3_NS6_6detail15normal_iteratorINS6_10device_ptrIjEEEENSD_INSE_IS9_EEEEjNS1_19radix_merge_compareILb0ELb0EjNS0_19identity_decomposerEEEEE10hipError_tT0_T1_T2_jT3_P12ihipStream_tbPNSt15iterator_traitsISN_E10value_typeEPNST_ISO_E10value_typeEPSP_NS1_7vsmem_tEENKUlT_SN_SO_SP_E_clISG_PjSI_PS9_EESM_S12_SN_SO_SP_EUlS12_E0_NS1_11comp_targetILNS1_3genE0ELNS1_11target_archE4294967295ELNS1_3gpuE0ELNS1_3repE0EEENS1_38merge_mergepath_config_static_selectorELNS0_4arch9wavefront6targetE0EEEvSO_
	.p2align	8
	.type	_ZN7rocprim17ROCPRIM_400000_NS6detail17trampoline_kernelINS0_14default_configENS1_38merge_sort_block_merge_config_selectorIjN6thrust23THRUST_200600_302600_NS5tupleIffNS6_9null_typeES8_S8_S8_S8_S8_S8_S8_EEEEZZNS1_27merge_sort_block_merge_implIS3_NS6_6detail15normal_iteratorINS6_10device_ptrIjEEEENSD_INSE_IS9_EEEEjNS1_19radix_merge_compareILb0ELb0EjNS0_19identity_decomposerEEEEE10hipError_tT0_T1_T2_jT3_P12ihipStream_tbPNSt15iterator_traitsISN_E10value_typeEPNST_ISO_E10value_typeEPSP_NS1_7vsmem_tEENKUlT_SN_SO_SP_E_clISG_PjSI_PS9_EESM_S12_SN_SO_SP_EUlS12_E0_NS1_11comp_targetILNS1_3genE0ELNS1_11target_archE4294967295ELNS1_3gpuE0ELNS1_3repE0EEENS1_38merge_mergepath_config_static_selectorELNS0_4arch9wavefront6targetE0EEEvSO_,@function
_ZN7rocprim17ROCPRIM_400000_NS6detail17trampoline_kernelINS0_14default_configENS1_38merge_sort_block_merge_config_selectorIjN6thrust23THRUST_200600_302600_NS5tupleIffNS6_9null_typeES8_S8_S8_S8_S8_S8_S8_EEEEZZNS1_27merge_sort_block_merge_implIS3_NS6_6detail15normal_iteratorINS6_10device_ptrIjEEEENSD_INSE_IS9_EEEEjNS1_19radix_merge_compareILb0ELb0EjNS0_19identity_decomposerEEEEE10hipError_tT0_T1_T2_jT3_P12ihipStream_tbPNSt15iterator_traitsISN_E10value_typeEPNST_ISO_E10value_typeEPSP_NS1_7vsmem_tEENKUlT_SN_SO_SP_E_clISG_PjSI_PS9_EESM_S12_SN_SO_SP_EUlS12_E0_NS1_11comp_targetILNS1_3genE0ELNS1_11target_archE4294967295ELNS1_3gpuE0ELNS1_3repE0EEENS1_38merge_mergepath_config_static_selectorELNS0_4arch9wavefront6targetE0EEEvSO_: ; @_ZN7rocprim17ROCPRIM_400000_NS6detail17trampoline_kernelINS0_14default_configENS1_38merge_sort_block_merge_config_selectorIjN6thrust23THRUST_200600_302600_NS5tupleIffNS6_9null_typeES8_S8_S8_S8_S8_S8_S8_EEEEZZNS1_27merge_sort_block_merge_implIS3_NS6_6detail15normal_iteratorINS6_10device_ptrIjEEEENSD_INSE_IS9_EEEEjNS1_19radix_merge_compareILb0ELb0EjNS0_19identity_decomposerEEEEE10hipError_tT0_T1_T2_jT3_P12ihipStream_tbPNSt15iterator_traitsISN_E10value_typeEPNST_ISO_E10value_typeEPSP_NS1_7vsmem_tEENKUlT_SN_SO_SP_E_clISG_PjSI_PS9_EESM_S12_SN_SO_SP_EUlS12_E0_NS1_11comp_targetILNS1_3genE0ELNS1_11target_archE4294967295ELNS1_3gpuE0ELNS1_3repE0EEENS1_38merge_mergepath_config_static_selectorELNS0_4arch9wavefront6targetE0EEEvSO_
; %bb.0:
	s_clause 0x1
	s_load_b32 s4, s[0:1], 0x30
	s_load_b64 s[16:17], s[0:1], 0x40
	s_bfe_u32 s2, ttmp6, 0x40010
	s_and_b32 s3, ttmp7, 0xffff
	s_add_co_i32 s2, s2, 1
	s_bfe_u32 s6, ttmp6, 0x4000c
	s_mul_i32 s2, s3, s2
	s_bfe_u32 s5, ttmp6, 0x40004
	s_add_co_i32 s6, s6, 1
	s_bfe_u32 s7, ttmp6, 0x40014
	s_add_co_i32 s5, s5, s2
	s_and_b32 s2, ttmp6, 15
	s_mul_i32 s6, ttmp9, s6
	s_lshr_b32 s8, ttmp7, 16
	s_add_co_i32 s7, s7, 1
	s_add_co_i32 s2, s2, s6
	s_mul_i32 s6, s8, s7
	s_bfe_u32 s7, ttmp6, 0x40008
	s_getreg_b32 s9, hwreg(HW_REG_IB_STS2, 6, 4)
	s_add_co_i32 s7, s7, s6
	s_cmp_eq_u32 s9, 0
	s_cselect_b32 s6, s8, s7
	s_cselect_b32 s3, s3, s5
	s_wait_kmcnt 0x0
	s_mul_i32 s6, s17, s6
	s_cselect_b32 s13, ttmp9, s2
	s_add_co_i32 s2, s6, s3
	s_mov_b32 s3, 0
	s_mul_i32 s2, s2, s16
	s_delay_alu instid0(SALU_CYCLE_1) | instskip(NEXT) | instid1(SALU_CYCLE_1)
	s_add_co_i32 s18, s2, s13
	s_cmp_ge_u32 s18, s4
	s_cbranch_scc1 .LBB57_38
; %bb.1:
	v_mov_b32_e32 v5, 0
	s_add_nc_u64 s[22:23], s[0:1], 64
	s_mov_b32 s19, s3
                                        ; implicit-def: $vgpr4
	global_load_b32 v1, v5, s[22:23] offset:14
	s_clause 0x1
	s_load_b256 s[4:11], s[0:1], 0x10
	s_load_b64 s[14:15], s[0:1], 0x38
	s_wait_kmcnt 0x0
	s_lshr_b32 s21, s10, 10
	s_delay_alu instid0(SALU_CYCLE_1)
	s_cmp_lg_u32 s18, s21
	s_cselect_b32 s20, -1, 0
	s_lshl_b64 s[24:25], s[18:19], 2
	s_lshr_b32 s2, s11, 9
	s_add_nc_u64 s[14:15], s[14:15], s[24:25]
	s_and_b32 s2, s2, 0x7ffffe
	s_load_b64 s[24:25], s[14:15], 0x0
	s_sub_co_i32 s2, 0, s2
	s_lshl_b32 s12, s18, 10
	s_wait_xcnt 0x0
	s_and_b32 s14, s18, s2
	s_or_b32 s2, s18, s2
	s_lshl_b32 s17, s14, 11
	s_lshl_b32 s14, s14, 10
	s_add_co_i32 s17, s17, s11
	s_sub_co_i32 s19, s12, s14
	s_sub_co_i32 s14, s17, s14
	s_add_co_i32 s17, s17, s19
	s_min_u32 s19, s10, s14
	s_add_co_i32 s11, s14, s11
	s_mov_b32 s15, s3
	s_wait_kmcnt 0x0
	s_sub_co_i32 s14, s17, s24
	s_sub_co_i32 s17, s17, s25
	s_min_u32 s14, s10, s14
	s_addk_co_i32 s17, 0x400
	s_cmp_eq_u32 s2, -1
	s_mov_b32 s2, s24
	s_cselect_b32 s11, s11, s17
	s_cselect_b32 s17, s19, s25
	s_lshl_b64 s[26:27], s[2:3], 2
	s_lshl_b64 s[28:29], s[14:15], 2
	s_min_u32 s19, s11, s10
	s_sub_co_i32 s11, s17, s24
	s_cmp_lt_u32 s13, s16
	s_mov_b32 s17, s3
	s_cselect_b32 s16, 12, 18
	s_cmp_eq_u32 s18, s21
	s_add_nc_u64 s[16:17], s[22:23], s[16:17]
	s_mov_b32 s18, s3
	s_load_u16 s13, s[16:17], 0x0
	s_wait_loadcnt 0x0
	v_lshrrev_b32_e32 v2, 16, v1
	v_and_b32_e32 v1, 0xffff, v1
	s_wait_xcnt 0x0
	s_load_b64 s[16:17], s[0:1], 0x8
	s_delay_alu instid0(VALU_DEP_1) | instskip(SKIP_1) | instid1(VALU_DEP_1)
	v_mul_lo_u32 v1, v1, v2
	s_wait_kmcnt 0x0
	v_mul_lo_u32 v9, v1, s13
	v_lshlrev_b32_e32 v2, 2, v0
	s_mov_b32 s13, -1
                                        ; implicit-def: $vgpr1
	s_add_nc_u64 s[0:1], s[16:17], s[26:27]
	s_add_nc_u64 s[16:17], s[16:17], s[28:29]
	s_delay_alu instid0(VALU_DEP_2)
	v_add_nc_u32_e32 v8, v9, v0
	s_cbranch_scc0 .LBB57_7
; %bb.2:
	s_and_not1_b32 vcc_lo, exec_lo, s13
	s_sub_co_i32 s13, s19, s14
	s_cbranch_vccz .LBB57_8
.LBB57_3:
	v_mov_b32_e32 v3, 0
	s_and_saveexec_b32 s19, s18
	s_cbranch_execz .LBB57_5
.LBB57_4:
	v_sub_co_u32 v6, vcc_lo, v4, s11
	v_mov_b32_e32 v7, 0
	s_delay_alu instid0(VALU_DEP_1) | instskip(NEXT) | instid1(VALU_DEP_1)
	v_mov_b32_e32 v5, v7
	v_lshl_add_u64 v[10:11], v[4:5], 2, s[0:1]
	s_delay_alu instid0(VALU_DEP_4) | instskip(NEXT) | instid1(VALU_DEP_1)
	v_lshl_add_u64 v[4:5], v[6:7], 2, s[16:17]
	v_dual_cndmask_b32 v5, v5, v11 :: v_dual_cndmask_b32 v4, v4, v10
	global_load_b32 v3, v[4:5], off
.LBB57_5:
	s_wait_xcnt 0x0
	s_or_b32 exec_lo, exec_lo, s19
	v_lshlrev_b32_e32 v4, 3, v0
	s_lshl_b64 s[0:1], s[2:3], 3
	s_lshl_b64 s[2:3], s[14:15], 3
	s_add_nc_u64 s[0:1], s[6:7], s[0:1]
	s_and_not1_b32 vcc_lo, exec_lo, s20
	s_add_nc_u64 s[2:3], s[6:7], s[2:3]
	s_wait_loadcnt 0x0
	ds_store_2addr_stride64_b32 v2, v1, v3 offset1:8
	s_cbranch_vccnz .LBB57_11
; %bb.6:
	v_sub_co_u32 v6, vcc_lo, v0, s11
	v_mov_b32_e32 v7, 0
	s_add_co_i32 s6, s13, s11
	s_delay_alu instid0(SALU_CYCLE_1) | instskip(SKIP_1) | instid1(VALU_DEP_2)
	v_mov_b32_e32 v12, s6
	s_mov_b32 s6, -1
	v_mov_b32_e32 v5, v7
	v_lshl_add_u64 v[6:7], v[6:7], 3, s[2:3]
	s_delay_alu instid0(VALU_DEP_2) | instskip(NEXT) | instid1(VALU_DEP_1)
	v_add_nc_u64_e32 v[10:11], s[0:1], v[4:5]
	v_dual_cndmask_b32 v7, v7, v11 :: v_dual_cndmask_b32 v6, v6, v10
	v_add_nc_u32_e32 v10, v9, v0
	global_load_b64 v[6:7], v[6:7], off
	s_cbranch_execz .LBB57_12
	s_branch .LBB57_15
.LBB57_7:
	v_sub_co_u32 v4, vcc_lo, v0, s11
	v_mov_b32_e32 v3, v5
	s_mov_b32 s18, -1
	s_delay_alu instid0(VALU_DEP_2) | instskip(NEXT) | instid1(VALU_DEP_2)
	v_lshl_add_u64 v[4:5], v[4:5], 2, s[16:17]
	v_add_nc_u64_e32 v[6:7], s[0:1], v[2:3]
	s_delay_alu instid0(VALU_DEP_1)
	v_dual_cndmask_b32 v5, v5, v7 :: v_dual_cndmask_b32 v4, v4, v6
	global_load_b32 v1, v[4:5], off
	s_wait_xcnt 0x0
	v_add_nc_u32_e32 v4, v9, v0
	s_sub_co_i32 s13, s19, s14
	s_cbranch_execnz .LBB57_3
.LBB57_8:
	s_wait_loadcnt 0x0
	v_mov_b32_e32 v1, 0
	s_add_co_i32 s18, s13, s11
	s_mov_b32 s19, exec_lo
	v_cmpx_gt_u32_e64 s18, v0
	s_cbranch_execz .LBB57_10
; %bb.9:
	v_sub_co_u32 v6, vcc_lo, v0, s11
	v_mov_b32_e32 v3, 0
	s_delay_alu instid0(VALU_DEP_1) | instskip(SKIP_1) | instid1(VALU_DEP_1)
	v_add_nc_u64_e32 v[4:5], s[0:1], v[2:3]
	v_mov_b32_e32 v7, v3
	v_lshl_add_u64 v[6:7], v[6:7], 2, s[16:17]
	s_delay_alu instid0(VALU_DEP_1)
	v_dual_cndmask_b32 v5, v7, v5 :: v_dual_cndmask_b32 v4, v6, v4
	global_load_b32 v1, v[4:5], off
.LBB57_10:
	s_wait_xcnt 0x0
	s_or_b32 exec_lo, exec_lo, s19
	v_add_nc_u32_e32 v4, v9, v0
	s_delay_alu instid0(VALU_DEP_1)
	v_cmp_gt_u32_e64 s18, s18, v4
	v_mov_b32_e32 v3, 0
	s_and_saveexec_b32 s19, s18
	s_cbranch_execnz .LBB57_4
	s_branch .LBB57_5
.LBB57_11:
	s_mov_b32 s6, 0
                                        ; implicit-def: $vgpr10
                                        ; implicit-def: $vgpr6_vgpr7
                                        ; implicit-def: $vgpr12
.LBB57_12:
	s_wait_loadcnt 0x0
	v_mov_b64_e32 v[6:7], 0
	s_add_co_i32 s7, s13, s11
	s_mov_b32 s6, exec_lo
	v_cmpx_gt_u32_e64 s7, v0
	s_cbranch_execz .LBB57_14
; %bb.13:
	v_sub_co_u32 v10, vcc_lo, v0, s11
	v_mov_b32_e32 v5, 0
	s_delay_alu instid0(VALU_DEP_1) | instskip(SKIP_1) | instid1(VALU_DEP_1)
	v_add_nc_u64_e32 v[6:7], s[0:1], v[4:5]
	v_mov_b32_e32 v11, v5
	v_lshl_add_u64 v[10:11], v[10:11], 3, s[2:3]
	s_delay_alu instid0(VALU_DEP_1)
	v_dual_cndmask_b32 v7, v11, v7 :: v_dual_cndmask_b32 v6, v10, v6
	global_load_b64 v[6:7], v[6:7], off
.LBB57_14:
	s_wait_xcnt 0x0
	s_or_b32 exec_lo, exec_lo, s6
	v_cmp_gt_u32_e64 s6, s7, v8
	v_dual_mov_b32 v12, s7 :: v_dual_mov_b32 v10, v8
.LBB57_15:
	v_dual_mov_b32 v8, 0 :: v_dual_mov_b32 v9, 0
	s_wait_xcnt 0x0
	s_delay_alu instid0(VALU_DEP_3)
	s_and_saveexec_b32 s7, s6
	s_cbranch_execz .LBB57_17
; %bb.16:
	v_sub_co_u32 v8, vcc_lo, v10, s11
	v_mov_b32_e32 v9, 0
	s_delay_alu instid0(VALU_DEP_1) | instskip(NEXT) | instid1(VALU_DEP_3)
	v_mov_b32_e32 v11, v9
	v_lshl_add_u64 v[8:9], v[8:9], 3, s[2:3]
	s_delay_alu instid0(VALU_DEP_2) | instskip(NEXT) | instid1(VALU_DEP_1)
	v_lshl_add_u64 v[14:15], v[10:11], 3, s[0:1]
	v_dual_cndmask_b32 v9, v9, v15 :: v_dual_cndmask_b32 v8, v8, v14
	global_load_b64 v[8:9], v[8:9], off
.LBB57_17:
	s_wait_xcnt 0x0
	s_or_b32 exec_lo, exec_lo, s7
	v_lshlrev_b32_e32 v5, 1, v0
	s_mov_b32 s0, exec_lo
	s_wait_loadcnt_dscnt 0x0
	s_barrier_signal -1
	s_barrier_wait -1
	v_min_u32_e32 v11, v12, v5
	s_delay_alu instid0(VALU_DEP_1) | instskip(SKIP_1) | instid1(VALU_DEP_1)
	v_sub_nc_u32_e64 v10, v11, s13 clamp
	v_min_u32_e32 v13, s11, v11
	v_cmpx_lt_u32_e64 v10, v13
	s_cbranch_execz .LBB57_21
; %bb.18:
	v_lshlrev_b32_e32 v14, 2, v11
	s_mov_b32 s1, 0
	s_delay_alu instid0(VALU_DEP_1)
	v_lshl_add_u32 v14, s11, 2, v14
.LBB57_19:                              ; =>This Inner Loop Header: Depth=1
	v_add_nc_u32_e32 v15, v13, v10
	s_delay_alu instid0(VALU_DEP_1) | instskip(NEXT) | instid1(VALU_DEP_1)
	v_lshrrev_b32_e32 v15, 1, v15
	v_not_b32_e32 v16, v15
	v_dual_lshlrev_b32 v17, 2, v15 :: v_dual_add_nc_u32 v18, 1, v15
	s_delay_alu instid0(VALU_DEP_2)
	v_lshl_add_u32 v16, v16, 2, v14
	ds_load_b32 v17, v17
	ds_load_b32 v16, v16
	s_wait_dscnt 0x0
	v_cmp_gt_u32_e32 vcc_lo, v17, v16
	v_dual_cndmask_b32 v13, v13, v15 :: v_dual_cndmask_b32 v10, v18, v10
	s_delay_alu instid0(VALU_DEP_1) | instskip(SKIP_1) | instid1(SALU_CYCLE_1)
	v_cmp_ge_u32_e32 vcc_lo, v10, v13
	s_or_b32 s1, vcc_lo, s1
	s_and_not1_b32 exec_lo, exec_lo, s1
	s_cbranch_execnz .LBB57_19
; %bb.20:
	s_or_b32 exec_lo, exec_lo, s1
.LBB57_21:
	s_delay_alu instid0(SALU_CYCLE_1) | instskip(SKIP_2) | instid1(VALU_DEP_2)
	s_or_b32 exec_lo, exec_lo, s0
	v_dual_mov_b32 v14, 0 :: v_dual_sub_nc_u32 v11, v11, v10
	v_cmp_ge_u32_e32 vcc_lo, s11, v10
	v_dual_add_nc_u32 v13, s11, v11 :: v_dual_mov_b32 v11, 0
	s_delay_alu instid0(VALU_DEP_1) | instskip(SKIP_1) | instid1(SALU_CYCLE_1)
	v_cmp_le_u32_e64 s0, v13, v12
	s_or_b32 s0, vcc_lo, s0
	s_and_saveexec_b32 s3, s0
	s_cbranch_execz .LBB57_27
; %bb.22:
	v_cmp_gt_u32_e32 vcc_lo, s11, v10
                                        ; implicit-def: $vgpr1
	s_and_saveexec_b32 s0, vcc_lo
; %bb.23:
	v_lshlrev_b32_e32 v1, 2, v10
	ds_load_b32 v1, v1
; %bb.24:
	s_or_b32 exec_lo, exec_lo, s0
	v_cmp_ge_u32_e64 s0, v13, v12
	s_mov_b32 s2, exec_lo
                                        ; implicit-def: $vgpr3
	v_cmpx_lt_u32_e64 v13, v12
; %bb.25:
	v_lshlrev_b32_e32 v3, 2, v13
	ds_load_b32 v3, v3
; %bb.26:
	s_or_b32 exec_lo, exec_lo, s2
	s_wait_dscnt 0x0
	v_cmp_le_u32_e64 s1, v1, v3
	s_and_b32 s1, vcc_lo, s1
	s_delay_alu instid0(SALU_CYCLE_1) | instskip(SKIP_2) | instid1(VALU_DEP_2)
	s_or_b32 vcc_lo, s0, s1
	v_cndmask_b32_e32 v11, v13, v10, vcc_lo
	v_cndmask_b32_e64 v14, v12, s11, vcc_lo
	v_add_nc_u32_e32 v15, 1, v11
	s_delay_alu instid0(VALU_DEP_1) | instskip(NEXT) | instid1(VALU_DEP_1)
	v_add_min_u32_e64 v14, v14, -1, v15
	v_dual_lshlrev_b32 v14, 2, v14 :: v_dual_cndmask_b32 v10, v10, v15, vcc_lo
	v_cndmask_b32_e32 v13, v15, v13, vcc_lo
	ds_load_b32 v14, v14
	v_cmp_gt_u32_e64 s0, s11, v10
	v_cmp_ge_u32_e64 s2, v13, v12
	s_wait_dscnt 0x0
	v_dual_cndmask_b32 v16, v14, v3 :: v_dual_cndmask_b32 v17, v1, v14
	v_cndmask_b32_e32 v1, v3, v1, vcc_lo
	s_delay_alu instid0(VALU_DEP_2) | instskip(SKIP_1) | instid1(SALU_CYCLE_1)
	v_cmp_le_u32_e64 s1, v17, v16
	s_and_b32 s0, s0, s1
	s_or_b32 vcc_lo, s2, s0
	v_dual_cndmask_b32 v14, v13, v10 :: v_dual_cndmask_b32 v3, v16, v17
.LBB57_27:
	s_or_b32 exec_lo, exec_lo, s3
	v_lshl_add_u32 v15, v0, 2, v2
	s_barrier_signal -1
	s_barrier_wait -1
	ds_store_2addr_stride64_b64 v15, v[6:7], v[8:9] offset1:8
	v_dual_lshlrev_b32 v6, 3, v11 :: v_dual_lshlrev_b32 v8, 3, v14
	v_dual_lshrrev_b32 v10, 4, v0 :: v_dual_lshrrev_b32 v11, 5, v0
	s_wait_dscnt 0x0
	s_barrier_signal -1
	s_barrier_wait -1
	ds_load_b64 v[6:7], v6
	ds_load_b64 v[8:9], v8
	v_lshl_add_u32 v14, v10, 2, v15
	v_or_b32_e32 v12, 0x200, v0
	s_mov_b32 s13, 0
	s_wait_dscnt 0x0
	s_barrier_signal -1
	s_barrier_wait -1
	s_barrier_signal -1
	s_barrier_wait -1
	v_add_nc_u32_e32 v5, v10, v5
	ds_store_2addr_b32 v14, v1, v3 offset1:1
	v_dual_lshrrev_b32 v1, 5, v12 :: v_dual_mov_b32 v3, 0
	v_add_nc_u32_e32 v10, v11, v0
	s_lshl_b64 s[0:1], s[12:13], 2
	v_lshl_add_u32 v11, v11, 2, v2
	s_add_nc_u64 s[0:1], s[4:5], s[0:1]
	v_lshl_add_u32 v13, v1, 2, v2
	v_add_nc_u64_e32 v[2:3], s[0:1], v[2:3]
	v_lshl_add_u32 v5, v5, 2, v14
	v_lshl_add_u32 v1, v1, 3, v15
	s_and_b32 vcc_lo, exec_lo, s20
	s_mov_b32 s0, -1
	s_wait_dscnt 0x0
	s_cbranch_vccz .LBB57_29
; %bb.28:
	s_barrier_signal -1
	s_barrier_wait -1
	ds_load_b32 v14, v11
	ds_load_b32 v15, v13 offset:2048
	v_lshl_add_u32 v16, v10, 2, v11
	s_lshl_b64 s[0:1], s[12:13], 3
	s_wait_dscnt 0x1
	global_store_b32 v[2:3], v14, off
	s_wait_dscnt 0x0
	global_store_b32 v[2:3], v15, off offset:2048
	s_wait_storecnt 0x0
	s_barrier_signal -1
	s_barrier_wait -1
	ds_store_2addr_b64 v5, v[6:7], v[8:9] offset1:1
	s_wait_dscnt 0x0
	s_barrier_signal -1
	s_barrier_wait -1
	s_wait_xcnt 0x0
	ds_load_b64 v[14:15], v16
	ds_load_b64 v[16:17], v1 offset:4096
	s_add_nc_u64 s[2:3], s[8:9], s[0:1]
	s_mov_b32 s0, s13
	s_wait_dscnt 0x1
	global_store_b64 v0, v[14:15], s[2:3] scale_offset
	s_wait_dscnt 0x0
	global_store_b64 v0, v[16:17], s[2:3] offset:4096 scale_offset
.LBB57_29:
	s_and_not1_b32 vcc_lo, exec_lo, s0
	s_cbranch_vccnz .LBB57_38
; %bb.30:
	s_barrier_signal -1
	s_barrier_wait -1
	s_wait_storecnt 0x0
	ds_load_b32 v13, v13 offset:2048
	s_sub_co_i32 s0, s10, s12
	s_delay_alu instid0(SALU_CYCLE_1)
	v_cmp_gt_u32_e32 vcc_lo, s0, v0
	s_wait_xcnt 0x0
	s_and_saveexec_b32 s1, vcc_lo
	s_cbranch_execz .LBB57_32
; %bb.31:
	ds_load_b32 v0, v11
	s_wait_dscnt 0x0
	global_store_b32 v[2:3], v0, off
.LBB57_32:
	s_wait_xcnt 0x0
	s_or_b32 exec_lo, exec_lo, s1
	v_cmp_gt_u32_e64 s0, s0, v12
	s_and_saveexec_b32 s1, s0
	s_cbranch_execz .LBB57_34
; %bb.33:
	s_wait_dscnt 0x0
	global_store_b32 v[2:3], v13, off offset:2048
.LBB57_34:
	s_wait_xcnt 0x0
	s_or_b32 exec_lo, exec_lo, s1
	s_wait_storecnt_dscnt 0x0
	s_barrier_signal -1
	s_barrier_wait -1
	ds_store_2addr_b64 v5, v[6:7], v[8:9] offset1:1
	s_wait_dscnt 0x0
	s_barrier_signal -1
	s_barrier_wait -1
	ds_load_b64 v[0:1], v1 offset:4096
	v_mov_b32_e32 v5, 0
	s_lshl_b64 s[2:3], s[12:13], 3
	s_delay_alu instid0(SALU_CYCLE_1)
	s_add_nc_u64 s[2:3], s[8:9], s[2:3]
	s_delay_alu instid0(VALU_DEP_1) | instid1(SALU_CYCLE_1)
	v_add_nc_u64_e32 v[2:3], s[2:3], v[4:5]
	s_and_saveexec_b32 s1, vcc_lo
	s_cbranch_execz .LBB57_36
; %bb.35:
	v_lshl_add_u32 v4, v10, 2, v11
	ds_load_b64 v[4:5], v4
	s_wait_dscnt 0x0
	global_store_b64 v[2:3], v[4:5], off
.LBB57_36:
	s_wait_xcnt 0x0
	s_or_b32 exec_lo, exec_lo, s1
	s_and_saveexec_b32 s1, s0
	s_cbranch_execz .LBB57_38
; %bb.37:
	s_wait_dscnt 0x0
	global_store_b64 v[2:3], v[0:1], off offset:4096
.LBB57_38:
	s_endpgm
	.section	.rodata,"a",@progbits
	.p2align	6, 0x0
	.amdhsa_kernel _ZN7rocprim17ROCPRIM_400000_NS6detail17trampoline_kernelINS0_14default_configENS1_38merge_sort_block_merge_config_selectorIjN6thrust23THRUST_200600_302600_NS5tupleIffNS6_9null_typeES8_S8_S8_S8_S8_S8_S8_EEEEZZNS1_27merge_sort_block_merge_implIS3_NS6_6detail15normal_iteratorINS6_10device_ptrIjEEEENSD_INSE_IS9_EEEEjNS1_19radix_merge_compareILb0ELb0EjNS0_19identity_decomposerEEEEE10hipError_tT0_T1_T2_jT3_P12ihipStream_tbPNSt15iterator_traitsISN_E10value_typeEPNST_ISO_E10value_typeEPSP_NS1_7vsmem_tEENKUlT_SN_SO_SP_E_clISG_PjSI_PS9_EESM_S12_SN_SO_SP_EUlS12_E0_NS1_11comp_targetILNS1_3genE0ELNS1_11target_archE4294967295ELNS1_3gpuE0ELNS1_3repE0EEENS1_38merge_mergepath_config_static_selectorELNS0_4arch9wavefront6targetE0EEEvSO_
		.amdhsa_group_segment_fixed_size 8448
		.amdhsa_private_segment_fixed_size 0
		.amdhsa_kernarg_size 320
		.amdhsa_user_sgpr_count 2
		.amdhsa_user_sgpr_dispatch_ptr 0
		.amdhsa_user_sgpr_queue_ptr 0
		.amdhsa_user_sgpr_kernarg_segment_ptr 1
		.amdhsa_user_sgpr_dispatch_id 0
		.amdhsa_user_sgpr_kernarg_preload_length 0
		.amdhsa_user_sgpr_kernarg_preload_offset 0
		.amdhsa_user_sgpr_private_segment_size 0
		.amdhsa_wavefront_size32 1
		.amdhsa_uses_dynamic_stack 0
		.amdhsa_enable_private_segment 0
		.amdhsa_system_sgpr_workgroup_id_x 1
		.amdhsa_system_sgpr_workgroup_id_y 1
		.amdhsa_system_sgpr_workgroup_id_z 1
		.amdhsa_system_sgpr_workgroup_info 0
		.amdhsa_system_vgpr_workitem_id 0
		.amdhsa_next_free_vgpr 19
		.amdhsa_next_free_sgpr 30
		.amdhsa_named_barrier_count 0
		.amdhsa_reserve_vcc 1
		.amdhsa_float_round_mode_32 0
		.amdhsa_float_round_mode_16_64 0
		.amdhsa_float_denorm_mode_32 3
		.amdhsa_float_denorm_mode_16_64 3
		.amdhsa_fp16_overflow 0
		.amdhsa_memory_ordered 1
		.amdhsa_forward_progress 1
		.amdhsa_inst_pref_size 17
		.amdhsa_round_robin_scheduling 0
		.amdhsa_exception_fp_ieee_invalid_op 0
		.amdhsa_exception_fp_denorm_src 0
		.amdhsa_exception_fp_ieee_div_zero 0
		.amdhsa_exception_fp_ieee_overflow 0
		.amdhsa_exception_fp_ieee_underflow 0
		.amdhsa_exception_fp_ieee_inexact 0
		.amdhsa_exception_int_div_zero 0
	.end_amdhsa_kernel
	.section	.text._ZN7rocprim17ROCPRIM_400000_NS6detail17trampoline_kernelINS0_14default_configENS1_38merge_sort_block_merge_config_selectorIjN6thrust23THRUST_200600_302600_NS5tupleIffNS6_9null_typeES8_S8_S8_S8_S8_S8_S8_EEEEZZNS1_27merge_sort_block_merge_implIS3_NS6_6detail15normal_iteratorINS6_10device_ptrIjEEEENSD_INSE_IS9_EEEEjNS1_19radix_merge_compareILb0ELb0EjNS0_19identity_decomposerEEEEE10hipError_tT0_T1_T2_jT3_P12ihipStream_tbPNSt15iterator_traitsISN_E10value_typeEPNST_ISO_E10value_typeEPSP_NS1_7vsmem_tEENKUlT_SN_SO_SP_E_clISG_PjSI_PS9_EESM_S12_SN_SO_SP_EUlS12_E0_NS1_11comp_targetILNS1_3genE0ELNS1_11target_archE4294967295ELNS1_3gpuE0ELNS1_3repE0EEENS1_38merge_mergepath_config_static_selectorELNS0_4arch9wavefront6targetE0EEEvSO_,"axG",@progbits,_ZN7rocprim17ROCPRIM_400000_NS6detail17trampoline_kernelINS0_14default_configENS1_38merge_sort_block_merge_config_selectorIjN6thrust23THRUST_200600_302600_NS5tupleIffNS6_9null_typeES8_S8_S8_S8_S8_S8_S8_EEEEZZNS1_27merge_sort_block_merge_implIS3_NS6_6detail15normal_iteratorINS6_10device_ptrIjEEEENSD_INSE_IS9_EEEEjNS1_19radix_merge_compareILb0ELb0EjNS0_19identity_decomposerEEEEE10hipError_tT0_T1_T2_jT3_P12ihipStream_tbPNSt15iterator_traitsISN_E10value_typeEPNST_ISO_E10value_typeEPSP_NS1_7vsmem_tEENKUlT_SN_SO_SP_E_clISG_PjSI_PS9_EESM_S12_SN_SO_SP_EUlS12_E0_NS1_11comp_targetILNS1_3genE0ELNS1_11target_archE4294967295ELNS1_3gpuE0ELNS1_3repE0EEENS1_38merge_mergepath_config_static_selectorELNS0_4arch9wavefront6targetE0EEEvSO_,comdat
.Lfunc_end57:
	.size	_ZN7rocprim17ROCPRIM_400000_NS6detail17trampoline_kernelINS0_14default_configENS1_38merge_sort_block_merge_config_selectorIjN6thrust23THRUST_200600_302600_NS5tupleIffNS6_9null_typeES8_S8_S8_S8_S8_S8_S8_EEEEZZNS1_27merge_sort_block_merge_implIS3_NS6_6detail15normal_iteratorINS6_10device_ptrIjEEEENSD_INSE_IS9_EEEEjNS1_19radix_merge_compareILb0ELb0EjNS0_19identity_decomposerEEEEE10hipError_tT0_T1_T2_jT3_P12ihipStream_tbPNSt15iterator_traitsISN_E10value_typeEPNST_ISO_E10value_typeEPSP_NS1_7vsmem_tEENKUlT_SN_SO_SP_E_clISG_PjSI_PS9_EESM_S12_SN_SO_SP_EUlS12_E0_NS1_11comp_targetILNS1_3genE0ELNS1_11target_archE4294967295ELNS1_3gpuE0ELNS1_3repE0EEENS1_38merge_mergepath_config_static_selectorELNS0_4arch9wavefront6targetE0EEEvSO_, .Lfunc_end57-_ZN7rocprim17ROCPRIM_400000_NS6detail17trampoline_kernelINS0_14default_configENS1_38merge_sort_block_merge_config_selectorIjN6thrust23THRUST_200600_302600_NS5tupleIffNS6_9null_typeES8_S8_S8_S8_S8_S8_S8_EEEEZZNS1_27merge_sort_block_merge_implIS3_NS6_6detail15normal_iteratorINS6_10device_ptrIjEEEENSD_INSE_IS9_EEEEjNS1_19radix_merge_compareILb0ELb0EjNS0_19identity_decomposerEEEEE10hipError_tT0_T1_T2_jT3_P12ihipStream_tbPNSt15iterator_traitsISN_E10value_typeEPNST_ISO_E10value_typeEPSP_NS1_7vsmem_tEENKUlT_SN_SO_SP_E_clISG_PjSI_PS9_EESM_S12_SN_SO_SP_EUlS12_E0_NS1_11comp_targetILNS1_3genE0ELNS1_11target_archE4294967295ELNS1_3gpuE0ELNS1_3repE0EEENS1_38merge_mergepath_config_static_selectorELNS0_4arch9wavefront6targetE0EEEvSO_
                                        ; -- End function
	.set _ZN7rocprim17ROCPRIM_400000_NS6detail17trampoline_kernelINS0_14default_configENS1_38merge_sort_block_merge_config_selectorIjN6thrust23THRUST_200600_302600_NS5tupleIffNS6_9null_typeES8_S8_S8_S8_S8_S8_S8_EEEEZZNS1_27merge_sort_block_merge_implIS3_NS6_6detail15normal_iteratorINS6_10device_ptrIjEEEENSD_INSE_IS9_EEEEjNS1_19radix_merge_compareILb0ELb0EjNS0_19identity_decomposerEEEEE10hipError_tT0_T1_T2_jT3_P12ihipStream_tbPNSt15iterator_traitsISN_E10value_typeEPNST_ISO_E10value_typeEPSP_NS1_7vsmem_tEENKUlT_SN_SO_SP_E_clISG_PjSI_PS9_EESM_S12_SN_SO_SP_EUlS12_E0_NS1_11comp_targetILNS1_3genE0ELNS1_11target_archE4294967295ELNS1_3gpuE0ELNS1_3repE0EEENS1_38merge_mergepath_config_static_selectorELNS0_4arch9wavefront6targetE0EEEvSO_.num_vgpr, 19
	.set _ZN7rocprim17ROCPRIM_400000_NS6detail17trampoline_kernelINS0_14default_configENS1_38merge_sort_block_merge_config_selectorIjN6thrust23THRUST_200600_302600_NS5tupleIffNS6_9null_typeES8_S8_S8_S8_S8_S8_S8_EEEEZZNS1_27merge_sort_block_merge_implIS3_NS6_6detail15normal_iteratorINS6_10device_ptrIjEEEENSD_INSE_IS9_EEEEjNS1_19radix_merge_compareILb0ELb0EjNS0_19identity_decomposerEEEEE10hipError_tT0_T1_T2_jT3_P12ihipStream_tbPNSt15iterator_traitsISN_E10value_typeEPNST_ISO_E10value_typeEPSP_NS1_7vsmem_tEENKUlT_SN_SO_SP_E_clISG_PjSI_PS9_EESM_S12_SN_SO_SP_EUlS12_E0_NS1_11comp_targetILNS1_3genE0ELNS1_11target_archE4294967295ELNS1_3gpuE0ELNS1_3repE0EEENS1_38merge_mergepath_config_static_selectorELNS0_4arch9wavefront6targetE0EEEvSO_.num_agpr, 0
	.set _ZN7rocprim17ROCPRIM_400000_NS6detail17trampoline_kernelINS0_14default_configENS1_38merge_sort_block_merge_config_selectorIjN6thrust23THRUST_200600_302600_NS5tupleIffNS6_9null_typeES8_S8_S8_S8_S8_S8_S8_EEEEZZNS1_27merge_sort_block_merge_implIS3_NS6_6detail15normal_iteratorINS6_10device_ptrIjEEEENSD_INSE_IS9_EEEEjNS1_19radix_merge_compareILb0ELb0EjNS0_19identity_decomposerEEEEE10hipError_tT0_T1_T2_jT3_P12ihipStream_tbPNSt15iterator_traitsISN_E10value_typeEPNST_ISO_E10value_typeEPSP_NS1_7vsmem_tEENKUlT_SN_SO_SP_E_clISG_PjSI_PS9_EESM_S12_SN_SO_SP_EUlS12_E0_NS1_11comp_targetILNS1_3genE0ELNS1_11target_archE4294967295ELNS1_3gpuE0ELNS1_3repE0EEENS1_38merge_mergepath_config_static_selectorELNS0_4arch9wavefront6targetE0EEEvSO_.numbered_sgpr, 30
	.set _ZN7rocprim17ROCPRIM_400000_NS6detail17trampoline_kernelINS0_14default_configENS1_38merge_sort_block_merge_config_selectorIjN6thrust23THRUST_200600_302600_NS5tupleIffNS6_9null_typeES8_S8_S8_S8_S8_S8_S8_EEEEZZNS1_27merge_sort_block_merge_implIS3_NS6_6detail15normal_iteratorINS6_10device_ptrIjEEEENSD_INSE_IS9_EEEEjNS1_19radix_merge_compareILb0ELb0EjNS0_19identity_decomposerEEEEE10hipError_tT0_T1_T2_jT3_P12ihipStream_tbPNSt15iterator_traitsISN_E10value_typeEPNST_ISO_E10value_typeEPSP_NS1_7vsmem_tEENKUlT_SN_SO_SP_E_clISG_PjSI_PS9_EESM_S12_SN_SO_SP_EUlS12_E0_NS1_11comp_targetILNS1_3genE0ELNS1_11target_archE4294967295ELNS1_3gpuE0ELNS1_3repE0EEENS1_38merge_mergepath_config_static_selectorELNS0_4arch9wavefront6targetE0EEEvSO_.num_named_barrier, 0
	.set _ZN7rocprim17ROCPRIM_400000_NS6detail17trampoline_kernelINS0_14default_configENS1_38merge_sort_block_merge_config_selectorIjN6thrust23THRUST_200600_302600_NS5tupleIffNS6_9null_typeES8_S8_S8_S8_S8_S8_S8_EEEEZZNS1_27merge_sort_block_merge_implIS3_NS6_6detail15normal_iteratorINS6_10device_ptrIjEEEENSD_INSE_IS9_EEEEjNS1_19radix_merge_compareILb0ELb0EjNS0_19identity_decomposerEEEEE10hipError_tT0_T1_T2_jT3_P12ihipStream_tbPNSt15iterator_traitsISN_E10value_typeEPNST_ISO_E10value_typeEPSP_NS1_7vsmem_tEENKUlT_SN_SO_SP_E_clISG_PjSI_PS9_EESM_S12_SN_SO_SP_EUlS12_E0_NS1_11comp_targetILNS1_3genE0ELNS1_11target_archE4294967295ELNS1_3gpuE0ELNS1_3repE0EEENS1_38merge_mergepath_config_static_selectorELNS0_4arch9wavefront6targetE0EEEvSO_.private_seg_size, 0
	.set _ZN7rocprim17ROCPRIM_400000_NS6detail17trampoline_kernelINS0_14default_configENS1_38merge_sort_block_merge_config_selectorIjN6thrust23THRUST_200600_302600_NS5tupleIffNS6_9null_typeES8_S8_S8_S8_S8_S8_S8_EEEEZZNS1_27merge_sort_block_merge_implIS3_NS6_6detail15normal_iteratorINS6_10device_ptrIjEEEENSD_INSE_IS9_EEEEjNS1_19radix_merge_compareILb0ELb0EjNS0_19identity_decomposerEEEEE10hipError_tT0_T1_T2_jT3_P12ihipStream_tbPNSt15iterator_traitsISN_E10value_typeEPNST_ISO_E10value_typeEPSP_NS1_7vsmem_tEENKUlT_SN_SO_SP_E_clISG_PjSI_PS9_EESM_S12_SN_SO_SP_EUlS12_E0_NS1_11comp_targetILNS1_3genE0ELNS1_11target_archE4294967295ELNS1_3gpuE0ELNS1_3repE0EEENS1_38merge_mergepath_config_static_selectorELNS0_4arch9wavefront6targetE0EEEvSO_.uses_vcc, 1
	.set _ZN7rocprim17ROCPRIM_400000_NS6detail17trampoline_kernelINS0_14default_configENS1_38merge_sort_block_merge_config_selectorIjN6thrust23THRUST_200600_302600_NS5tupleIffNS6_9null_typeES8_S8_S8_S8_S8_S8_S8_EEEEZZNS1_27merge_sort_block_merge_implIS3_NS6_6detail15normal_iteratorINS6_10device_ptrIjEEEENSD_INSE_IS9_EEEEjNS1_19radix_merge_compareILb0ELb0EjNS0_19identity_decomposerEEEEE10hipError_tT0_T1_T2_jT3_P12ihipStream_tbPNSt15iterator_traitsISN_E10value_typeEPNST_ISO_E10value_typeEPSP_NS1_7vsmem_tEENKUlT_SN_SO_SP_E_clISG_PjSI_PS9_EESM_S12_SN_SO_SP_EUlS12_E0_NS1_11comp_targetILNS1_3genE0ELNS1_11target_archE4294967295ELNS1_3gpuE0ELNS1_3repE0EEENS1_38merge_mergepath_config_static_selectorELNS0_4arch9wavefront6targetE0EEEvSO_.uses_flat_scratch, 0
	.set _ZN7rocprim17ROCPRIM_400000_NS6detail17trampoline_kernelINS0_14default_configENS1_38merge_sort_block_merge_config_selectorIjN6thrust23THRUST_200600_302600_NS5tupleIffNS6_9null_typeES8_S8_S8_S8_S8_S8_S8_EEEEZZNS1_27merge_sort_block_merge_implIS3_NS6_6detail15normal_iteratorINS6_10device_ptrIjEEEENSD_INSE_IS9_EEEEjNS1_19radix_merge_compareILb0ELb0EjNS0_19identity_decomposerEEEEE10hipError_tT0_T1_T2_jT3_P12ihipStream_tbPNSt15iterator_traitsISN_E10value_typeEPNST_ISO_E10value_typeEPSP_NS1_7vsmem_tEENKUlT_SN_SO_SP_E_clISG_PjSI_PS9_EESM_S12_SN_SO_SP_EUlS12_E0_NS1_11comp_targetILNS1_3genE0ELNS1_11target_archE4294967295ELNS1_3gpuE0ELNS1_3repE0EEENS1_38merge_mergepath_config_static_selectorELNS0_4arch9wavefront6targetE0EEEvSO_.has_dyn_sized_stack, 0
	.set _ZN7rocprim17ROCPRIM_400000_NS6detail17trampoline_kernelINS0_14default_configENS1_38merge_sort_block_merge_config_selectorIjN6thrust23THRUST_200600_302600_NS5tupleIffNS6_9null_typeES8_S8_S8_S8_S8_S8_S8_EEEEZZNS1_27merge_sort_block_merge_implIS3_NS6_6detail15normal_iteratorINS6_10device_ptrIjEEEENSD_INSE_IS9_EEEEjNS1_19radix_merge_compareILb0ELb0EjNS0_19identity_decomposerEEEEE10hipError_tT0_T1_T2_jT3_P12ihipStream_tbPNSt15iterator_traitsISN_E10value_typeEPNST_ISO_E10value_typeEPSP_NS1_7vsmem_tEENKUlT_SN_SO_SP_E_clISG_PjSI_PS9_EESM_S12_SN_SO_SP_EUlS12_E0_NS1_11comp_targetILNS1_3genE0ELNS1_11target_archE4294967295ELNS1_3gpuE0ELNS1_3repE0EEENS1_38merge_mergepath_config_static_selectorELNS0_4arch9wavefront6targetE0EEEvSO_.has_recursion, 0
	.set _ZN7rocprim17ROCPRIM_400000_NS6detail17trampoline_kernelINS0_14default_configENS1_38merge_sort_block_merge_config_selectorIjN6thrust23THRUST_200600_302600_NS5tupleIffNS6_9null_typeES8_S8_S8_S8_S8_S8_S8_EEEEZZNS1_27merge_sort_block_merge_implIS3_NS6_6detail15normal_iteratorINS6_10device_ptrIjEEEENSD_INSE_IS9_EEEEjNS1_19radix_merge_compareILb0ELb0EjNS0_19identity_decomposerEEEEE10hipError_tT0_T1_T2_jT3_P12ihipStream_tbPNSt15iterator_traitsISN_E10value_typeEPNST_ISO_E10value_typeEPSP_NS1_7vsmem_tEENKUlT_SN_SO_SP_E_clISG_PjSI_PS9_EESM_S12_SN_SO_SP_EUlS12_E0_NS1_11comp_targetILNS1_3genE0ELNS1_11target_archE4294967295ELNS1_3gpuE0ELNS1_3repE0EEENS1_38merge_mergepath_config_static_selectorELNS0_4arch9wavefront6targetE0EEEvSO_.has_indirect_call, 0
	.section	.AMDGPU.csdata,"",@progbits
; Kernel info:
; codeLenInByte = 2148
; TotalNumSgprs: 32
; NumVgprs: 19
; ScratchSize: 0
; MemoryBound: 0
; FloatMode: 240
; IeeeMode: 1
; LDSByteSize: 8448 bytes/workgroup (compile time only)
; SGPRBlocks: 0
; VGPRBlocks: 1
; NumSGPRsForWavesPerEU: 32
; NumVGPRsForWavesPerEU: 19
; NamedBarCnt: 0
; Occupancy: 16
; WaveLimiterHint : 1
; COMPUTE_PGM_RSRC2:SCRATCH_EN: 0
; COMPUTE_PGM_RSRC2:USER_SGPR: 2
; COMPUTE_PGM_RSRC2:TRAP_HANDLER: 0
; COMPUTE_PGM_RSRC2:TGID_X_EN: 1
; COMPUTE_PGM_RSRC2:TGID_Y_EN: 1
; COMPUTE_PGM_RSRC2:TGID_Z_EN: 1
; COMPUTE_PGM_RSRC2:TIDIG_COMP_CNT: 0
	.section	.text._ZN7rocprim17ROCPRIM_400000_NS6detail17trampoline_kernelINS0_14default_configENS1_38merge_sort_block_merge_config_selectorIjN6thrust23THRUST_200600_302600_NS5tupleIffNS6_9null_typeES8_S8_S8_S8_S8_S8_S8_EEEEZZNS1_27merge_sort_block_merge_implIS3_NS6_6detail15normal_iteratorINS6_10device_ptrIjEEEENSD_INSE_IS9_EEEEjNS1_19radix_merge_compareILb0ELb0EjNS0_19identity_decomposerEEEEE10hipError_tT0_T1_T2_jT3_P12ihipStream_tbPNSt15iterator_traitsISN_E10value_typeEPNST_ISO_E10value_typeEPSP_NS1_7vsmem_tEENKUlT_SN_SO_SP_E_clISG_PjSI_PS9_EESM_S12_SN_SO_SP_EUlS12_E0_NS1_11comp_targetILNS1_3genE10ELNS1_11target_archE1201ELNS1_3gpuE5ELNS1_3repE0EEENS1_38merge_mergepath_config_static_selectorELNS0_4arch9wavefront6targetE0EEEvSO_,"axG",@progbits,_ZN7rocprim17ROCPRIM_400000_NS6detail17trampoline_kernelINS0_14default_configENS1_38merge_sort_block_merge_config_selectorIjN6thrust23THRUST_200600_302600_NS5tupleIffNS6_9null_typeES8_S8_S8_S8_S8_S8_S8_EEEEZZNS1_27merge_sort_block_merge_implIS3_NS6_6detail15normal_iteratorINS6_10device_ptrIjEEEENSD_INSE_IS9_EEEEjNS1_19radix_merge_compareILb0ELb0EjNS0_19identity_decomposerEEEEE10hipError_tT0_T1_T2_jT3_P12ihipStream_tbPNSt15iterator_traitsISN_E10value_typeEPNST_ISO_E10value_typeEPSP_NS1_7vsmem_tEENKUlT_SN_SO_SP_E_clISG_PjSI_PS9_EESM_S12_SN_SO_SP_EUlS12_E0_NS1_11comp_targetILNS1_3genE10ELNS1_11target_archE1201ELNS1_3gpuE5ELNS1_3repE0EEENS1_38merge_mergepath_config_static_selectorELNS0_4arch9wavefront6targetE0EEEvSO_,comdat
	.protected	_ZN7rocprim17ROCPRIM_400000_NS6detail17trampoline_kernelINS0_14default_configENS1_38merge_sort_block_merge_config_selectorIjN6thrust23THRUST_200600_302600_NS5tupleIffNS6_9null_typeES8_S8_S8_S8_S8_S8_S8_EEEEZZNS1_27merge_sort_block_merge_implIS3_NS6_6detail15normal_iteratorINS6_10device_ptrIjEEEENSD_INSE_IS9_EEEEjNS1_19radix_merge_compareILb0ELb0EjNS0_19identity_decomposerEEEEE10hipError_tT0_T1_T2_jT3_P12ihipStream_tbPNSt15iterator_traitsISN_E10value_typeEPNST_ISO_E10value_typeEPSP_NS1_7vsmem_tEENKUlT_SN_SO_SP_E_clISG_PjSI_PS9_EESM_S12_SN_SO_SP_EUlS12_E0_NS1_11comp_targetILNS1_3genE10ELNS1_11target_archE1201ELNS1_3gpuE5ELNS1_3repE0EEENS1_38merge_mergepath_config_static_selectorELNS0_4arch9wavefront6targetE0EEEvSO_ ; -- Begin function _ZN7rocprim17ROCPRIM_400000_NS6detail17trampoline_kernelINS0_14default_configENS1_38merge_sort_block_merge_config_selectorIjN6thrust23THRUST_200600_302600_NS5tupleIffNS6_9null_typeES8_S8_S8_S8_S8_S8_S8_EEEEZZNS1_27merge_sort_block_merge_implIS3_NS6_6detail15normal_iteratorINS6_10device_ptrIjEEEENSD_INSE_IS9_EEEEjNS1_19radix_merge_compareILb0ELb0EjNS0_19identity_decomposerEEEEE10hipError_tT0_T1_T2_jT3_P12ihipStream_tbPNSt15iterator_traitsISN_E10value_typeEPNST_ISO_E10value_typeEPSP_NS1_7vsmem_tEENKUlT_SN_SO_SP_E_clISG_PjSI_PS9_EESM_S12_SN_SO_SP_EUlS12_E0_NS1_11comp_targetILNS1_3genE10ELNS1_11target_archE1201ELNS1_3gpuE5ELNS1_3repE0EEENS1_38merge_mergepath_config_static_selectorELNS0_4arch9wavefront6targetE0EEEvSO_
	.globl	_ZN7rocprim17ROCPRIM_400000_NS6detail17trampoline_kernelINS0_14default_configENS1_38merge_sort_block_merge_config_selectorIjN6thrust23THRUST_200600_302600_NS5tupleIffNS6_9null_typeES8_S8_S8_S8_S8_S8_S8_EEEEZZNS1_27merge_sort_block_merge_implIS3_NS6_6detail15normal_iteratorINS6_10device_ptrIjEEEENSD_INSE_IS9_EEEEjNS1_19radix_merge_compareILb0ELb0EjNS0_19identity_decomposerEEEEE10hipError_tT0_T1_T2_jT3_P12ihipStream_tbPNSt15iterator_traitsISN_E10value_typeEPNST_ISO_E10value_typeEPSP_NS1_7vsmem_tEENKUlT_SN_SO_SP_E_clISG_PjSI_PS9_EESM_S12_SN_SO_SP_EUlS12_E0_NS1_11comp_targetILNS1_3genE10ELNS1_11target_archE1201ELNS1_3gpuE5ELNS1_3repE0EEENS1_38merge_mergepath_config_static_selectorELNS0_4arch9wavefront6targetE0EEEvSO_
	.p2align	8
	.type	_ZN7rocprim17ROCPRIM_400000_NS6detail17trampoline_kernelINS0_14default_configENS1_38merge_sort_block_merge_config_selectorIjN6thrust23THRUST_200600_302600_NS5tupleIffNS6_9null_typeES8_S8_S8_S8_S8_S8_S8_EEEEZZNS1_27merge_sort_block_merge_implIS3_NS6_6detail15normal_iteratorINS6_10device_ptrIjEEEENSD_INSE_IS9_EEEEjNS1_19radix_merge_compareILb0ELb0EjNS0_19identity_decomposerEEEEE10hipError_tT0_T1_T2_jT3_P12ihipStream_tbPNSt15iterator_traitsISN_E10value_typeEPNST_ISO_E10value_typeEPSP_NS1_7vsmem_tEENKUlT_SN_SO_SP_E_clISG_PjSI_PS9_EESM_S12_SN_SO_SP_EUlS12_E0_NS1_11comp_targetILNS1_3genE10ELNS1_11target_archE1201ELNS1_3gpuE5ELNS1_3repE0EEENS1_38merge_mergepath_config_static_selectorELNS0_4arch9wavefront6targetE0EEEvSO_,@function
_ZN7rocprim17ROCPRIM_400000_NS6detail17trampoline_kernelINS0_14default_configENS1_38merge_sort_block_merge_config_selectorIjN6thrust23THRUST_200600_302600_NS5tupleIffNS6_9null_typeES8_S8_S8_S8_S8_S8_S8_EEEEZZNS1_27merge_sort_block_merge_implIS3_NS6_6detail15normal_iteratorINS6_10device_ptrIjEEEENSD_INSE_IS9_EEEEjNS1_19radix_merge_compareILb0ELb0EjNS0_19identity_decomposerEEEEE10hipError_tT0_T1_T2_jT3_P12ihipStream_tbPNSt15iterator_traitsISN_E10value_typeEPNST_ISO_E10value_typeEPSP_NS1_7vsmem_tEENKUlT_SN_SO_SP_E_clISG_PjSI_PS9_EESM_S12_SN_SO_SP_EUlS12_E0_NS1_11comp_targetILNS1_3genE10ELNS1_11target_archE1201ELNS1_3gpuE5ELNS1_3repE0EEENS1_38merge_mergepath_config_static_selectorELNS0_4arch9wavefront6targetE0EEEvSO_: ; @_ZN7rocprim17ROCPRIM_400000_NS6detail17trampoline_kernelINS0_14default_configENS1_38merge_sort_block_merge_config_selectorIjN6thrust23THRUST_200600_302600_NS5tupleIffNS6_9null_typeES8_S8_S8_S8_S8_S8_S8_EEEEZZNS1_27merge_sort_block_merge_implIS3_NS6_6detail15normal_iteratorINS6_10device_ptrIjEEEENSD_INSE_IS9_EEEEjNS1_19radix_merge_compareILb0ELb0EjNS0_19identity_decomposerEEEEE10hipError_tT0_T1_T2_jT3_P12ihipStream_tbPNSt15iterator_traitsISN_E10value_typeEPNST_ISO_E10value_typeEPSP_NS1_7vsmem_tEENKUlT_SN_SO_SP_E_clISG_PjSI_PS9_EESM_S12_SN_SO_SP_EUlS12_E0_NS1_11comp_targetILNS1_3genE10ELNS1_11target_archE1201ELNS1_3gpuE5ELNS1_3repE0EEENS1_38merge_mergepath_config_static_selectorELNS0_4arch9wavefront6targetE0EEEvSO_
; %bb.0:
	.section	.rodata,"a",@progbits
	.p2align	6, 0x0
	.amdhsa_kernel _ZN7rocprim17ROCPRIM_400000_NS6detail17trampoline_kernelINS0_14default_configENS1_38merge_sort_block_merge_config_selectorIjN6thrust23THRUST_200600_302600_NS5tupleIffNS6_9null_typeES8_S8_S8_S8_S8_S8_S8_EEEEZZNS1_27merge_sort_block_merge_implIS3_NS6_6detail15normal_iteratorINS6_10device_ptrIjEEEENSD_INSE_IS9_EEEEjNS1_19radix_merge_compareILb0ELb0EjNS0_19identity_decomposerEEEEE10hipError_tT0_T1_T2_jT3_P12ihipStream_tbPNSt15iterator_traitsISN_E10value_typeEPNST_ISO_E10value_typeEPSP_NS1_7vsmem_tEENKUlT_SN_SO_SP_E_clISG_PjSI_PS9_EESM_S12_SN_SO_SP_EUlS12_E0_NS1_11comp_targetILNS1_3genE10ELNS1_11target_archE1201ELNS1_3gpuE5ELNS1_3repE0EEENS1_38merge_mergepath_config_static_selectorELNS0_4arch9wavefront6targetE0EEEvSO_
		.amdhsa_group_segment_fixed_size 0
		.amdhsa_private_segment_fixed_size 0
		.amdhsa_kernarg_size 64
		.amdhsa_user_sgpr_count 2
		.amdhsa_user_sgpr_dispatch_ptr 0
		.amdhsa_user_sgpr_queue_ptr 0
		.amdhsa_user_sgpr_kernarg_segment_ptr 1
		.amdhsa_user_sgpr_dispatch_id 0
		.amdhsa_user_sgpr_kernarg_preload_length 0
		.amdhsa_user_sgpr_kernarg_preload_offset 0
		.amdhsa_user_sgpr_private_segment_size 0
		.amdhsa_wavefront_size32 1
		.amdhsa_uses_dynamic_stack 0
		.amdhsa_enable_private_segment 0
		.amdhsa_system_sgpr_workgroup_id_x 1
		.amdhsa_system_sgpr_workgroup_id_y 0
		.amdhsa_system_sgpr_workgroup_id_z 0
		.amdhsa_system_sgpr_workgroup_info 0
		.amdhsa_system_vgpr_workitem_id 0
		.amdhsa_next_free_vgpr 1
		.amdhsa_next_free_sgpr 1
		.amdhsa_named_barrier_count 0
		.amdhsa_reserve_vcc 0
		.amdhsa_float_round_mode_32 0
		.amdhsa_float_round_mode_16_64 0
		.amdhsa_float_denorm_mode_32 3
		.amdhsa_float_denorm_mode_16_64 3
		.amdhsa_fp16_overflow 0
		.amdhsa_memory_ordered 1
		.amdhsa_forward_progress 1
		.amdhsa_inst_pref_size 0
		.amdhsa_round_robin_scheduling 0
		.amdhsa_exception_fp_ieee_invalid_op 0
		.amdhsa_exception_fp_denorm_src 0
		.amdhsa_exception_fp_ieee_div_zero 0
		.amdhsa_exception_fp_ieee_overflow 0
		.amdhsa_exception_fp_ieee_underflow 0
		.amdhsa_exception_fp_ieee_inexact 0
		.amdhsa_exception_int_div_zero 0
	.end_amdhsa_kernel
	.section	.text._ZN7rocprim17ROCPRIM_400000_NS6detail17trampoline_kernelINS0_14default_configENS1_38merge_sort_block_merge_config_selectorIjN6thrust23THRUST_200600_302600_NS5tupleIffNS6_9null_typeES8_S8_S8_S8_S8_S8_S8_EEEEZZNS1_27merge_sort_block_merge_implIS3_NS6_6detail15normal_iteratorINS6_10device_ptrIjEEEENSD_INSE_IS9_EEEEjNS1_19radix_merge_compareILb0ELb0EjNS0_19identity_decomposerEEEEE10hipError_tT0_T1_T2_jT3_P12ihipStream_tbPNSt15iterator_traitsISN_E10value_typeEPNST_ISO_E10value_typeEPSP_NS1_7vsmem_tEENKUlT_SN_SO_SP_E_clISG_PjSI_PS9_EESM_S12_SN_SO_SP_EUlS12_E0_NS1_11comp_targetILNS1_3genE10ELNS1_11target_archE1201ELNS1_3gpuE5ELNS1_3repE0EEENS1_38merge_mergepath_config_static_selectorELNS0_4arch9wavefront6targetE0EEEvSO_,"axG",@progbits,_ZN7rocprim17ROCPRIM_400000_NS6detail17trampoline_kernelINS0_14default_configENS1_38merge_sort_block_merge_config_selectorIjN6thrust23THRUST_200600_302600_NS5tupleIffNS6_9null_typeES8_S8_S8_S8_S8_S8_S8_EEEEZZNS1_27merge_sort_block_merge_implIS3_NS6_6detail15normal_iteratorINS6_10device_ptrIjEEEENSD_INSE_IS9_EEEEjNS1_19radix_merge_compareILb0ELb0EjNS0_19identity_decomposerEEEEE10hipError_tT0_T1_T2_jT3_P12ihipStream_tbPNSt15iterator_traitsISN_E10value_typeEPNST_ISO_E10value_typeEPSP_NS1_7vsmem_tEENKUlT_SN_SO_SP_E_clISG_PjSI_PS9_EESM_S12_SN_SO_SP_EUlS12_E0_NS1_11comp_targetILNS1_3genE10ELNS1_11target_archE1201ELNS1_3gpuE5ELNS1_3repE0EEENS1_38merge_mergepath_config_static_selectorELNS0_4arch9wavefront6targetE0EEEvSO_,comdat
.Lfunc_end58:
	.size	_ZN7rocprim17ROCPRIM_400000_NS6detail17trampoline_kernelINS0_14default_configENS1_38merge_sort_block_merge_config_selectorIjN6thrust23THRUST_200600_302600_NS5tupleIffNS6_9null_typeES8_S8_S8_S8_S8_S8_S8_EEEEZZNS1_27merge_sort_block_merge_implIS3_NS6_6detail15normal_iteratorINS6_10device_ptrIjEEEENSD_INSE_IS9_EEEEjNS1_19radix_merge_compareILb0ELb0EjNS0_19identity_decomposerEEEEE10hipError_tT0_T1_T2_jT3_P12ihipStream_tbPNSt15iterator_traitsISN_E10value_typeEPNST_ISO_E10value_typeEPSP_NS1_7vsmem_tEENKUlT_SN_SO_SP_E_clISG_PjSI_PS9_EESM_S12_SN_SO_SP_EUlS12_E0_NS1_11comp_targetILNS1_3genE10ELNS1_11target_archE1201ELNS1_3gpuE5ELNS1_3repE0EEENS1_38merge_mergepath_config_static_selectorELNS0_4arch9wavefront6targetE0EEEvSO_, .Lfunc_end58-_ZN7rocprim17ROCPRIM_400000_NS6detail17trampoline_kernelINS0_14default_configENS1_38merge_sort_block_merge_config_selectorIjN6thrust23THRUST_200600_302600_NS5tupleIffNS6_9null_typeES8_S8_S8_S8_S8_S8_S8_EEEEZZNS1_27merge_sort_block_merge_implIS3_NS6_6detail15normal_iteratorINS6_10device_ptrIjEEEENSD_INSE_IS9_EEEEjNS1_19radix_merge_compareILb0ELb0EjNS0_19identity_decomposerEEEEE10hipError_tT0_T1_T2_jT3_P12ihipStream_tbPNSt15iterator_traitsISN_E10value_typeEPNST_ISO_E10value_typeEPSP_NS1_7vsmem_tEENKUlT_SN_SO_SP_E_clISG_PjSI_PS9_EESM_S12_SN_SO_SP_EUlS12_E0_NS1_11comp_targetILNS1_3genE10ELNS1_11target_archE1201ELNS1_3gpuE5ELNS1_3repE0EEENS1_38merge_mergepath_config_static_selectorELNS0_4arch9wavefront6targetE0EEEvSO_
                                        ; -- End function
	.set _ZN7rocprim17ROCPRIM_400000_NS6detail17trampoline_kernelINS0_14default_configENS1_38merge_sort_block_merge_config_selectorIjN6thrust23THRUST_200600_302600_NS5tupleIffNS6_9null_typeES8_S8_S8_S8_S8_S8_S8_EEEEZZNS1_27merge_sort_block_merge_implIS3_NS6_6detail15normal_iteratorINS6_10device_ptrIjEEEENSD_INSE_IS9_EEEEjNS1_19radix_merge_compareILb0ELb0EjNS0_19identity_decomposerEEEEE10hipError_tT0_T1_T2_jT3_P12ihipStream_tbPNSt15iterator_traitsISN_E10value_typeEPNST_ISO_E10value_typeEPSP_NS1_7vsmem_tEENKUlT_SN_SO_SP_E_clISG_PjSI_PS9_EESM_S12_SN_SO_SP_EUlS12_E0_NS1_11comp_targetILNS1_3genE10ELNS1_11target_archE1201ELNS1_3gpuE5ELNS1_3repE0EEENS1_38merge_mergepath_config_static_selectorELNS0_4arch9wavefront6targetE0EEEvSO_.num_vgpr, 0
	.set _ZN7rocprim17ROCPRIM_400000_NS6detail17trampoline_kernelINS0_14default_configENS1_38merge_sort_block_merge_config_selectorIjN6thrust23THRUST_200600_302600_NS5tupleIffNS6_9null_typeES8_S8_S8_S8_S8_S8_S8_EEEEZZNS1_27merge_sort_block_merge_implIS3_NS6_6detail15normal_iteratorINS6_10device_ptrIjEEEENSD_INSE_IS9_EEEEjNS1_19radix_merge_compareILb0ELb0EjNS0_19identity_decomposerEEEEE10hipError_tT0_T1_T2_jT3_P12ihipStream_tbPNSt15iterator_traitsISN_E10value_typeEPNST_ISO_E10value_typeEPSP_NS1_7vsmem_tEENKUlT_SN_SO_SP_E_clISG_PjSI_PS9_EESM_S12_SN_SO_SP_EUlS12_E0_NS1_11comp_targetILNS1_3genE10ELNS1_11target_archE1201ELNS1_3gpuE5ELNS1_3repE0EEENS1_38merge_mergepath_config_static_selectorELNS0_4arch9wavefront6targetE0EEEvSO_.num_agpr, 0
	.set _ZN7rocprim17ROCPRIM_400000_NS6detail17trampoline_kernelINS0_14default_configENS1_38merge_sort_block_merge_config_selectorIjN6thrust23THRUST_200600_302600_NS5tupleIffNS6_9null_typeES8_S8_S8_S8_S8_S8_S8_EEEEZZNS1_27merge_sort_block_merge_implIS3_NS6_6detail15normal_iteratorINS6_10device_ptrIjEEEENSD_INSE_IS9_EEEEjNS1_19radix_merge_compareILb0ELb0EjNS0_19identity_decomposerEEEEE10hipError_tT0_T1_T2_jT3_P12ihipStream_tbPNSt15iterator_traitsISN_E10value_typeEPNST_ISO_E10value_typeEPSP_NS1_7vsmem_tEENKUlT_SN_SO_SP_E_clISG_PjSI_PS9_EESM_S12_SN_SO_SP_EUlS12_E0_NS1_11comp_targetILNS1_3genE10ELNS1_11target_archE1201ELNS1_3gpuE5ELNS1_3repE0EEENS1_38merge_mergepath_config_static_selectorELNS0_4arch9wavefront6targetE0EEEvSO_.numbered_sgpr, 0
	.set _ZN7rocprim17ROCPRIM_400000_NS6detail17trampoline_kernelINS0_14default_configENS1_38merge_sort_block_merge_config_selectorIjN6thrust23THRUST_200600_302600_NS5tupleIffNS6_9null_typeES8_S8_S8_S8_S8_S8_S8_EEEEZZNS1_27merge_sort_block_merge_implIS3_NS6_6detail15normal_iteratorINS6_10device_ptrIjEEEENSD_INSE_IS9_EEEEjNS1_19radix_merge_compareILb0ELb0EjNS0_19identity_decomposerEEEEE10hipError_tT0_T1_T2_jT3_P12ihipStream_tbPNSt15iterator_traitsISN_E10value_typeEPNST_ISO_E10value_typeEPSP_NS1_7vsmem_tEENKUlT_SN_SO_SP_E_clISG_PjSI_PS9_EESM_S12_SN_SO_SP_EUlS12_E0_NS1_11comp_targetILNS1_3genE10ELNS1_11target_archE1201ELNS1_3gpuE5ELNS1_3repE0EEENS1_38merge_mergepath_config_static_selectorELNS0_4arch9wavefront6targetE0EEEvSO_.num_named_barrier, 0
	.set _ZN7rocprim17ROCPRIM_400000_NS6detail17trampoline_kernelINS0_14default_configENS1_38merge_sort_block_merge_config_selectorIjN6thrust23THRUST_200600_302600_NS5tupleIffNS6_9null_typeES8_S8_S8_S8_S8_S8_S8_EEEEZZNS1_27merge_sort_block_merge_implIS3_NS6_6detail15normal_iteratorINS6_10device_ptrIjEEEENSD_INSE_IS9_EEEEjNS1_19radix_merge_compareILb0ELb0EjNS0_19identity_decomposerEEEEE10hipError_tT0_T1_T2_jT3_P12ihipStream_tbPNSt15iterator_traitsISN_E10value_typeEPNST_ISO_E10value_typeEPSP_NS1_7vsmem_tEENKUlT_SN_SO_SP_E_clISG_PjSI_PS9_EESM_S12_SN_SO_SP_EUlS12_E0_NS1_11comp_targetILNS1_3genE10ELNS1_11target_archE1201ELNS1_3gpuE5ELNS1_3repE0EEENS1_38merge_mergepath_config_static_selectorELNS0_4arch9wavefront6targetE0EEEvSO_.private_seg_size, 0
	.set _ZN7rocprim17ROCPRIM_400000_NS6detail17trampoline_kernelINS0_14default_configENS1_38merge_sort_block_merge_config_selectorIjN6thrust23THRUST_200600_302600_NS5tupleIffNS6_9null_typeES8_S8_S8_S8_S8_S8_S8_EEEEZZNS1_27merge_sort_block_merge_implIS3_NS6_6detail15normal_iteratorINS6_10device_ptrIjEEEENSD_INSE_IS9_EEEEjNS1_19radix_merge_compareILb0ELb0EjNS0_19identity_decomposerEEEEE10hipError_tT0_T1_T2_jT3_P12ihipStream_tbPNSt15iterator_traitsISN_E10value_typeEPNST_ISO_E10value_typeEPSP_NS1_7vsmem_tEENKUlT_SN_SO_SP_E_clISG_PjSI_PS9_EESM_S12_SN_SO_SP_EUlS12_E0_NS1_11comp_targetILNS1_3genE10ELNS1_11target_archE1201ELNS1_3gpuE5ELNS1_3repE0EEENS1_38merge_mergepath_config_static_selectorELNS0_4arch9wavefront6targetE0EEEvSO_.uses_vcc, 0
	.set _ZN7rocprim17ROCPRIM_400000_NS6detail17trampoline_kernelINS0_14default_configENS1_38merge_sort_block_merge_config_selectorIjN6thrust23THRUST_200600_302600_NS5tupleIffNS6_9null_typeES8_S8_S8_S8_S8_S8_S8_EEEEZZNS1_27merge_sort_block_merge_implIS3_NS6_6detail15normal_iteratorINS6_10device_ptrIjEEEENSD_INSE_IS9_EEEEjNS1_19radix_merge_compareILb0ELb0EjNS0_19identity_decomposerEEEEE10hipError_tT0_T1_T2_jT3_P12ihipStream_tbPNSt15iterator_traitsISN_E10value_typeEPNST_ISO_E10value_typeEPSP_NS1_7vsmem_tEENKUlT_SN_SO_SP_E_clISG_PjSI_PS9_EESM_S12_SN_SO_SP_EUlS12_E0_NS1_11comp_targetILNS1_3genE10ELNS1_11target_archE1201ELNS1_3gpuE5ELNS1_3repE0EEENS1_38merge_mergepath_config_static_selectorELNS0_4arch9wavefront6targetE0EEEvSO_.uses_flat_scratch, 0
	.set _ZN7rocprim17ROCPRIM_400000_NS6detail17trampoline_kernelINS0_14default_configENS1_38merge_sort_block_merge_config_selectorIjN6thrust23THRUST_200600_302600_NS5tupleIffNS6_9null_typeES8_S8_S8_S8_S8_S8_S8_EEEEZZNS1_27merge_sort_block_merge_implIS3_NS6_6detail15normal_iteratorINS6_10device_ptrIjEEEENSD_INSE_IS9_EEEEjNS1_19radix_merge_compareILb0ELb0EjNS0_19identity_decomposerEEEEE10hipError_tT0_T1_T2_jT3_P12ihipStream_tbPNSt15iterator_traitsISN_E10value_typeEPNST_ISO_E10value_typeEPSP_NS1_7vsmem_tEENKUlT_SN_SO_SP_E_clISG_PjSI_PS9_EESM_S12_SN_SO_SP_EUlS12_E0_NS1_11comp_targetILNS1_3genE10ELNS1_11target_archE1201ELNS1_3gpuE5ELNS1_3repE0EEENS1_38merge_mergepath_config_static_selectorELNS0_4arch9wavefront6targetE0EEEvSO_.has_dyn_sized_stack, 0
	.set _ZN7rocprim17ROCPRIM_400000_NS6detail17trampoline_kernelINS0_14default_configENS1_38merge_sort_block_merge_config_selectorIjN6thrust23THRUST_200600_302600_NS5tupleIffNS6_9null_typeES8_S8_S8_S8_S8_S8_S8_EEEEZZNS1_27merge_sort_block_merge_implIS3_NS6_6detail15normal_iteratorINS6_10device_ptrIjEEEENSD_INSE_IS9_EEEEjNS1_19radix_merge_compareILb0ELb0EjNS0_19identity_decomposerEEEEE10hipError_tT0_T1_T2_jT3_P12ihipStream_tbPNSt15iterator_traitsISN_E10value_typeEPNST_ISO_E10value_typeEPSP_NS1_7vsmem_tEENKUlT_SN_SO_SP_E_clISG_PjSI_PS9_EESM_S12_SN_SO_SP_EUlS12_E0_NS1_11comp_targetILNS1_3genE10ELNS1_11target_archE1201ELNS1_3gpuE5ELNS1_3repE0EEENS1_38merge_mergepath_config_static_selectorELNS0_4arch9wavefront6targetE0EEEvSO_.has_recursion, 0
	.set _ZN7rocprim17ROCPRIM_400000_NS6detail17trampoline_kernelINS0_14default_configENS1_38merge_sort_block_merge_config_selectorIjN6thrust23THRUST_200600_302600_NS5tupleIffNS6_9null_typeES8_S8_S8_S8_S8_S8_S8_EEEEZZNS1_27merge_sort_block_merge_implIS3_NS6_6detail15normal_iteratorINS6_10device_ptrIjEEEENSD_INSE_IS9_EEEEjNS1_19radix_merge_compareILb0ELb0EjNS0_19identity_decomposerEEEEE10hipError_tT0_T1_T2_jT3_P12ihipStream_tbPNSt15iterator_traitsISN_E10value_typeEPNST_ISO_E10value_typeEPSP_NS1_7vsmem_tEENKUlT_SN_SO_SP_E_clISG_PjSI_PS9_EESM_S12_SN_SO_SP_EUlS12_E0_NS1_11comp_targetILNS1_3genE10ELNS1_11target_archE1201ELNS1_3gpuE5ELNS1_3repE0EEENS1_38merge_mergepath_config_static_selectorELNS0_4arch9wavefront6targetE0EEEvSO_.has_indirect_call, 0
	.section	.AMDGPU.csdata,"",@progbits
; Kernel info:
; codeLenInByte = 0
; TotalNumSgprs: 0
; NumVgprs: 0
; ScratchSize: 0
; MemoryBound: 0
; FloatMode: 240
; IeeeMode: 1
; LDSByteSize: 0 bytes/workgroup (compile time only)
; SGPRBlocks: 0
; VGPRBlocks: 0
; NumSGPRsForWavesPerEU: 1
; NumVGPRsForWavesPerEU: 1
; NamedBarCnt: 0
; Occupancy: 16
; WaveLimiterHint : 0
; COMPUTE_PGM_RSRC2:SCRATCH_EN: 0
; COMPUTE_PGM_RSRC2:USER_SGPR: 2
; COMPUTE_PGM_RSRC2:TRAP_HANDLER: 0
; COMPUTE_PGM_RSRC2:TGID_X_EN: 1
; COMPUTE_PGM_RSRC2:TGID_Y_EN: 0
; COMPUTE_PGM_RSRC2:TGID_Z_EN: 0
; COMPUTE_PGM_RSRC2:TIDIG_COMP_CNT: 0
	.section	.text._ZN7rocprim17ROCPRIM_400000_NS6detail17trampoline_kernelINS0_14default_configENS1_38merge_sort_block_merge_config_selectorIjN6thrust23THRUST_200600_302600_NS5tupleIffNS6_9null_typeES8_S8_S8_S8_S8_S8_S8_EEEEZZNS1_27merge_sort_block_merge_implIS3_NS6_6detail15normal_iteratorINS6_10device_ptrIjEEEENSD_INSE_IS9_EEEEjNS1_19radix_merge_compareILb0ELb0EjNS0_19identity_decomposerEEEEE10hipError_tT0_T1_T2_jT3_P12ihipStream_tbPNSt15iterator_traitsISN_E10value_typeEPNST_ISO_E10value_typeEPSP_NS1_7vsmem_tEENKUlT_SN_SO_SP_E_clISG_PjSI_PS9_EESM_S12_SN_SO_SP_EUlS12_E0_NS1_11comp_targetILNS1_3genE5ELNS1_11target_archE942ELNS1_3gpuE9ELNS1_3repE0EEENS1_38merge_mergepath_config_static_selectorELNS0_4arch9wavefront6targetE0EEEvSO_,"axG",@progbits,_ZN7rocprim17ROCPRIM_400000_NS6detail17trampoline_kernelINS0_14default_configENS1_38merge_sort_block_merge_config_selectorIjN6thrust23THRUST_200600_302600_NS5tupleIffNS6_9null_typeES8_S8_S8_S8_S8_S8_S8_EEEEZZNS1_27merge_sort_block_merge_implIS3_NS6_6detail15normal_iteratorINS6_10device_ptrIjEEEENSD_INSE_IS9_EEEEjNS1_19radix_merge_compareILb0ELb0EjNS0_19identity_decomposerEEEEE10hipError_tT0_T1_T2_jT3_P12ihipStream_tbPNSt15iterator_traitsISN_E10value_typeEPNST_ISO_E10value_typeEPSP_NS1_7vsmem_tEENKUlT_SN_SO_SP_E_clISG_PjSI_PS9_EESM_S12_SN_SO_SP_EUlS12_E0_NS1_11comp_targetILNS1_3genE5ELNS1_11target_archE942ELNS1_3gpuE9ELNS1_3repE0EEENS1_38merge_mergepath_config_static_selectorELNS0_4arch9wavefront6targetE0EEEvSO_,comdat
	.protected	_ZN7rocprim17ROCPRIM_400000_NS6detail17trampoline_kernelINS0_14default_configENS1_38merge_sort_block_merge_config_selectorIjN6thrust23THRUST_200600_302600_NS5tupleIffNS6_9null_typeES8_S8_S8_S8_S8_S8_S8_EEEEZZNS1_27merge_sort_block_merge_implIS3_NS6_6detail15normal_iteratorINS6_10device_ptrIjEEEENSD_INSE_IS9_EEEEjNS1_19radix_merge_compareILb0ELb0EjNS0_19identity_decomposerEEEEE10hipError_tT0_T1_T2_jT3_P12ihipStream_tbPNSt15iterator_traitsISN_E10value_typeEPNST_ISO_E10value_typeEPSP_NS1_7vsmem_tEENKUlT_SN_SO_SP_E_clISG_PjSI_PS9_EESM_S12_SN_SO_SP_EUlS12_E0_NS1_11comp_targetILNS1_3genE5ELNS1_11target_archE942ELNS1_3gpuE9ELNS1_3repE0EEENS1_38merge_mergepath_config_static_selectorELNS0_4arch9wavefront6targetE0EEEvSO_ ; -- Begin function _ZN7rocprim17ROCPRIM_400000_NS6detail17trampoline_kernelINS0_14default_configENS1_38merge_sort_block_merge_config_selectorIjN6thrust23THRUST_200600_302600_NS5tupleIffNS6_9null_typeES8_S8_S8_S8_S8_S8_S8_EEEEZZNS1_27merge_sort_block_merge_implIS3_NS6_6detail15normal_iteratorINS6_10device_ptrIjEEEENSD_INSE_IS9_EEEEjNS1_19radix_merge_compareILb0ELb0EjNS0_19identity_decomposerEEEEE10hipError_tT0_T1_T2_jT3_P12ihipStream_tbPNSt15iterator_traitsISN_E10value_typeEPNST_ISO_E10value_typeEPSP_NS1_7vsmem_tEENKUlT_SN_SO_SP_E_clISG_PjSI_PS9_EESM_S12_SN_SO_SP_EUlS12_E0_NS1_11comp_targetILNS1_3genE5ELNS1_11target_archE942ELNS1_3gpuE9ELNS1_3repE0EEENS1_38merge_mergepath_config_static_selectorELNS0_4arch9wavefront6targetE0EEEvSO_
	.globl	_ZN7rocprim17ROCPRIM_400000_NS6detail17trampoline_kernelINS0_14default_configENS1_38merge_sort_block_merge_config_selectorIjN6thrust23THRUST_200600_302600_NS5tupleIffNS6_9null_typeES8_S8_S8_S8_S8_S8_S8_EEEEZZNS1_27merge_sort_block_merge_implIS3_NS6_6detail15normal_iteratorINS6_10device_ptrIjEEEENSD_INSE_IS9_EEEEjNS1_19radix_merge_compareILb0ELb0EjNS0_19identity_decomposerEEEEE10hipError_tT0_T1_T2_jT3_P12ihipStream_tbPNSt15iterator_traitsISN_E10value_typeEPNST_ISO_E10value_typeEPSP_NS1_7vsmem_tEENKUlT_SN_SO_SP_E_clISG_PjSI_PS9_EESM_S12_SN_SO_SP_EUlS12_E0_NS1_11comp_targetILNS1_3genE5ELNS1_11target_archE942ELNS1_3gpuE9ELNS1_3repE0EEENS1_38merge_mergepath_config_static_selectorELNS0_4arch9wavefront6targetE0EEEvSO_
	.p2align	8
	.type	_ZN7rocprim17ROCPRIM_400000_NS6detail17trampoline_kernelINS0_14default_configENS1_38merge_sort_block_merge_config_selectorIjN6thrust23THRUST_200600_302600_NS5tupleIffNS6_9null_typeES8_S8_S8_S8_S8_S8_S8_EEEEZZNS1_27merge_sort_block_merge_implIS3_NS6_6detail15normal_iteratorINS6_10device_ptrIjEEEENSD_INSE_IS9_EEEEjNS1_19radix_merge_compareILb0ELb0EjNS0_19identity_decomposerEEEEE10hipError_tT0_T1_T2_jT3_P12ihipStream_tbPNSt15iterator_traitsISN_E10value_typeEPNST_ISO_E10value_typeEPSP_NS1_7vsmem_tEENKUlT_SN_SO_SP_E_clISG_PjSI_PS9_EESM_S12_SN_SO_SP_EUlS12_E0_NS1_11comp_targetILNS1_3genE5ELNS1_11target_archE942ELNS1_3gpuE9ELNS1_3repE0EEENS1_38merge_mergepath_config_static_selectorELNS0_4arch9wavefront6targetE0EEEvSO_,@function
_ZN7rocprim17ROCPRIM_400000_NS6detail17trampoline_kernelINS0_14default_configENS1_38merge_sort_block_merge_config_selectorIjN6thrust23THRUST_200600_302600_NS5tupleIffNS6_9null_typeES8_S8_S8_S8_S8_S8_S8_EEEEZZNS1_27merge_sort_block_merge_implIS3_NS6_6detail15normal_iteratorINS6_10device_ptrIjEEEENSD_INSE_IS9_EEEEjNS1_19radix_merge_compareILb0ELb0EjNS0_19identity_decomposerEEEEE10hipError_tT0_T1_T2_jT3_P12ihipStream_tbPNSt15iterator_traitsISN_E10value_typeEPNST_ISO_E10value_typeEPSP_NS1_7vsmem_tEENKUlT_SN_SO_SP_E_clISG_PjSI_PS9_EESM_S12_SN_SO_SP_EUlS12_E0_NS1_11comp_targetILNS1_3genE5ELNS1_11target_archE942ELNS1_3gpuE9ELNS1_3repE0EEENS1_38merge_mergepath_config_static_selectorELNS0_4arch9wavefront6targetE0EEEvSO_: ; @_ZN7rocprim17ROCPRIM_400000_NS6detail17trampoline_kernelINS0_14default_configENS1_38merge_sort_block_merge_config_selectorIjN6thrust23THRUST_200600_302600_NS5tupleIffNS6_9null_typeES8_S8_S8_S8_S8_S8_S8_EEEEZZNS1_27merge_sort_block_merge_implIS3_NS6_6detail15normal_iteratorINS6_10device_ptrIjEEEENSD_INSE_IS9_EEEEjNS1_19radix_merge_compareILb0ELb0EjNS0_19identity_decomposerEEEEE10hipError_tT0_T1_T2_jT3_P12ihipStream_tbPNSt15iterator_traitsISN_E10value_typeEPNST_ISO_E10value_typeEPSP_NS1_7vsmem_tEENKUlT_SN_SO_SP_E_clISG_PjSI_PS9_EESM_S12_SN_SO_SP_EUlS12_E0_NS1_11comp_targetILNS1_3genE5ELNS1_11target_archE942ELNS1_3gpuE9ELNS1_3repE0EEENS1_38merge_mergepath_config_static_selectorELNS0_4arch9wavefront6targetE0EEEvSO_
; %bb.0:
	.section	.rodata,"a",@progbits
	.p2align	6, 0x0
	.amdhsa_kernel _ZN7rocprim17ROCPRIM_400000_NS6detail17trampoline_kernelINS0_14default_configENS1_38merge_sort_block_merge_config_selectorIjN6thrust23THRUST_200600_302600_NS5tupleIffNS6_9null_typeES8_S8_S8_S8_S8_S8_S8_EEEEZZNS1_27merge_sort_block_merge_implIS3_NS6_6detail15normal_iteratorINS6_10device_ptrIjEEEENSD_INSE_IS9_EEEEjNS1_19radix_merge_compareILb0ELb0EjNS0_19identity_decomposerEEEEE10hipError_tT0_T1_T2_jT3_P12ihipStream_tbPNSt15iterator_traitsISN_E10value_typeEPNST_ISO_E10value_typeEPSP_NS1_7vsmem_tEENKUlT_SN_SO_SP_E_clISG_PjSI_PS9_EESM_S12_SN_SO_SP_EUlS12_E0_NS1_11comp_targetILNS1_3genE5ELNS1_11target_archE942ELNS1_3gpuE9ELNS1_3repE0EEENS1_38merge_mergepath_config_static_selectorELNS0_4arch9wavefront6targetE0EEEvSO_
		.amdhsa_group_segment_fixed_size 0
		.amdhsa_private_segment_fixed_size 0
		.amdhsa_kernarg_size 64
		.amdhsa_user_sgpr_count 2
		.amdhsa_user_sgpr_dispatch_ptr 0
		.amdhsa_user_sgpr_queue_ptr 0
		.amdhsa_user_sgpr_kernarg_segment_ptr 1
		.amdhsa_user_sgpr_dispatch_id 0
		.amdhsa_user_sgpr_kernarg_preload_length 0
		.amdhsa_user_sgpr_kernarg_preload_offset 0
		.amdhsa_user_sgpr_private_segment_size 0
		.amdhsa_wavefront_size32 1
		.amdhsa_uses_dynamic_stack 0
		.amdhsa_enable_private_segment 0
		.amdhsa_system_sgpr_workgroup_id_x 1
		.amdhsa_system_sgpr_workgroup_id_y 0
		.amdhsa_system_sgpr_workgroup_id_z 0
		.amdhsa_system_sgpr_workgroup_info 0
		.amdhsa_system_vgpr_workitem_id 0
		.amdhsa_next_free_vgpr 1
		.amdhsa_next_free_sgpr 1
		.amdhsa_named_barrier_count 0
		.amdhsa_reserve_vcc 0
		.amdhsa_float_round_mode_32 0
		.amdhsa_float_round_mode_16_64 0
		.amdhsa_float_denorm_mode_32 3
		.amdhsa_float_denorm_mode_16_64 3
		.amdhsa_fp16_overflow 0
		.amdhsa_memory_ordered 1
		.amdhsa_forward_progress 1
		.amdhsa_inst_pref_size 0
		.amdhsa_round_robin_scheduling 0
		.amdhsa_exception_fp_ieee_invalid_op 0
		.amdhsa_exception_fp_denorm_src 0
		.amdhsa_exception_fp_ieee_div_zero 0
		.amdhsa_exception_fp_ieee_overflow 0
		.amdhsa_exception_fp_ieee_underflow 0
		.amdhsa_exception_fp_ieee_inexact 0
		.amdhsa_exception_int_div_zero 0
	.end_amdhsa_kernel
	.section	.text._ZN7rocprim17ROCPRIM_400000_NS6detail17trampoline_kernelINS0_14default_configENS1_38merge_sort_block_merge_config_selectorIjN6thrust23THRUST_200600_302600_NS5tupleIffNS6_9null_typeES8_S8_S8_S8_S8_S8_S8_EEEEZZNS1_27merge_sort_block_merge_implIS3_NS6_6detail15normal_iteratorINS6_10device_ptrIjEEEENSD_INSE_IS9_EEEEjNS1_19radix_merge_compareILb0ELb0EjNS0_19identity_decomposerEEEEE10hipError_tT0_T1_T2_jT3_P12ihipStream_tbPNSt15iterator_traitsISN_E10value_typeEPNST_ISO_E10value_typeEPSP_NS1_7vsmem_tEENKUlT_SN_SO_SP_E_clISG_PjSI_PS9_EESM_S12_SN_SO_SP_EUlS12_E0_NS1_11comp_targetILNS1_3genE5ELNS1_11target_archE942ELNS1_3gpuE9ELNS1_3repE0EEENS1_38merge_mergepath_config_static_selectorELNS0_4arch9wavefront6targetE0EEEvSO_,"axG",@progbits,_ZN7rocprim17ROCPRIM_400000_NS6detail17trampoline_kernelINS0_14default_configENS1_38merge_sort_block_merge_config_selectorIjN6thrust23THRUST_200600_302600_NS5tupleIffNS6_9null_typeES8_S8_S8_S8_S8_S8_S8_EEEEZZNS1_27merge_sort_block_merge_implIS3_NS6_6detail15normal_iteratorINS6_10device_ptrIjEEEENSD_INSE_IS9_EEEEjNS1_19radix_merge_compareILb0ELb0EjNS0_19identity_decomposerEEEEE10hipError_tT0_T1_T2_jT3_P12ihipStream_tbPNSt15iterator_traitsISN_E10value_typeEPNST_ISO_E10value_typeEPSP_NS1_7vsmem_tEENKUlT_SN_SO_SP_E_clISG_PjSI_PS9_EESM_S12_SN_SO_SP_EUlS12_E0_NS1_11comp_targetILNS1_3genE5ELNS1_11target_archE942ELNS1_3gpuE9ELNS1_3repE0EEENS1_38merge_mergepath_config_static_selectorELNS0_4arch9wavefront6targetE0EEEvSO_,comdat
.Lfunc_end59:
	.size	_ZN7rocprim17ROCPRIM_400000_NS6detail17trampoline_kernelINS0_14default_configENS1_38merge_sort_block_merge_config_selectorIjN6thrust23THRUST_200600_302600_NS5tupleIffNS6_9null_typeES8_S8_S8_S8_S8_S8_S8_EEEEZZNS1_27merge_sort_block_merge_implIS3_NS6_6detail15normal_iteratorINS6_10device_ptrIjEEEENSD_INSE_IS9_EEEEjNS1_19radix_merge_compareILb0ELb0EjNS0_19identity_decomposerEEEEE10hipError_tT0_T1_T2_jT3_P12ihipStream_tbPNSt15iterator_traitsISN_E10value_typeEPNST_ISO_E10value_typeEPSP_NS1_7vsmem_tEENKUlT_SN_SO_SP_E_clISG_PjSI_PS9_EESM_S12_SN_SO_SP_EUlS12_E0_NS1_11comp_targetILNS1_3genE5ELNS1_11target_archE942ELNS1_3gpuE9ELNS1_3repE0EEENS1_38merge_mergepath_config_static_selectorELNS0_4arch9wavefront6targetE0EEEvSO_, .Lfunc_end59-_ZN7rocprim17ROCPRIM_400000_NS6detail17trampoline_kernelINS0_14default_configENS1_38merge_sort_block_merge_config_selectorIjN6thrust23THRUST_200600_302600_NS5tupleIffNS6_9null_typeES8_S8_S8_S8_S8_S8_S8_EEEEZZNS1_27merge_sort_block_merge_implIS3_NS6_6detail15normal_iteratorINS6_10device_ptrIjEEEENSD_INSE_IS9_EEEEjNS1_19radix_merge_compareILb0ELb0EjNS0_19identity_decomposerEEEEE10hipError_tT0_T1_T2_jT3_P12ihipStream_tbPNSt15iterator_traitsISN_E10value_typeEPNST_ISO_E10value_typeEPSP_NS1_7vsmem_tEENKUlT_SN_SO_SP_E_clISG_PjSI_PS9_EESM_S12_SN_SO_SP_EUlS12_E0_NS1_11comp_targetILNS1_3genE5ELNS1_11target_archE942ELNS1_3gpuE9ELNS1_3repE0EEENS1_38merge_mergepath_config_static_selectorELNS0_4arch9wavefront6targetE0EEEvSO_
                                        ; -- End function
	.set _ZN7rocprim17ROCPRIM_400000_NS6detail17trampoline_kernelINS0_14default_configENS1_38merge_sort_block_merge_config_selectorIjN6thrust23THRUST_200600_302600_NS5tupleIffNS6_9null_typeES8_S8_S8_S8_S8_S8_S8_EEEEZZNS1_27merge_sort_block_merge_implIS3_NS6_6detail15normal_iteratorINS6_10device_ptrIjEEEENSD_INSE_IS9_EEEEjNS1_19radix_merge_compareILb0ELb0EjNS0_19identity_decomposerEEEEE10hipError_tT0_T1_T2_jT3_P12ihipStream_tbPNSt15iterator_traitsISN_E10value_typeEPNST_ISO_E10value_typeEPSP_NS1_7vsmem_tEENKUlT_SN_SO_SP_E_clISG_PjSI_PS9_EESM_S12_SN_SO_SP_EUlS12_E0_NS1_11comp_targetILNS1_3genE5ELNS1_11target_archE942ELNS1_3gpuE9ELNS1_3repE0EEENS1_38merge_mergepath_config_static_selectorELNS0_4arch9wavefront6targetE0EEEvSO_.num_vgpr, 0
	.set _ZN7rocprim17ROCPRIM_400000_NS6detail17trampoline_kernelINS0_14default_configENS1_38merge_sort_block_merge_config_selectorIjN6thrust23THRUST_200600_302600_NS5tupleIffNS6_9null_typeES8_S8_S8_S8_S8_S8_S8_EEEEZZNS1_27merge_sort_block_merge_implIS3_NS6_6detail15normal_iteratorINS6_10device_ptrIjEEEENSD_INSE_IS9_EEEEjNS1_19radix_merge_compareILb0ELb0EjNS0_19identity_decomposerEEEEE10hipError_tT0_T1_T2_jT3_P12ihipStream_tbPNSt15iterator_traitsISN_E10value_typeEPNST_ISO_E10value_typeEPSP_NS1_7vsmem_tEENKUlT_SN_SO_SP_E_clISG_PjSI_PS9_EESM_S12_SN_SO_SP_EUlS12_E0_NS1_11comp_targetILNS1_3genE5ELNS1_11target_archE942ELNS1_3gpuE9ELNS1_3repE0EEENS1_38merge_mergepath_config_static_selectorELNS0_4arch9wavefront6targetE0EEEvSO_.num_agpr, 0
	.set _ZN7rocprim17ROCPRIM_400000_NS6detail17trampoline_kernelINS0_14default_configENS1_38merge_sort_block_merge_config_selectorIjN6thrust23THRUST_200600_302600_NS5tupleIffNS6_9null_typeES8_S8_S8_S8_S8_S8_S8_EEEEZZNS1_27merge_sort_block_merge_implIS3_NS6_6detail15normal_iteratorINS6_10device_ptrIjEEEENSD_INSE_IS9_EEEEjNS1_19radix_merge_compareILb0ELb0EjNS0_19identity_decomposerEEEEE10hipError_tT0_T1_T2_jT3_P12ihipStream_tbPNSt15iterator_traitsISN_E10value_typeEPNST_ISO_E10value_typeEPSP_NS1_7vsmem_tEENKUlT_SN_SO_SP_E_clISG_PjSI_PS9_EESM_S12_SN_SO_SP_EUlS12_E0_NS1_11comp_targetILNS1_3genE5ELNS1_11target_archE942ELNS1_3gpuE9ELNS1_3repE0EEENS1_38merge_mergepath_config_static_selectorELNS0_4arch9wavefront6targetE0EEEvSO_.numbered_sgpr, 0
	.set _ZN7rocprim17ROCPRIM_400000_NS6detail17trampoline_kernelINS0_14default_configENS1_38merge_sort_block_merge_config_selectorIjN6thrust23THRUST_200600_302600_NS5tupleIffNS6_9null_typeES8_S8_S8_S8_S8_S8_S8_EEEEZZNS1_27merge_sort_block_merge_implIS3_NS6_6detail15normal_iteratorINS6_10device_ptrIjEEEENSD_INSE_IS9_EEEEjNS1_19radix_merge_compareILb0ELb0EjNS0_19identity_decomposerEEEEE10hipError_tT0_T1_T2_jT3_P12ihipStream_tbPNSt15iterator_traitsISN_E10value_typeEPNST_ISO_E10value_typeEPSP_NS1_7vsmem_tEENKUlT_SN_SO_SP_E_clISG_PjSI_PS9_EESM_S12_SN_SO_SP_EUlS12_E0_NS1_11comp_targetILNS1_3genE5ELNS1_11target_archE942ELNS1_3gpuE9ELNS1_3repE0EEENS1_38merge_mergepath_config_static_selectorELNS0_4arch9wavefront6targetE0EEEvSO_.num_named_barrier, 0
	.set _ZN7rocprim17ROCPRIM_400000_NS6detail17trampoline_kernelINS0_14default_configENS1_38merge_sort_block_merge_config_selectorIjN6thrust23THRUST_200600_302600_NS5tupleIffNS6_9null_typeES8_S8_S8_S8_S8_S8_S8_EEEEZZNS1_27merge_sort_block_merge_implIS3_NS6_6detail15normal_iteratorINS6_10device_ptrIjEEEENSD_INSE_IS9_EEEEjNS1_19radix_merge_compareILb0ELb0EjNS0_19identity_decomposerEEEEE10hipError_tT0_T1_T2_jT3_P12ihipStream_tbPNSt15iterator_traitsISN_E10value_typeEPNST_ISO_E10value_typeEPSP_NS1_7vsmem_tEENKUlT_SN_SO_SP_E_clISG_PjSI_PS9_EESM_S12_SN_SO_SP_EUlS12_E0_NS1_11comp_targetILNS1_3genE5ELNS1_11target_archE942ELNS1_3gpuE9ELNS1_3repE0EEENS1_38merge_mergepath_config_static_selectorELNS0_4arch9wavefront6targetE0EEEvSO_.private_seg_size, 0
	.set _ZN7rocprim17ROCPRIM_400000_NS6detail17trampoline_kernelINS0_14default_configENS1_38merge_sort_block_merge_config_selectorIjN6thrust23THRUST_200600_302600_NS5tupleIffNS6_9null_typeES8_S8_S8_S8_S8_S8_S8_EEEEZZNS1_27merge_sort_block_merge_implIS3_NS6_6detail15normal_iteratorINS6_10device_ptrIjEEEENSD_INSE_IS9_EEEEjNS1_19radix_merge_compareILb0ELb0EjNS0_19identity_decomposerEEEEE10hipError_tT0_T1_T2_jT3_P12ihipStream_tbPNSt15iterator_traitsISN_E10value_typeEPNST_ISO_E10value_typeEPSP_NS1_7vsmem_tEENKUlT_SN_SO_SP_E_clISG_PjSI_PS9_EESM_S12_SN_SO_SP_EUlS12_E0_NS1_11comp_targetILNS1_3genE5ELNS1_11target_archE942ELNS1_3gpuE9ELNS1_3repE0EEENS1_38merge_mergepath_config_static_selectorELNS0_4arch9wavefront6targetE0EEEvSO_.uses_vcc, 0
	.set _ZN7rocprim17ROCPRIM_400000_NS6detail17trampoline_kernelINS0_14default_configENS1_38merge_sort_block_merge_config_selectorIjN6thrust23THRUST_200600_302600_NS5tupleIffNS6_9null_typeES8_S8_S8_S8_S8_S8_S8_EEEEZZNS1_27merge_sort_block_merge_implIS3_NS6_6detail15normal_iteratorINS6_10device_ptrIjEEEENSD_INSE_IS9_EEEEjNS1_19radix_merge_compareILb0ELb0EjNS0_19identity_decomposerEEEEE10hipError_tT0_T1_T2_jT3_P12ihipStream_tbPNSt15iterator_traitsISN_E10value_typeEPNST_ISO_E10value_typeEPSP_NS1_7vsmem_tEENKUlT_SN_SO_SP_E_clISG_PjSI_PS9_EESM_S12_SN_SO_SP_EUlS12_E0_NS1_11comp_targetILNS1_3genE5ELNS1_11target_archE942ELNS1_3gpuE9ELNS1_3repE0EEENS1_38merge_mergepath_config_static_selectorELNS0_4arch9wavefront6targetE0EEEvSO_.uses_flat_scratch, 0
	.set _ZN7rocprim17ROCPRIM_400000_NS6detail17trampoline_kernelINS0_14default_configENS1_38merge_sort_block_merge_config_selectorIjN6thrust23THRUST_200600_302600_NS5tupleIffNS6_9null_typeES8_S8_S8_S8_S8_S8_S8_EEEEZZNS1_27merge_sort_block_merge_implIS3_NS6_6detail15normal_iteratorINS6_10device_ptrIjEEEENSD_INSE_IS9_EEEEjNS1_19radix_merge_compareILb0ELb0EjNS0_19identity_decomposerEEEEE10hipError_tT0_T1_T2_jT3_P12ihipStream_tbPNSt15iterator_traitsISN_E10value_typeEPNST_ISO_E10value_typeEPSP_NS1_7vsmem_tEENKUlT_SN_SO_SP_E_clISG_PjSI_PS9_EESM_S12_SN_SO_SP_EUlS12_E0_NS1_11comp_targetILNS1_3genE5ELNS1_11target_archE942ELNS1_3gpuE9ELNS1_3repE0EEENS1_38merge_mergepath_config_static_selectorELNS0_4arch9wavefront6targetE0EEEvSO_.has_dyn_sized_stack, 0
	.set _ZN7rocprim17ROCPRIM_400000_NS6detail17trampoline_kernelINS0_14default_configENS1_38merge_sort_block_merge_config_selectorIjN6thrust23THRUST_200600_302600_NS5tupleIffNS6_9null_typeES8_S8_S8_S8_S8_S8_S8_EEEEZZNS1_27merge_sort_block_merge_implIS3_NS6_6detail15normal_iteratorINS6_10device_ptrIjEEEENSD_INSE_IS9_EEEEjNS1_19radix_merge_compareILb0ELb0EjNS0_19identity_decomposerEEEEE10hipError_tT0_T1_T2_jT3_P12ihipStream_tbPNSt15iterator_traitsISN_E10value_typeEPNST_ISO_E10value_typeEPSP_NS1_7vsmem_tEENKUlT_SN_SO_SP_E_clISG_PjSI_PS9_EESM_S12_SN_SO_SP_EUlS12_E0_NS1_11comp_targetILNS1_3genE5ELNS1_11target_archE942ELNS1_3gpuE9ELNS1_3repE0EEENS1_38merge_mergepath_config_static_selectorELNS0_4arch9wavefront6targetE0EEEvSO_.has_recursion, 0
	.set _ZN7rocprim17ROCPRIM_400000_NS6detail17trampoline_kernelINS0_14default_configENS1_38merge_sort_block_merge_config_selectorIjN6thrust23THRUST_200600_302600_NS5tupleIffNS6_9null_typeES8_S8_S8_S8_S8_S8_S8_EEEEZZNS1_27merge_sort_block_merge_implIS3_NS6_6detail15normal_iteratorINS6_10device_ptrIjEEEENSD_INSE_IS9_EEEEjNS1_19radix_merge_compareILb0ELb0EjNS0_19identity_decomposerEEEEE10hipError_tT0_T1_T2_jT3_P12ihipStream_tbPNSt15iterator_traitsISN_E10value_typeEPNST_ISO_E10value_typeEPSP_NS1_7vsmem_tEENKUlT_SN_SO_SP_E_clISG_PjSI_PS9_EESM_S12_SN_SO_SP_EUlS12_E0_NS1_11comp_targetILNS1_3genE5ELNS1_11target_archE942ELNS1_3gpuE9ELNS1_3repE0EEENS1_38merge_mergepath_config_static_selectorELNS0_4arch9wavefront6targetE0EEEvSO_.has_indirect_call, 0
	.section	.AMDGPU.csdata,"",@progbits
; Kernel info:
; codeLenInByte = 0
; TotalNumSgprs: 0
; NumVgprs: 0
; ScratchSize: 0
; MemoryBound: 0
; FloatMode: 240
; IeeeMode: 1
; LDSByteSize: 0 bytes/workgroup (compile time only)
; SGPRBlocks: 0
; VGPRBlocks: 0
; NumSGPRsForWavesPerEU: 1
; NumVGPRsForWavesPerEU: 1
; NamedBarCnt: 0
; Occupancy: 16
; WaveLimiterHint : 0
; COMPUTE_PGM_RSRC2:SCRATCH_EN: 0
; COMPUTE_PGM_RSRC2:USER_SGPR: 2
; COMPUTE_PGM_RSRC2:TRAP_HANDLER: 0
; COMPUTE_PGM_RSRC2:TGID_X_EN: 1
; COMPUTE_PGM_RSRC2:TGID_Y_EN: 0
; COMPUTE_PGM_RSRC2:TGID_Z_EN: 0
; COMPUTE_PGM_RSRC2:TIDIG_COMP_CNT: 0
	.section	.text._ZN7rocprim17ROCPRIM_400000_NS6detail17trampoline_kernelINS0_14default_configENS1_38merge_sort_block_merge_config_selectorIjN6thrust23THRUST_200600_302600_NS5tupleIffNS6_9null_typeES8_S8_S8_S8_S8_S8_S8_EEEEZZNS1_27merge_sort_block_merge_implIS3_NS6_6detail15normal_iteratorINS6_10device_ptrIjEEEENSD_INSE_IS9_EEEEjNS1_19radix_merge_compareILb0ELb0EjNS0_19identity_decomposerEEEEE10hipError_tT0_T1_T2_jT3_P12ihipStream_tbPNSt15iterator_traitsISN_E10value_typeEPNST_ISO_E10value_typeEPSP_NS1_7vsmem_tEENKUlT_SN_SO_SP_E_clISG_PjSI_PS9_EESM_S12_SN_SO_SP_EUlS12_E0_NS1_11comp_targetILNS1_3genE4ELNS1_11target_archE910ELNS1_3gpuE8ELNS1_3repE0EEENS1_38merge_mergepath_config_static_selectorELNS0_4arch9wavefront6targetE0EEEvSO_,"axG",@progbits,_ZN7rocprim17ROCPRIM_400000_NS6detail17trampoline_kernelINS0_14default_configENS1_38merge_sort_block_merge_config_selectorIjN6thrust23THRUST_200600_302600_NS5tupleIffNS6_9null_typeES8_S8_S8_S8_S8_S8_S8_EEEEZZNS1_27merge_sort_block_merge_implIS3_NS6_6detail15normal_iteratorINS6_10device_ptrIjEEEENSD_INSE_IS9_EEEEjNS1_19radix_merge_compareILb0ELb0EjNS0_19identity_decomposerEEEEE10hipError_tT0_T1_T2_jT3_P12ihipStream_tbPNSt15iterator_traitsISN_E10value_typeEPNST_ISO_E10value_typeEPSP_NS1_7vsmem_tEENKUlT_SN_SO_SP_E_clISG_PjSI_PS9_EESM_S12_SN_SO_SP_EUlS12_E0_NS1_11comp_targetILNS1_3genE4ELNS1_11target_archE910ELNS1_3gpuE8ELNS1_3repE0EEENS1_38merge_mergepath_config_static_selectorELNS0_4arch9wavefront6targetE0EEEvSO_,comdat
	.protected	_ZN7rocprim17ROCPRIM_400000_NS6detail17trampoline_kernelINS0_14default_configENS1_38merge_sort_block_merge_config_selectorIjN6thrust23THRUST_200600_302600_NS5tupleIffNS6_9null_typeES8_S8_S8_S8_S8_S8_S8_EEEEZZNS1_27merge_sort_block_merge_implIS3_NS6_6detail15normal_iteratorINS6_10device_ptrIjEEEENSD_INSE_IS9_EEEEjNS1_19radix_merge_compareILb0ELb0EjNS0_19identity_decomposerEEEEE10hipError_tT0_T1_T2_jT3_P12ihipStream_tbPNSt15iterator_traitsISN_E10value_typeEPNST_ISO_E10value_typeEPSP_NS1_7vsmem_tEENKUlT_SN_SO_SP_E_clISG_PjSI_PS9_EESM_S12_SN_SO_SP_EUlS12_E0_NS1_11comp_targetILNS1_3genE4ELNS1_11target_archE910ELNS1_3gpuE8ELNS1_3repE0EEENS1_38merge_mergepath_config_static_selectorELNS0_4arch9wavefront6targetE0EEEvSO_ ; -- Begin function _ZN7rocprim17ROCPRIM_400000_NS6detail17trampoline_kernelINS0_14default_configENS1_38merge_sort_block_merge_config_selectorIjN6thrust23THRUST_200600_302600_NS5tupleIffNS6_9null_typeES8_S8_S8_S8_S8_S8_S8_EEEEZZNS1_27merge_sort_block_merge_implIS3_NS6_6detail15normal_iteratorINS6_10device_ptrIjEEEENSD_INSE_IS9_EEEEjNS1_19radix_merge_compareILb0ELb0EjNS0_19identity_decomposerEEEEE10hipError_tT0_T1_T2_jT3_P12ihipStream_tbPNSt15iterator_traitsISN_E10value_typeEPNST_ISO_E10value_typeEPSP_NS1_7vsmem_tEENKUlT_SN_SO_SP_E_clISG_PjSI_PS9_EESM_S12_SN_SO_SP_EUlS12_E0_NS1_11comp_targetILNS1_3genE4ELNS1_11target_archE910ELNS1_3gpuE8ELNS1_3repE0EEENS1_38merge_mergepath_config_static_selectorELNS0_4arch9wavefront6targetE0EEEvSO_
	.globl	_ZN7rocprim17ROCPRIM_400000_NS6detail17trampoline_kernelINS0_14default_configENS1_38merge_sort_block_merge_config_selectorIjN6thrust23THRUST_200600_302600_NS5tupleIffNS6_9null_typeES8_S8_S8_S8_S8_S8_S8_EEEEZZNS1_27merge_sort_block_merge_implIS3_NS6_6detail15normal_iteratorINS6_10device_ptrIjEEEENSD_INSE_IS9_EEEEjNS1_19radix_merge_compareILb0ELb0EjNS0_19identity_decomposerEEEEE10hipError_tT0_T1_T2_jT3_P12ihipStream_tbPNSt15iterator_traitsISN_E10value_typeEPNST_ISO_E10value_typeEPSP_NS1_7vsmem_tEENKUlT_SN_SO_SP_E_clISG_PjSI_PS9_EESM_S12_SN_SO_SP_EUlS12_E0_NS1_11comp_targetILNS1_3genE4ELNS1_11target_archE910ELNS1_3gpuE8ELNS1_3repE0EEENS1_38merge_mergepath_config_static_selectorELNS0_4arch9wavefront6targetE0EEEvSO_
	.p2align	8
	.type	_ZN7rocprim17ROCPRIM_400000_NS6detail17trampoline_kernelINS0_14default_configENS1_38merge_sort_block_merge_config_selectorIjN6thrust23THRUST_200600_302600_NS5tupleIffNS6_9null_typeES8_S8_S8_S8_S8_S8_S8_EEEEZZNS1_27merge_sort_block_merge_implIS3_NS6_6detail15normal_iteratorINS6_10device_ptrIjEEEENSD_INSE_IS9_EEEEjNS1_19radix_merge_compareILb0ELb0EjNS0_19identity_decomposerEEEEE10hipError_tT0_T1_T2_jT3_P12ihipStream_tbPNSt15iterator_traitsISN_E10value_typeEPNST_ISO_E10value_typeEPSP_NS1_7vsmem_tEENKUlT_SN_SO_SP_E_clISG_PjSI_PS9_EESM_S12_SN_SO_SP_EUlS12_E0_NS1_11comp_targetILNS1_3genE4ELNS1_11target_archE910ELNS1_3gpuE8ELNS1_3repE0EEENS1_38merge_mergepath_config_static_selectorELNS0_4arch9wavefront6targetE0EEEvSO_,@function
_ZN7rocprim17ROCPRIM_400000_NS6detail17trampoline_kernelINS0_14default_configENS1_38merge_sort_block_merge_config_selectorIjN6thrust23THRUST_200600_302600_NS5tupleIffNS6_9null_typeES8_S8_S8_S8_S8_S8_S8_EEEEZZNS1_27merge_sort_block_merge_implIS3_NS6_6detail15normal_iteratorINS6_10device_ptrIjEEEENSD_INSE_IS9_EEEEjNS1_19radix_merge_compareILb0ELb0EjNS0_19identity_decomposerEEEEE10hipError_tT0_T1_T2_jT3_P12ihipStream_tbPNSt15iterator_traitsISN_E10value_typeEPNST_ISO_E10value_typeEPSP_NS1_7vsmem_tEENKUlT_SN_SO_SP_E_clISG_PjSI_PS9_EESM_S12_SN_SO_SP_EUlS12_E0_NS1_11comp_targetILNS1_3genE4ELNS1_11target_archE910ELNS1_3gpuE8ELNS1_3repE0EEENS1_38merge_mergepath_config_static_selectorELNS0_4arch9wavefront6targetE0EEEvSO_: ; @_ZN7rocprim17ROCPRIM_400000_NS6detail17trampoline_kernelINS0_14default_configENS1_38merge_sort_block_merge_config_selectorIjN6thrust23THRUST_200600_302600_NS5tupleIffNS6_9null_typeES8_S8_S8_S8_S8_S8_S8_EEEEZZNS1_27merge_sort_block_merge_implIS3_NS6_6detail15normal_iteratorINS6_10device_ptrIjEEEENSD_INSE_IS9_EEEEjNS1_19radix_merge_compareILb0ELb0EjNS0_19identity_decomposerEEEEE10hipError_tT0_T1_T2_jT3_P12ihipStream_tbPNSt15iterator_traitsISN_E10value_typeEPNST_ISO_E10value_typeEPSP_NS1_7vsmem_tEENKUlT_SN_SO_SP_E_clISG_PjSI_PS9_EESM_S12_SN_SO_SP_EUlS12_E0_NS1_11comp_targetILNS1_3genE4ELNS1_11target_archE910ELNS1_3gpuE8ELNS1_3repE0EEENS1_38merge_mergepath_config_static_selectorELNS0_4arch9wavefront6targetE0EEEvSO_
; %bb.0:
	.section	.rodata,"a",@progbits
	.p2align	6, 0x0
	.amdhsa_kernel _ZN7rocprim17ROCPRIM_400000_NS6detail17trampoline_kernelINS0_14default_configENS1_38merge_sort_block_merge_config_selectorIjN6thrust23THRUST_200600_302600_NS5tupleIffNS6_9null_typeES8_S8_S8_S8_S8_S8_S8_EEEEZZNS1_27merge_sort_block_merge_implIS3_NS6_6detail15normal_iteratorINS6_10device_ptrIjEEEENSD_INSE_IS9_EEEEjNS1_19radix_merge_compareILb0ELb0EjNS0_19identity_decomposerEEEEE10hipError_tT0_T1_T2_jT3_P12ihipStream_tbPNSt15iterator_traitsISN_E10value_typeEPNST_ISO_E10value_typeEPSP_NS1_7vsmem_tEENKUlT_SN_SO_SP_E_clISG_PjSI_PS9_EESM_S12_SN_SO_SP_EUlS12_E0_NS1_11comp_targetILNS1_3genE4ELNS1_11target_archE910ELNS1_3gpuE8ELNS1_3repE0EEENS1_38merge_mergepath_config_static_selectorELNS0_4arch9wavefront6targetE0EEEvSO_
		.amdhsa_group_segment_fixed_size 0
		.amdhsa_private_segment_fixed_size 0
		.amdhsa_kernarg_size 64
		.amdhsa_user_sgpr_count 2
		.amdhsa_user_sgpr_dispatch_ptr 0
		.amdhsa_user_sgpr_queue_ptr 0
		.amdhsa_user_sgpr_kernarg_segment_ptr 1
		.amdhsa_user_sgpr_dispatch_id 0
		.amdhsa_user_sgpr_kernarg_preload_length 0
		.amdhsa_user_sgpr_kernarg_preload_offset 0
		.amdhsa_user_sgpr_private_segment_size 0
		.amdhsa_wavefront_size32 1
		.amdhsa_uses_dynamic_stack 0
		.amdhsa_enable_private_segment 0
		.amdhsa_system_sgpr_workgroup_id_x 1
		.amdhsa_system_sgpr_workgroup_id_y 0
		.amdhsa_system_sgpr_workgroup_id_z 0
		.amdhsa_system_sgpr_workgroup_info 0
		.amdhsa_system_vgpr_workitem_id 0
		.amdhsa_next_free_vgpr 1
		.amdhsa_next_free_sgpr 1
		.amdhsa_named_barrier_count 0
		.amdhsa_reserve_vcc 0
		.amdhsa_float_round_mode_32 0
		.amdhsa_float_round_mode_16_64 0
		.amdhsa_float_denorm_mode_32 3
		.amdhsa_float_denorm_mode_16_64 3
		.amdhsa_fp16_overflow 0
		.amdhsa_memory_ordered 1
		.amdhsa_forward_progress 1
		.amdhsa_inst_pref_size 0
		.amdhsa_round_robin_scheduling 0
		.amdhsa_exception_fp_ieee_invalid_op 0
		.amdhsa_exception_fp_denorm_src 0
		.amdhsa_exception_fp_ieee_div_zero 0
		.amdhsa_exception_fp_ieee_overflow 0
		.amdhsa_exception_fp_ieee_underflow 0
		.amdhsa_exception_fp_ieee_inexact 0
		.amdhsa_exception_int_div_zero 0
	.end_amdhsa_kernel
	.section	.text._ZN7rocprim17ROCPRIM_400000_NS6detail17trampoline_kernelINS0_14default_configENS1_38merge_sort_block_merge_config_selectorIjN6thrust23THRUST_200600_302600_NS5tupleIffNS6_9null_typeES8_S8_S8_S8_S8_S8_S8_EEEEZZNS1_27merge_sort_block_merge_implIS3_NS6_6detail15normal_iteratorINS6_10device_ptrIjEEEENSD_INSE_IS9_EEEEjNS1_19radix_merge_compareILb0ELb0EjNS0_19identity_decomposerEEEEE10hipError_tT0_T1_T2_jT3_P12ihipStream_tbPNSt15iterator_traitsISN_E10value_typeEPNST_ISO_E10value_typeEPSP_NS1_7vsmem_tEENKUlT_SN_SO_SP_E_clISG_PjSI_PS9_EESM_S12_SN_SO_SP_EUlS12_E0_NS1_11comp_targetILNS1_3genE4ELNS1_11target_archE910ELNS1_3gpuE8ELNS1_3repE0EEENS1_38merge_mergepath_config_static_selectorELNS0_4arch9wavefront6targetE0EEEvSO_,"axG",@progbits,_ZN7rocprim17ROCPRIM_400000_NS6detail17trampoline_kernelINS0_14default_configENS1_38merge_sort_block_merge_config_selectorIjN6thrust23THRUST_200600_302600_NS5tupleIffNS6_9null_typeES8_S8_S8_S8_S8_S8_S8_EEEEZZNS1_27merge_sort_block_merge_implIS3_NS6_6detail15normal_iteratorINS6_10device_ptrIjEEEENSD_INSE_IS9_EEEEjNS1_19radix_merge_compareILb0ELb0EjNS0_19identity_decomposerEEEEE10hipError_tT0_T1_T2_jT3_P12ihipStream_tbPNSt15iterator_traitsISN_E10value_typeEPNST_ISO_E10value_typeEPSP_NS1_7vsmem_tEENKUlT_SN_SO_SP_E_clISG_PjSI_PS9_EESM_S12_SN_SO_SP_EUlS12_E0_NS1_11comp_targetILNS1_3genE4ELNS1_11target_archE910ELNS1_3gpuE8ELNS1_3repE0EEENS1_38merge_mergepath_config_static_selectorELNS0_4arch9wavefront6targetE0EEEvSO_,comdat
.Lfunc_end60:
	.size	_ZN7rocprim17ROCPRIM_400000_NS6detail17trampoline_kernelINS0_14default_configENS1_38merge_sort_block_merge_config_selectorIjN6thrust23THRUST_200600_302600_NS5tupleIffNS6_9null_typeES8_S8_S8_S8_S8_S8_S8_EEEEZZNS1_27merge_sort_block_merge_implIS3_NS6_6detail15normal_iteratorINS6_10device_ptrIjEEEENSD_INSE_IS9_EEEEjNS1_19radix_merge_compareILb0ELb0EjNS0_19identity_decomposerEEEEE10hipError_tT0_T1_T2_jT3_P12ihipStream_tbPNSt15iterator_traitsISN_E10value_typeEPNST_ISO_E10value_typeEPSP_NS1_7vsmem_tEENKUlT_SN_SO_SP_E_clISG_PjSI_PS9_EESM_S12_SN_SO_SP_EUlS12_E0_NS1_11comp_targetILNS1_3genE4ELNS1_11target_archE910ELNS1_3gpuE8ELNS1_3repE0EEENS1_38merge_mergepath_config_static_selectorELNS0_4arch9wavefront6targetE0EEEvSO_, .Lfunc_end60-_ZN7rocprim17ROCPRIM_400000_NS6detail17trampoline_kernelINS0_14default_configENS1_38merge_sort_block_merge_config_selectorIjN6thrust23THRUST_200600_302600_NS5tupleIffNS6_9null_typeES8_S8_S8_S8_S8_S8_S8_EEEEZZNS1_27merge_sort_block_merge_implIS3_NS6_6detail15normal_iteratorINS6_10device_ptrIjEEEENSD_INSE_IS9_EEEEjNS1_19radix_merge_compareILb0ELb0EjNS0_19identity_decomposerEEEEE10hipError_tT0_T1_T2_jT3_P12ihipStream_tbPNSt15iterator_traitsISN_E10value_typeEPNST_ISO_E10value_typeEPSP_NS1_7vsmem_tEENKUlT_SN_SO_SP_E_clISG_PjSI_PS9_EESM_S12_SN_SO_SP_EUlS12_E0_NS1_11comp_targetILNS1_3genE4ELNS1_11target_archE910ELNS1_3gpuE8ELNS1_3repE0EEENS1_38merge_mergepath_config_static_selectorELNS0_4arch9wavefront6targetE0EEEvSO_
                                        ; -- End function
	.set _ZN7rocprim17ROCPRIM_400000_NS6detail17trampoline_kernelINS0_14default_configENS1_38merge_sort_block_merge_config_selectorIjN6thrust23THRUST_200600_302600_NS5tupleIffNS6_9null_typeES8_S8_S8_S8_S8_S8_S8_EEEEZZNS1_27merge_sort_block_merge_implIS3_NS6_6detail15normal_iteratorINS6_10device_ptrIjEEEENSD_INSE_IS9_EEEEjNS1_19radix_merge_compareILb0ELb0EjNS0_19identity_decomposerEEEEE10hipError_tT0_T1_T2_jT3_P12ihipStream_tbPNSt15iterator_traitsISN_E10value_typeEPNST_ISO_E10value_typeEPSP_NS1_7vsmem_tEENKUlT_SN_SO_SP_E_clISG_PjSI_PS9_EESM_S12_SN_SO_SP_EUlS12_E0_NS1_11comp_targetILNS1_3genE4ELNS1_11target_archE910ELNS1_3gpuE8ELNS1_3repE0EEENS1_38merge_mergepath_config_static_selectorELNS0_4arch9wavefront6targetE0EEEvSO_.num_vgpr, 0
	.set _ZN7rocprim17ROCPRIM_400000_NS6detail17trampoline_kernelINS0_14default_configENS1_38merge_sort_block_merge_config_selectorIjN6thrust23THRUST_200600_302600_NS5tupleIffNS6_9null_typeES8_S8_S8_S8_S8_S8_S8_EEEEZZNS1_27merge_sort_block_merge_implIS3_NS6_6detail15normal_iteratorINS6_10device_ptrIjEEEENSD_INSE_IS9_EEEEjNS1_19radix_merge_compareILb0ELb0EjNS0_19identity_decomposerEEEEE10hipError_tT0_T1_T2_jT3_P12ihipStream_tbPNSt15iterator_traitsISN_E10value_typeEPNST_ISO_E10value_typeEPSP_NS1_7vsmem_tEENKUlT_SN_SO_SP_E_clISG_PjSI_PS9_EESM_S12_SN_SO_SP_EUlS12_E0_NS1_11comp_targetILNS1_3genE4ELNS1_11target_archE910ELNS1_3gpuE8ELNS1_3repE0EEENS1_38merge_mergepath_config_static_selectorELNS0_4arch9wavefront6targetE0EEEvSO_.num_agpr, 0
	.set _ZN7rocprim17ROCPRIM_400000_NS6detail17trampoline_kernelINS0_14default_configENS1_38merge_sort_block_merge_config_selectorIjN6thrust23THRUST_200600_302600_NS5tupleIffNS6_9null_typeES8_S8_S8_S8_S8_S8_S8_EEEEZZNS1_27merge_sort_block_merge_implIS3_NS6_6detail15normal_iteratorINS6_10device_ptrIjEEEENSD_INSE_IS9_EEEEjNS1_19radix_merge_compareILb0ELb0EjNS0_19identity_decomposerEEEEE10hipError_tT0_T1_T2_jT3_P12ihipStream_tbPNSt15iterator_traitsISN_E10value_typeEPNST_ISO_E10value_typeEPSP_NS1_7vsmem_tEENKUlT_SN_SO_SP_E_clISG_PjSI_PS9_EESM_S12_SN_SO_SP_EUlS12_E0_NS1_11comp_targetILNS1_3genE4ELNS1_11target_archE910ELNS1_3gpuE8ELNS1_3repE0EEENS1_38merge_mergepath_config_static_selectorELNS0_4arch9wavefront6targetE0EEEvSO_.numbered_sgpr, 0
	.set _ZN7rocprim17ROCPRIM_400000_NS6detail17trampoline_kernelINS0_14default_configENS1_38merge_sort_block_merge_config_selectorIjN6thrust23THRUST_200600_302600_NS5tupleIffNS6_9null_typeES8_S8_S8_S8_S8_S8_S8_EEEEZZNS1_27merge_sort_block_merge_implIS3_NS6_6detail15normal_iteratorINS6_10device_ptrIjEEEENSD_INSE_IS9_EEEEjNS1_19radix_merge_compareILb0ELb0EjNS0_19identity_decomposerEEEEE10hipError_tT0_T1_T2_jT3_P12ihipStream_tbPNSt15iterator_traitsISN_E10value_typeEPNST_ISO_E10value_typeEPSP_NS1_7vsmem_tEENKUlT_SN_SO_SP_E_clISG_PjSI_PS9_EESM_S12_SN_SO_SP_EUlS12_E0_NS1_11comp_targetILNS1_3genE4ELNS1_11target_archE910ELNS1_3gpuE8ELNS1_3repE0EEENS1_38merge_mergepath_config_static_selectorELNS0_4arch9wavefront6targetE0EEEvSO_.num_named_barrier, 0
	.set _ZN7rocprim17ROCPRIM_400000_NS6detail17trampoline_kernelINS0_14default_configENS1_38merge_sort_block_merge_config_selectorIjN6thrust23THRUST_200600_302600_NS5tupleIffNS6_9null_typeES8_S8_S8_S8_S8_S8_S8_EEEEZZNS1_27merge_sort_block_merge_implIS3_NS6_6detail15normal_iteratorINS6_10device_ptrIjEEEENSD_INSE_IS9_EEEEjNS1_19radix_merge_compareILb0ELb0EjNS0_19identity_decomposerEEEEE10hipError_tT0_T1_T2_jT3_P12ihipStream_tbPNSt15iterator_traitsISN_E10value_typeEPNST_ISO_E10value_typeEPSP_NS1_7vsmem_tEENKUlT_SN_SO_SP_E_clISG_PjSI_PS9_EESM_S12_SN_SO_SP_EUlS12_E0_NS1_11comp_targetILNS1_3genE4ELNS1_11target_archE910ELNS1_3gpuE8ELNS1_3repE0EEENS1_38merge_mergepath_config_static_selectorELNS0_4arch9wavefront6targetE0EEEvSO_.private_seg_size, 0
	.set _ZN7rocprim17ROCPRIM_400000_NS6detail17trampoline_kernelINS0_14default_configENS1_38merge_sort_block_merge_config_selectorIjN6thrust23THRUST_200600_302600_NS5tupleIffNS6_9null_typeES8_S8_S8_S8_S8_S8_S8_EEEEZZNS1_27merge_sort_block_merge_implIS3_NS6_6detail15normal_iteratorINS6_10device_ptrIjEEEENSD_INSE_IS9_EEEEjNS1_19radix_merge_compareILb0ELb0EjNS0_19identity_decomposerEEEEE10hipError_tT0_T1_T2_jT3_P12ihipStream_tbPNSt15iterator_traitsISN_E10value_typeEPNST_ISO_E10value_typeEPSP_NS1_7vsmem_tEENKUlT_SN_SO_SP_E_clISG_PjSI_PS9_EESM_S12_SN_SO_SP_EUlS12_E0_NS1_11comp_targetILNS1_3genE4ELNS1_11target_archE910ELNS1_3gpuE8ELNS1_3repE0EEENS1_38merge_mergepath_config_static_selectorELNS0_4arch9wavefront6targetE0EEEvSO_.uses_vcc, 0
	.set _ZN7rocprim17ROCPRIM_400000_NS6detail17trampoline_kernelINS0_14default_configENS1_38merge_sort_block_merge_config_selectorIjN6thrust23THRUST_200600_302600_NS5tupleIffNS6_9null_typeES8_S8_S8_S8_S8_S8_S8_EEEEZZNS1_27merge_sort_block_merge_implIS3_NS6_6detail15normal_iteratorINS6_10device_ptrIjEEEENSD_INSE_IS9_EEEEjNS1_19radix_merge_compareILb0ELb0EjNS0_19identity_decomposerEEEEE10hipError_tT0_T1_T2_jT3_P12ihipStream_tbPNSt15iterator_traitsISN_E10value_typeEPNST_ISO_E10value_typeEPSP_NS1_7vsmem_tEENKUlT_SN_SO_SP_E_clISG_PjSI_PS9_EESM_S12_SN_SO_SP_EUlS12_E0_NS1_11comp_targetILNS1_3genE4ELNS1_11target_archE910ELNS1_3gpuE8ELNS1_3repE0EEENS1_38merge_mergepath_config_static_selectorELNS0_4arch9wavefront6targetE0EEEvSO_.uses_flat_scratch, 0
	.set _ZN7rocprim17ROCPRIM_400000_NS6detail17trampoline_kernelINS0_14default_configENS1_38merge_sort_block_merge_config_selectorIjN6thrust23THRUST_200600_302600_NS5tupleIffNS6_9null_typeES8_S8_S8_S8_S8_S8_S8_EEEEZZNS1_27merge_sort_block_merge_implIS3_NS6_6detail15normal_iteratorINS6_10device_ptrIjEEEENSD_INSE_IS9_EEEEjNS1_19radix_merge_compareILb0ELb0EjNS0_19identity_decomposerEEEEE10hipError_tT0_T1_T2_jT3_P12ihipStream_tbPNSt15iterator_traitsISN_E10value_typeEPNST_ISO_E10value_typeEPSP_NS1_7vsmem_tEENKUlT_SN_SO_SP_E_clISG_PjSI_PS9_EESM_S12_SN_SO_SP_EUlS12_E0_NS1_11comp_targetILNS1_3genE4ELNS1_11target_archE910ELNS1_3gpuE8ELNS1_3repE0EEENS1_38merge_mergepath_config_static_selectorELNS0_4arch9wavefront6targetE0EEEvSO_.has_dyn_sized_stack, 0
	.set _ZN7rocprim17ROCPRIM_400000_NS6detail17trampoline_kernelINS0_14default_configENS1_38merge_sort_block_merge_config_selectorIjN6thrust23THRUST_200600_302600_NS5tupleIffNS6_9null_typeES8_S8_S8_S8_S8_S8_S8_EEEEZZNS1_27merge_sort_block_merge_implIS3_NS6_6detail15normal_iteratorINS6_10device_ptrIjEEEENSD_INSE_IS9_EEEEjNS1_19radix_merge_compareILb0ELb0EjNS0_19identity_decomposerEEEEE10hipError_tT0_T1_T2_jT3_P12ihipStream_tbPNSt15iterator_traitsISN_E10value_typeEPNST_ISO_E10value_typeEPSP_NS1_7vsmem_tEENKUlT_SN_SO_SP_E_clISG_PjSI_PS9_EESM_S12_SN_SO_SP_EUlS12_E0_NS1_11comp_targetILNS1_3genE4ELNS1_11target_archE910ELNS1_3gpuE8ELNS1_3repE0EEENS1_38merge_mergepath_config_static_selectorELNS0_4arch9wavefront6targetE0EEEvSO_.has_recursion, 0
	.set _ZN7rocprim17ROCPRIM_400000_NS6detail17trampoline_kernelINS0_14default_configENS1_38merge_sort_block_merge_config_selectorIjN6thrust23THRUST_200600_302600_NS5tupleIffNS6_9null_typeES8_S8_S8_S8_S8_S8_S8_EEEEZZNS1_27merge_sort_block_merge_implIS3_NS6_6detail15normal_iteratorINS6_10device_ptrIjEEEENSD_INSE_IS9_EEEEjNS1_19radix_merge_compareILb0ELb0EjNS0_19identity_decomposerEEEEE10hipError_tT0_T1_T2_jT3_P12ihipStream_tbPNSt15iterator_traitsISN_E10value_typeEPNST_ISO_E10value_typeEPSP_NS1_7vsmem_tEENKUlT_SN_SO_SP_E_clISG_PjSI_PS9_EESM_S12_SN_SO_SP_EUlS12_E0_NS1_11comp_targetILNS1_3genE4ELNS1_11target_archE910ELNS1_3gpuE8ELNS1_3repE0EEENS1_38merge_mergepath_config_static_selectorELNS0_4arch9wavefront6targetE0EEEvSO_.has_indirect_call, 0
	.section	.AMDGPU.csdata,"",@progbits
; Kernel info:
; codeLenInByte = 0
; TotalNumSgprs: 0
; NumVgprs: 0
; ScratchSize: 0
; MemoryBound: 0
; FloatMode: 240
; IeeeMode: 1
; LDSByteSize: 0 bytes/workgroup (compile time only)
; SGPRBlocks: 0
; VGPRBlocks: 0
; NumSGPRsForWavesPerEU: 1
; NumVGPRsForWavesPerEU: 1
; NamedBarCnt: 0
; Occupancy: 16
; WaveLimiterHint : 0
; COMPUTE_PGM_RSRC2:SCRATCH_EN: 0
; COMPUTE_PGM_RSRC2:USER_SGPR: 2
; COMPUTE_PGM_RSRC2:TRAP_HANDLER: 0
; COMPUTE_PGM_RSRC2:TGID_X_EN: 1
; COMPUTE_PGM_RSRC2:TGID_Y_EN: 0
; COMPUTE_PGM_RSRC2:TGID_Z_EN: 0
; COMPUTE_PGM_RSRC2:TIDIG_COMP_CNT: 0
	.section	.text._ZN7rocprim17ROCPRIM_400000_NS6detail17trampoline_kernelINS0_14default_configENS1_38merge_sort_block_merge_config_selectorIjN6thrust23THRUST_200600_302600_NS5tupleIffNS6_9null_typeES8_S8_S8_S8_S8_S8_S8_EEEEZZNS1_27merge_sort_block_merge_implIS3_NS6_6detail15normal_iteratorINS6_10device_ptrIjEEEENSD_INSE_IS9_EEEEjNS1_19radix_merge_compareILb0ELb0EjNS0_19identity_decomposerEEEEE10hipError_tT0_T1_T2_jT3_P12ihipStream_tbPNSt15iterator_traitsISN_E10value_typeEPNST_ISO_E10value_typeEPSP_NS1_7vsmem_tEENKUlT_SN_SO_SP_E_clISG_PjSI_PS9_EESM_S12_SN_SO_SP_EUlS12_E0_NS1_11comp_targetILNS1_3genE3ELNS1_11target_archE908ELNS1_3gpuE7ELNS1_3repE0EEENS1_38merge_mergepath_config_static_selectorELNS0_4arch9wavefront6targetE0EEEvSO_,"axG",@progbits,_ZN7rocprim17ROCPRIM_400000_NS6detail17trampoline_kernelINS0_14default_configENS1_38merge_sort_block_merge_config_selectorIjN6thrust23THRUST_200600_302600_NS5tupleIffNS6_9null_typeES8_S8_S8_S8_S8_S8_S8_EEEEZZNS1_27merge_sort_block_merge_implIS3_NS6_6detail15normal_iteratorINS6_10device_ptrIjEEEENSD_INSE_IS9_EEEEjNS1_19radix_merge_compareILb0ELb0EjNS0_19identity_decomposerEEEEE10hipError_tT0_T1_T2_jT3_P12ihipStream_tbPNSt15iterator_traitsISN_E10value_typeEPNST_ISO_E10value_typeEPSP_NS1_7vsmem_tEENKUlT_SN_SO_SP_E_clISG_PjSI_PS9_EESM_S12_SN_SO_SP_EUlS12_E0_NS1_11comp_targetILNS1_3genE3ELNS1_11target_archE908ELNS1_3gpuE7ELNS1_3repE0EEENS1_38merge_mergepath_config_static_selectorELNS0_4arch9wavefront6targetE0EEEvSO_,comdat
	.protected	_ZN7rocprim17ROCPRIM_400000_NS6detail17trampoline_kernelINS0_14default_configENS1_38merge_sort_block_merge_config_selectorIjN6thrust23THRUST_200600_302600_NS5tupleIffNS6_9null_typeES8_S8_S8_S8_S8_S8_S8_EEEEZZNS1_27merge_sort_block_merge_implIS3_NS6_6detail15normal_iteratorINS6_10device_ptrIjEEEENSD_INSE_IS9_EEEEjNS1_19radix_merge_compareILb0ELb0EjNS0_19identity_decomposerEEEEE10hipError_tT0_T1_T2_jT3_P12ihipStream_tbPNSt15iterator_traitsISN_E10value_typeEPNST_ISO_E10value_typeEPSP_NS1_7vsmem_tEENKUlT_SN_SO_SP_E_clISG_PjSI_PS9_EESM_S12_SN_SO_SP_EUlS12_E0_NS1_11comp_targetILNS1_3genE3ELNS1_11target_archE908ELNS1_3gpuE7ELNS1_3repE0EEENS1_38merge_mergepath_config_static_selectorELNS0_4arch9wavefront6targetE0EEEvSO_ ; -- Begin function _ZN7rocprim17ROCPRIM_400000_NS6detail17trampoline_kernelINS0_14default_configENS1_38merge_sort_block_merge_config_selectorIjN6thrust23THRUST_200600_302600_NS5tupleIffNS6_9null_typeES8_S8_S8_S8_S8_S8_S8_EEEEZZNS1_27merge_sort_block_merge_implIS3_NS6_6detail15normal_iteratorINS6_10device_ptrIjEEEENSD_INSE_IS9_EEEEjNS1_19radix_merge_compareILb0ELb0EjNS0_19identity_decomposerEEEEE10hipError_tT0_T1_T2_jT3_P12ihipStream_tbPNSt15iterator_traitsISN_E10value_typeEPNST_ISO_E10value_typeEPSP_NS1_7vsmem_tEENKUlT_SN_SO_SP_E_clISG_PjSI_PS9_EESM_S12_SN_SO_SP_EUlS12_E0_NS1_11comp_targetILNS1_3genE3ELNS1_11target_archE908ELNS1_3gpuE7ELNS1_3repE0EEENS1_38merge_mergepath_config_static_selectorELNS0_4arch9wavefront6targetE0EEEvSO_
	.globl	_ZN7rocprim17ROCPRIM_400000_NS6detail17trampoline_kernelINS0_14default_configENS1_38merge_sort_block_merge_config_selectorIjN6thrust23THRUST_200600_302600_NS5tupleIffNS6_9null_typeES8_S8_S8_S8_S8_S8_S8_EEEEZZNS1_27merge_sort_block_merge_implIS3_NS6_6detail15normal_iteratorINS6_10device_ptrIjEEEENSD_INSE_IS9_EEEEjNS1_19radix_merge_compareILb0ELb0EjNS0_19identity_decomposerEEEEE10hipError_tT0_T1_T2_jT3_P12ihipStream_tbPNSt15iterator_traitsISN_E10value_typeEPNST_ISO_E10value_typeEPSP_NS1_7vsmem_tEENKUlT_SN_SO_SP_E_clISG_PjSI_PS9_EESM_S12_SN_SO_SP_EUlS12_E0_NS1_11comp_targetILNS1_3genE3ELNS1_11target_archE908ELNS1_3gpuE7ELNS1_3repE0EEENS1_38merge_mergepath_config_static_selectorELNS0_4arch9wavefront6targetE0EEEvSO_
	.p2align	8
	.type	_ZN7rocprim17ROCPRIM_400000_NS6detail17trampoline_kernelINS0_14default_configENS1_38merge_sort_block_merge_config_selectorIjN6thrust23THRUST_200600_302600_NS5tupleIffNS6_9null_typeES8_S8_S8_S8_S8_S8_S8_EEEEZZNS1_27merge_sort_block_merge_implIS3_NS6_6detail15normal_iteratorINS6_10device_ptrIjEEEENSD_INSE_IS9_EEEEjNS1_19radix_merge_compareILb0ELb0EjNS0_19identity_decomposerEEEEE10hipError_tT0_T1_T2_jT3_P12ihipStream_tbPNSt15iterator_traitsISN_E10value_typeEPNST_ISO_E10value_typeEPSP_NS1_7vsmem_tEENKUlT_SN_SO_SP_E_clISG_PjSI_PS9_EESM_S12_SN_SO_SP_EUlS12_E0_NS1_11comp_targetILNS1_3genE3ELNS1_11target_archE908ELNS1_3gpuE7ELNS1_3repE0EEENS1_38merge_mergepath_config_static_selectorELNS0_4arch9wavefront6targetE0EEEvSO_,@function
_ZN7rocprim17ROCPRIM_400000_NS6detail17trampoline_kernelINS0_14default_configENS1_38merge_sort_block_merge_config_selectorIjN6thrust23THRUST_200600_302600_NS5tupleIffNS6_9null_typeES8_S8_S8_S8_S8_S8_S8_EEEEZZNS1_27merge_sort_block_merge_implIS3_NS6_6detail15normal_iteratorINS6_10device_ptrIjEEEENSD_INSE_IS9_EEEEjNS1_19radix_merge_compareILb0ELb0EjNS0_19identity_decomposerEEEEE10hipError_tT0_T1_T2_jT3_P12ihipStream_tbPNSt15iterator_traitsISN_E10value_typeEPNST_ISO_E10value_typeEPSP_NS1_7vsmem_tEENKUlT_SN_SO_SP_E_clISG_PjSI_PS9_EESM_S12_SN_SO_SP_EUlS12_E0_NS1_11comp_targetILNS1_3genE3ELNS1_11target_archE908ELNS1_3gpuE7ELNS1_3repE0EEENS1_38merge_mergepath_config_static_selectorELNS0_4arch9wavefront6targetE0EEEvSO_: ; @_ZN7rocprim17ROCPRIM_400000_NS6detail17trampoline_kernelINS0_14default_configENS1_38merge_sort_block_merge_config_selectorIjN6thrust23THRUST_200600_302600_NS5tupleIffNS6_9null_typeES8_S8_S8_S8_S8_S8_S8_EEEEZZNS1_27merge_sort_block_merge_implIS3_NS6_6detail15normal_iteratorINS6_10device_ptrIjEEEENSD_INSE_IS9_EEEEjNS1_19radix_merge_compareILb0ELb0EjNS0_19identity_decomposerEEEEE10hipError_tT0_T1_T2_jT3_P12ihipStream_tbPNSt15iterator_traitsISN_E10value_typeEPNST_ISO_E10value_typeEPSP_NS1_7vsmem_tEENKUlT_SN_SO_SP_E_clISG_PjSI_PS9_EESM_S12_SN_SO_SP_EUlS12_E0_NS1_11comp_targetILNS1_3genE3ELNS1_11target_archE908ELNS1_3gpuE7ELNS1_3repE0EEENS1_38merge_mergepath_config_static_selectorELNS0_4arch9wavefront6targetE0EEEvSO_
; %bb.0:
	.section	.rodata,"a",@progbits
	.p2align	6, 0x0
	.amdhsa_kernel _ZN7rocprim17ROCPRIM_400000_NS6detail17trampoline_kernelINS0_14default_configENS1_38merge_sort_block_merge_config_selectorIjN6thrust23THRUST_200600_302600_NS5tupleIffNS6_9null_typeES8_S8_S8_S8_S8_S8_S8_EEEEZZNS1_27merge_sort_block_merge_implIS3_NS6_6detail15normal_iteratorINS6_10device_ptrIjEEEENSD_INSE_IS9_EEEEjNS1_19radix_merge_compareILb0ELb0EjNS0_19identity_decomposerEEEEE10hipError_tT0_T1_T2_jT3_P12ihipStream_tbPNSt15iterator_traitsISN_E10value_typeEPNST_ISO_E10value_typeEPSP_NS1_7vsmem_tEENKUlT_SN_SO_SP_E_clISG_PjSI_PS9_EESM_S12_SN_SO_SP_EUlS12_E0_NS1_11comp_targetILNS1_3genE3ELNS1_11target_archE908ELNS1_3gpuE7ELNS1_3repE0EEENS1_38merge_mergepath_config_static_selectorELNS0_4arch9wavefront6targetE0EEEvSO_
		.amdhsa_group_segment_fixed_size 0
		.amdhsa_private_segment_fixed_size 0
		.amdhsa_kernarg_size 64
		.amdhsa_user_sgpr_count 2
		.amdhsa_user_sgpr_dispatch_ptr 0
		.amdhsa_user_sgpr_queue_ptr 0
		.amdhsa_user_sgpr_kernarg_segment_ptr 1
		.amdhsa_user_sgpr_dispatch_id 0
		.amdhsa_user_sgpr_kernarg_preload_length 0
		.amdhsa_user_sgpr_kernarg_preload_offset 0
		.amdhsa_user_sgpr_private_segment_size 0
		.amdhsa_wavefront_size32 1
		.amdhsa_uses_dynamic_stack 0
		.amdhsa_enable_private_segment 0
		.amdhsa_system_sgpr_workgroup_id_x 1
		.amdhsa_system_sgpr_workgroup_id_y 0
		.amdhsa_system_sgpr_workgroup_id_z 0
		.amdhsa_system_sgpr_workgroup_info 0
		.amdhsa_system_vgpr_workitem_id 0
		.amdhsa_next_free_vgpr 1
		.amdhsa_next_free_sgpr 1
		.amdhsa_named_barrier_count 0
		.amdhsa_reserve_vcc 0
		.amdhsa_float_round_mode_32 0
		.amdhsa_float_round_mode_16_64 0
		.amdhsa_float_denorm_mode_32 3
		.amdhsa_float_denorm_mode_16_64 3
		.amdhsa_fp16_overflow 0
		.amdhsa_memory_ordered 1
		.amdhsa_forward_progress 1
		.amdhsa_inst_pref_size 0
		.amdhsa_round_robin_scheduling 0
		.amdhsa_exception_fp_ieee_invalid_op 0
		.amdhsa_exception_fp_denorm_src 0
		.amdhsa_exception_fp_ieee_div_zero 0
		.amdhsa_exception_fp_ieee_overflow 0
		.amdhsa_exception_fp_ieee_underflow 0
		.amdhsa_exception_fp_ieee_inexact 0
		.amdhsa_exception_int_div_zero 0
	.end_amdhsa_kernel
	.section	.text._ZN7rocprim17ROCPRIM_400000_NS6detail17trampoline_kernelINS0_14default_configENS1_38merge_sort_block_merge_config_selectorIjN6thrust23THRUST_200600_302600_NS5tupleIffNS6_9null_typeES8_S8_S8_S8_S8_S8_S8_EEEEZZNS1_27merge_sort_block_merge_implIS3_NS6_6detail15normal_iteratorINS6_10device_ptrIjEEEENSD_INSE_IS9_EEEEjNS1_19radix_merge_compareILb0ELb0EjNS0_19identity_decomposerEEEEE10hipError_tT0_T1_T2_jT3_P12ihipStream_tbPNSt15iterator_traitsISN_E10value_typeEPNST_ISO_E10value_typeEPSP_NS1_7vsmem_tEENKUlT_SN_SO_SP_E_clISG_PjSI_PS9_EESM_S12_SN_SO_SP_EUlS12_E0_NS1_11comp_targetILNS1_3genE3ELNS1_11target_archE908ELNS1_3gpuE7ELNS1_3repE0EEENS1_38merge_mergepath_config_static_selectorELNS0_4arch9wavefront6targetE0EEEvSO_,"axG",@progbits,_ZN7rocprim17ROCPRIM_400000_NS6detail17trampoline_kernelINS0_14default_configENS1_38merge_sort_block_merge_config_selectorIjN6thrust23THRUST_200600_302600_NS5tupleIffNS6_9null_typeES8_S8_S8_S8_S8_S8_S8_EEEEZZNS1_27merge_sort_block_merge_implIS3_NS6_6detail15normal_iteratorINS6_10device_ptrIjEEEENSD_INSE_IS9_EEEEjNS1_19radix_merge_compareILb0ELb0EjNS0_19identity_decomposerEEEEE10hipError_tT0_T1_T2_jT3_P12ihipStream_tbPNSt15iterator_traitsISN_E10value_typeEPNST_ISO_E10value_typeEPSP_NS1_7vsmem_tEENKUlT_SN_SO_SP_E_clISG_PjSI_PS9_EESM_S12_SN_SO_SP_EUlS12_E0_NS1_11comp_targetILNS1_3genE3ELNS1_11target_archE908ELNS1_3gpuE7ELNS1_3repE0EEENS1_38merge_mergepath_config_static_selectorELNS0_4arch9wavefront6targetE0EEEvSO_,comdat
.Lfunc_end61:
	.size	_ZN7rocprim17ROCPRIM_400000_NS6detail17trampoline_kernelINS0_14default_configENS1_38merge_sort_block_merge_config_selectorIjN6thrust23THRUST_200600_302600_NS5tupleIffNS6_9null_typeES8_S8_S8_S8_S8_S8_S8_EEEEZZNS1_27merge_sort_block_merge_implIS3_NS6_6detail15normal_iteratorINS6_10device_ptrIjEEEENSD_INSE_IS9_EEEEjNS1_19radix_merge_compareILb0ELb0EjNS0_19identity_decomposerEEEEE10hipError_tT0_T1_T2_jT3_P12ihipStream_tbPNSt15iterator_traitsISN_E10value_typeEPNST_ISO_E10value_typeEPSP_NS1_7vsmem_tEENKUlT_SN_SO_SP_E_clISG_PjSI_PS9_EESM_S12_SN_SO_SP_EUlS12_E0_NS1_11comp_targetILNS1_3genE3ELNS1_11target_archE908ELNS1_3gpuE7ELNS1_3repE0EEENS1_38merge_mergepath_config_static_selectorELNS0_4arch9wavefront6targetE0EEEvSO_, .Lfunc_end61-_ZN7rocprim17ROCPRIM_400000_NS6detail17trampoline_kernelINS0_14default_configENS1_38merge_sort_block_merge_config_selectorIjN6thrust23THRUST_200600_302600_NS5tupleIffNS6_9null_typeES8_S8_S8_S8_S8_S8_S8_EEEEZZNS1_27merge_sort_block_merge_implIS3_NS6_6detail15normal_iteratorINS6_10device_ptrIjEEEENSD_INSE_IS9_EEEEjNS1_19radix_merge_compareILb0ELb0EjNS0_19identity_decomposerEEEEE10hipError_tT0_T1_T2_jT3_P12ihipStream_tbPNSt15iterator_traitsISN_E10value_typeEPNST_ISO_E10value_typeEPSP_NS1_7vsmem_tEENKUlT_SN_SO_SP_E_clISG_PjSI_PS9_EESM_S12_SN_SO_SP_EUlS12_E0_NS1_11comp_targetILNS1_3genE3ELNS1_11target_archE908ELNS1_3gpuE7ELNS1_3repE0EEENS1_38merge_mergepath_config_static_selectorELNS0_4arch9wavefront6targetE0EEEvSO_
                                        ; -- End function
	.set _ZN7rocprim17ROCPRIM_400000_NS6detail17trampoline_kernelINS0_14default_configENS1_38merge_sort_block_merge_config_selectorIjN6thrust23THRUST_200600_302600_NS5tupleIffNS6_9null_typeES8_S8_S8_S8_S8_S8_S8_EEEEZZNS1_27merge_sort_block_merge_implIS3_NS6_6detail15normal_iteratorINS6_10device_ptrIjEEEENSD_INSE_IS9_EEEEjNS1_19radix_merge_compareILb0ELb0EjNS0_19identity_decomposerEEEEE10hipError_tT0_T1_T2_jT3_P12ihipStream_tbPNSt15iterator_traitsISN_E10value_typeEPNST_ISO_E10value_typeEPSP_NS1_7vsmem_tEENKUlT_SN_SO_SP_E_clISG_PjSI_PS9_EESM_S12_SN_SO_SP_EUlS12_E0_NS1_11comp_targetILNS1_3genE3ELNS1_11target_archE908ELNS1_3gpuE7ELNS1_3repE0EEENS1_38merge_mergepath_config_static_selectorELNS0_4arch9wavefront6targetE0EEEvSO_.num_vgpr, 0
	.set _ZN7rocprim17ROCPRIM_400000_NS6detail17trampoline_kernelINS0_14default_configENS1_38merge_sort_block_merge_config_selectorIjN6thrust23THRUST_200600_302600_NS5tupleIffNS6_9null_typeES8_S8_S8_S8_S8_S8_S8_EEEEZZNS1_27merge_sort_block_merge_implIS3_NS6_6detail15normal_iteratorINS6_10device_ptrIjEEEENSD_INSE_IS9_EEEEjNS1_19radix_merge_compareILb0ELb0EjNS0_19identity_decomposerEEEEE10hipError_tT0_T1_T2_jT3_P12ihipStream_tbPNSt15iterator_traitsISN_E10value_typeEPNST_ISO_E10value_typeEPSP_NS1_7vsmem_tEENKUlT_SN_SO_SP_E_clISG_PjSI_PS9_EESM_S12_SN_SO_SP_EUlS12_E0_NS1_11comp_targetILNS1_3genE3ELNS1_11target_archE908ELNS1_3gpuE7ELNS1_3repE0EEENS1_38merge_mergepath_config_static_selectorELNS0_4arch9wavefront6targetE0EEEvSO_.num_agpr, 0
	.set _ZN7rocprim17ROCPRIM_400000_NS6detail17trampoline_kernelINS0_14default_configENS1_38merge_sort_block_merge_config_selectorIjN6thrust23THRUST_200600_302600_NS5tupleIffNS6_9null_typeES8_S8_S8_S8_S8_S8_S8_EEEEZZNS1_27merge_sort_block_merge_implIS3_NS6_6detail15normal_iteratorINS6_10device_ptrIjEEEENSD_INSE_IS9_EEEEjNS1_19radix_merge_compareILb0ELb0EjNS0_19identity_decomposerEEEEE10hipError_tT0_T1_T2_jT3_P12ihipStream_tbPNSt15iterator_traitsISN_E10value_typeEPNST_ISO_E10value_typeEPSP_NS1_7vsmem_tEENKUlT_SN_SO_SP_E_clISG_PjSI_PS9_EESM_S12_SN_SO_SP_EUlS12_E0_NS1_11comp_targetILNS1_3genE3ELNS1_11target_archE908ELNS1_3gpuE7ELNS1_3repE0EEENS1_38merge_mergepath_config_static_selectorELNS0_4arch9wavefront6targetE0EEEvSO_.numbered_sgpr, 0
	.set _ZN7rocprim17ROCPRIM_400000_NS6detail17trampoline_kernelINS0_14default_configENS1_38merge_sort_block_merge_config_selectorIjN6thrust23THRUST_200600_302600_NS5tupleIffNS6_9null_typeES8_S8_S8_S8_S8_S8_S8_EEEEZZNS1_27merge_sort_block_merge_implIS3_NS6_6detail15normal_iteratorINS6_10device_ptrIjEEEENSD_INSE_IS9_EEEEjNS1_19radix_merge_compareILb0ELb0EjNS0_19identity_decomposerEEEEE10hipError_tT0_T1_T2_jT3_P12ihipStream_tbPNSt15iterator_traitsISN_E10value_typeEPNST_ISO_E10value_typeEPSP_NS1_7vsmem_tEENKUlT_SN_SO_SP_E_clISG_PjSI_PS9_EESM_S12_SN_SO_SP_EUlS12_E0_NS1_11comp_targetILNS1_3genE3ELNS1_11target_archE908ELNS1_3gpuE7ELNS1_3repE0EEENS1_38merge_mergepath_config_static_selectorELNS0_4arch9wavefront6targetE0EEEvSO_.num_named_barrier, 0
	.set _ZN7rocprim17ROCPRIM_400000_NS6detail17trampoline_kernelINS0_14default_configENS1_38merge_sort_block_merge_config_selectorIjN6thrust23THRUST_200600_302600_NS5tupleIffNS6_9null_typeES8_S8_S8_S8_S8_S8_S8_EEEEZZNS1_27merge_sort_block_merge_implIS3_NS6_6detail15normal_iteratorINS6_10device_ptrIjEEEENSD_INSE_IS9_EEEEjNS1_19radix_merge_compareILb0ELb0EjNS0_19identity_decomposerEEEEE10hipError_tT0_T1_T2_jT3_P12ihipStream_tbPNSt15iterator_traitsISN_E10value_typeEPNST_ISO_E10value_typeEPSP_NS1_7vsmem_tEENKUlT_SN_SO_SP_E_clISG_PjSI_PS9_EESM_S12_SN_SO_SP_EUlS12_E0_NS1_11comp_targetILNS1_3genE3ELNS1_11target_archE908ELNS1_3gpuE7ELNS1_3repE0EEENS1_38merge_mergepath_config_static_selectorELNS0_4arch9wavefront6targetE0EEEvSO_.private_seg_size, 0
	.set _ZN7rocprim17ROCPRIM_400000_NS6detail17trampoline_kernelINS0_14default_configENS1_38merge_sort_block_merge_config_selectorIjN6thrust23THRUST_200600_302600_NS5tupleIffNS6_9null_typeES8_S8_S8_S8_S8_S8_S8_EEEEZZNS1_27merge_sort_block_merge_implIS3_NS6_6detail15normal_iteratorINS6_10device_ptrIjEEEENSD_INSE_IS9_EEEEjNS1_19radix_merge_compareILb0ELb0EjNS0_19identity_decomposerEEEEE10hipError_tT0_T1_T2_jT3_P12ihipStream_tbPNSt15iterator_traitsISN_E10value_typeEPNST_ISO_E10value_typeEPSP_NS1_7vsmem_tEENKUlT_SN_SO_SP_E_clISG_PjSI_PS9_EESM_S12_SN_SO_SP_EUlS12_E0_NS1_11comp_targetILNS1_3genE3ELNS1_11target_archE908ELNS1_3gpuE7ELNS1_3repE0EEENS1_38merge_mergepath_config_static_selectorELNS0_4arch9wavefront6targetE0EEEvSO_.uses_vcc, 0
	.set _ZN7rocprim17ROCPRIM_400000_NS6detail17trampoline_kernelINS0_14default_configENS1_38merge_sort_block_merge_config_selectorIjN6thrust23THRUST_200600_302600_NS5tupleIffNS6_9null_typeES8_S8_S8_S8_S8_S8_S8_EEEEZZNS1_27merge_sort_block_merge_implIS3_NS6_6detail15normal_iteratorINS6_10device_ptrIjEEEENSD_INSE_IS9_EEEEjNS1_19radix_merge_compareILb0ELb0EjNS0_19identity_decomposerEEEEE10hipError_tT0_T1_T2_jT3_P12ihipStream_tbPNSt15iterator_traitsISN_E10value_typeEPNST_ISO_E10value_typeEPSP_NS1_7vsmem_tEENKUlT_SN_SO_SP_E_clISG_PjSI_PS9_EESM_S12_SN_SO_SP_EUlS12_E0_NS1_11comp_targetILNS1_3genE3ELNS1_11target_archE908ELNS1_3gpuE7ELNS1_3repE0EEENS1_38merge_mergepath_config_static_selectorELNS0_4arch9wavefront6targetE0EEEvSO_.uses_flat_scratch, 0
	.set _ZN7rocprim17ROCPRIM_400000_NS6detail17trampoline_kernelINS0_14default_configENS1_38merge_sort_block_merge_config_selectorIjN6thrust23THRUST_200600_302600_NS5tupleIffNS6_9null_typeES8_S8_S8_S8_S8_S8_S8_EEEEZZNS1_27merge_sort_block_merge_implIS3_NS6_6detail15normal_iteratorINS6_10device_ptrIjEEEENSD_INSE_IS9_EEEEjNS1_19radix_merge_compareILb0ELb0EjNS0_19identity_decomposerEEEEE10hipError_tT0_T1_T2_jT3_P12ihipStream_tbPNSt15iterator_traitsISN_E10value_typeEPNST_ISO_E10value_typeEPSP_NS1_7vsmem_tEENKUlT_SN_SO_SP_E_clISG_PjSI_PS9_EESM_S12_SN_SO_SP_EUlS12_E0_NS1_11comp_targetILNS1_3genE3ELNS1_11target_archE908ELNS1_3gpuE7ELNS1_3repE0EEENS1_38merge_mergepath_config_static_selectorELNS0_4arch9wavefront6targetE0EEEvSO_.has_dyn_sized_stack, 0
	.set _ZN7rocprim17ROCPRIM_400000_NS6detail17trampoline_kernelINS0_14default_configENS1_38merge_sort_block_merge_config_selectorIjN6thrust23THRUST_200600_302600_NS5tupleIffNS6_9null_typeES8_S8_S8_S8_S8_S8_S8_EEEEZZNS1_27merge_sort_block_merge_implIS3_NS6_6detail15normal_iteratorINS6_10device_ptrIjEEEENSD_INSE_IS9_EEEEjNS1_19radix_merge_compareILb0ELb0EjNS0_19identity_decomposerEEEEE10hipError_tT0_T1_T2_jT3_P12ihipStream_tbPNSt15iterator_traitsISN_E10value_typeEPNST_ISO_E10value_typeEPSP_NS1_7vsmem_tEENKUlT_SN_SO_SP_E_clISG_PjSI_PS9_EESM_S12_SN_SO_SP_EUlS12_E0_NS1_11comp_targetILNS1_3genE3ELNS1_11target_archE908ELNS1_3gpuE7ELNS1_3repE0EEENS1_38merge_mergepath_config_static_selectorELNS0_4arch9wavefront6targetE0EEEvSO_.has_recursion, 0
	.set _ZN7rocprim17ROCPRIM_400000_NS6detail17trampoline_kernelINS0_14default_configENS1_38merge_sort_block_merge_config_selectorIjN6thrust23THRUST_200600_302600_NS5tupleIffNS6_9null_typeES8_S8_S8_S8_S8_S8_S8_EEEEZZNS1_27merge_sort_block_merge_implIS3_NS6_6detail15normal_iteratorINS6_10device_ptrIjEEEENSD_INSE_IS9_EEEEjNS1_19radix_merge_compareILb0ELb0EjNS0_19identity_decomposerEEEEE10hipError_tT0_T1_T2_jT3_P12ihipStream_tbPNSt15iterator_traitsISN_E10value_typeEPNST_ISO_E10value_typeEPSP_NS1_7vsmem_tEENKUlT_SN_SO_SP_E_clISG_PjSI_PS9_EESM_S12_SN_SO_SP_EUlS12_E0_NS1_11comp_targetILNS1_3genE3ELNS1_11target_archE908ELNS1_3gpuE7ELNS1_3repE0EEENS1_38merge_mergepath_config_static_selectorELNS0_4arch9wavefront6targetE0EEEvSO_.has_indirect_call, 0
	.section	.AMDGPU.csdata,"",@progbits
; Kernel info:
; codeLenInByte = 0
; TotalNumSgprs: 0
; NumVgprs: 0
; ScratchSize: 0
; MemoryBound: 0
; FloatMode: 240
; IeeeMode: 1
; LDSByteSize: 0 bytes/workgroup (compile time only)
; SGPRBlocks: 0
; VGPRBlocks: 0
; NumSGPRsForWavesPerEU: 1
; NumVGPRsForWavesPerEU: 1
; NamedBarCnt: 0
; Occupancy: 16
; WaveLimiterHint : 0
; COMPUTE_PGM_RSRC2:SCRATCH_EN: 0
; COMPUTE_PGM_RSRC2:USER_SGPR: 2
; COMPUTE_PGM_RSRC2:TRAP_HANDLER: 0
; COMPUTE_PGM_RSRC2:TGID_X_EN: 1
; COMPUTE_PGM_RSRC2:TGID_Y_EN: 0
; COMPUTE_PGM_RSRC2:TGID_Z_EN: 0
; COMPUTE_PGM_RSRC2:TIDIG_COMP_CNT: 0
	.section	.text._ZN7rocprim17ROCPRIM_400000_NS6detail17trampoline_kernelINS0_14default_configENS1_38merge_sort_block_merge_config_selectorIjN6thrust23THRUST_200600_302600_NS5tupleIffNS6_9null_typeES8_S8_S8_S8_S8_S8_S8_EEEEZZNS1_27merge_sort_block_merge_implIS3_NS6_6detail15normal_iteratorINS6_10device_ptrIjEEEENSD_INSE_IS9_EEEEjNS1_19radix_merge_compareILb0ELb0EjNS0_19identity_decomposerEEEEE10hipError_tT0_T1_T2_jT3_P12ihipStream_tbPNSt15iterator_traitsISN_E10value_typeEPNST_ISO_E10value_typeEPSP_NS1_7vsmem_tEENKUlT_SN_SO_SP_E_clISG_PjSI_PS9_EESM_S12_SN_SO_SP_EUlS12_E0_NS1_11comp_targetILNS1_3genE2ELNS1_11target_archE906ELNS1_3gpuE6ELNS1_3repE0EEENS1_38merge_mergepath_config_static_selectorELNS0_4arch9wavefront6targetE0EEEvSO_,"axG",@progbits,_ZN7rocprim17ROCPRIM_400000_NS6detail17trampoline_kernelINS0_14default_configENS1_38merge_sort_block_merge_config_selectorIjN6thrust23THRUST_200600_302600_NS5tupleIffNS6_9null_typeES8_S8_S8_S8_S8_S8_S8_EEEEZZNS1_27merge_sort_block_merge_implIS3_NS6_6detail15normal_iteratorINS6_10device_ptrIjEEEENSD_INSE_IS9_EEEEjNS1_19radix_merge_compareILb0ELb0EjNS0_19identity_decomposerEEEEE10hipError_tT0_T1_T2_jT3_P12ihipStream_tbPNSt15iterator_traitsISN_E10value_typeEPNST_ISO_E10value_typeEPSP_NS1_7vsmem_tEENKUlT_SN_SO_SP_E_clISG_PjSI_PS9_EESM_S12_SN_SO_SP_EUlS12_E0_NS1_11comp_targetILNS1_3genE2ELNS1_11target_archE906ELNS1_3gpuE6ELNS1_3repE0EEENS1_38merge_mergepath_config_static_selectorELNS0_4arch9wavefront6targetE0EEEvSO_,comdat
	.protected	_ZN7rocprim17ROCPRIM_400000_NS6detail17trampoline_kernelINS0_14default_configENS1_38merge_sort_block_merge_config_selectorIjN6thrust23THRUST_200600_302600_NS5tupleIffNS6_9null_typeES8_S8_S8_S8_S8_S8_S8_EEEEZZNS1_27merge_sort_block_merge_implIS3_NS6_6detail15normal_iteratorINS6_10device_ptrIjEEEENSD_INSE_IS9_EEEEjNS1_19radix_merge_compareILb0ELb0EjNS0_19identity_decomposerEEEEE10hipError_tT0_T1_T2_jT3_P12ihipStream_tbPNSt15iterator_traitsISN_E10value_typeEPNST_ISO_E10value_typeEPSP_NS1_7vsmem_tEENKUlT_SN_SO_SP_E_clISG_PjSI_PS9_EESM_S12_SN_SO_SP_EUlS12_E0_NS1_11comp_targetILNS1_3genE2ELNS1_11target_archE906ELNS1_3gpuE6ELNS1_3repE0EEENS1_38merge_mergepath_config_static_selectorELNS0_4arch9wavefront6targetE0EEEvSO_ ; -- Begin function _ZN7rocprim17ROCPRIM_400000_NS6detail17trampoline_kernelINS0_14default_configENS1_38merge_sort_block_merge_config_selectorIjN6thrust23THRUST_200600_302600_NS5tupleIffNS6_9null_typeES8_S8_S8_S8_S8_S8_S8_EEEEZZNS1_27merge_sort_block_merge_implIS3_NS6_6detail15normal_iteratorINS6_10device_ptrIjEEEENSD_INSE_IS9_EEEEjNS1_19radix_merge_compareILb0ELb0EjNS0_19identity_decomposerEEEEE10hipError_tT0_T1_T2_jT3_P12ihipStream_tbPNSt15iterator_traitsISN_E10value_typeEPNST_ISO_E10value_typeEPSP_NS1_7vsmem_tEENKUlT_SN_SO_SP_E_clISG_PjSI_PS9_EESM_S12_SN_SO_SP_EUlS12_E0_NS1_11comp_targetILNS1_3genE2ELNS1_11target_archE906ELNS1_3gpuE6ELNS1_3repE0EEENS1_38merge_mergepath_config_static_selectorELNS0_4arch9wavefront6targetE0EEEvSO_
	.globl	_ZN7rocprim17ROCPRIM_400000_NS6detail17trampoline_kernelINS0_14default_configENS1_38merge_sort_block_merge_config_selectorIjN6thrust23THRUST_200600_302600_NS5tupleIffNS6_9null_typeES8_S8_S8_S8_S8_S8_S8_EEEEZZNS1_27merge_sort_block_merge_implIS3_NS6_6detail15normal_iteratorINS6_10device_ptrIjEEEENSD_INSE_IS9_EEEEjNS1_19radix_merge_compareILb0ELb0EjNS0_19identity_decomposerEEEEE10hipError_tT0_T1_T2_jT3_P12ihipStream_tbPNSt15iterator_traitsISN_E10value_typeEPNST_ISO_E10value_typeEPSP_NS1_7vsmem_tEENKUlT_SN_SO_SP_E_clISG_PjSI_PS9_EESM_S12_SN_SO_SP_EUlS12_E0_NS1_11comp_targetILNS1_3genE2ELNS1_11target_archE906ELNS1_3gpuE6ELNS1_3repE0EEENS1_38merge_mergepath_config_static_selectorELNS0_4arch9wavefront6targetE0EEEvSO_
	.p2align	8
	.type	_ZN7rocprim17ROCPRIM_400000_NS6detail17trampoline_kernelINS0_14default_configENS1_38merge_sort_block_merge_config_selectorIjN6thrust23THRUST_200600_302600_NS5tupleIffNS6_9null_typeES8_S8_S8_S8_S8_S8_S8_EEEEZZNS1_27merge_sort_block_merge_implIS3_NS6_6detail15normal_iteratorINS6_10device_ptrIjEEEENSD_INSE_IS9_EEEEjNS1_19radix_merge_compareILb0ELb0EjNS0_19identity_decomposerEEEEE10hipError_tT0_T1_T2_jT3_P12ihipStream_tbPNSt15iterator_traitsISN_E10value_typeEPNST_ISO_E10value_typeEPSP_NS1_7vsmem_tEENKUlT_SN_SO_SP_E_clISG_PjSI_PS9_EESM_S12_SN_SO_SP_EUlS12_E0_NS1_11comp_targetILNS1_3genE2ELNS1_11target_archE906ELNS1_3gpuE6ELNS1_3repE0EEENS1_38merge_mergepath_config_static_selectorELNS0_4arch9wavefront6targetE0EEEvSO_,@function
_ZN7rocprim17ROCPRIM_400000_NS6detail17trampoline_kernelINS0_14default_configENS1_38merge_sort_block_merge_config_selectorIjN6thrust23THRUST_200600_302600_NS5tupleIffNS6_9null_typeES8_S8_S8_S8_S8_S8_S8_EEEEZZNS1_27merge_sort_block_merge_implIS3_NS6_6detail15normal_iteratorINS6_10device_ptrIjEEEENSD_INSE_IS9_EEEEjNS1_19radix_merge_compareILb0ELb0EjNS0_19identity_decomposerEEEEE10hipError_tT0_T1_T2_jT3_P12ihipStream_tbPNSt15iterator_traitsISN_E10value_typeEPNST_ISO_E10value_typeEPSP_NS1_7vsmem_tEENKUlT_SN_SO_SP_E_clISG_PjSI_PS9_EESM_S12_SN_SO_SP_EUlS12_E0_NS1_11comp_targetILNS1_3genE2ELNS1_11target_archE906ELNS1_3gpuE6ELNS1_3repE0EEENS1_38merge_mergepath_config_static_selectorELNS0_4arch9wavefront6targetE0EEEvSO_: ; @_ZN7rocprim17ROCPRIM_400000_NS6detail17trampoline_kernelINS0_14default_configENS1_38merge_sort_block_merge_config_selectorIjN6thrust23THRUST_200600_302600_NS5tupleIffNS6_9null_typeES8_S8_S8_S8_S8_S8_S8_EEEEZZNS1_27merge_sort_block_merge_implIS3_NS6_6detail15normal_iteratorINS6_10device_ptrIjEEEENSD_INSE_IS9_EEEEjNS1_19radix_merge_compareILb0ELb0EjNS0_19identity_decomposerEEEEE10hipError_tT0_T1_T2_jT3_P12ihipStream_tbPNSt15iterator_traitsISN_E10value_typeEPNST_ISO_E10value_typeEPSP_NS1_7vsmem_tEENKUlT_SN_SO_SP_E_clISG_PjSI_PS9_EESM_S12_SN_SO_SP_EUlS12_E0_NS1_11comp_targetILNS1_3genE2ELNS1_11target_archE906ELNS1_3gpuE6ELNS1_3repE0EEENS1_38merge_mergepath_config_static_selectorELNS0_4arch9wavefront6targetE0EEEvSO_
; %bb.0:
	.section	.rodata,"a",@progbits
	.p2align	6, 0x0
	.amdhsa_kernel _ZN7rocprim17ROCPRIM_400000_NS6detail17trampoline_kernelINS0_14default_configENS1_38merge_sort_block_merge_config_selectorIjN6thrust23THRUST_200600_302600_NS5tupleIffNS6_9null_typeES8_S8_S8_S8_S8_S8_S8_EEEEZZNS1_27merge_sort_block_merge_implIS3_NS6_6detail15normal_iteratorINS6_10device_ptrIjEEEENSD_INSE_IS9_EEEEjNS1_19radix_merge_compareILb0ELb0EjNS0_19identity_decomposerEEEEE10hipError_tT0_T1_T2_jT3_P12ihipStream_tbPNSt15iterator_traitsISN_E10value_typeEPNST_ISO_E10value_typeEPSP_NS1_7vsmem_tEENKUlT_SN_SO_SP_E_clISG_PjSI_PS9_EESM_S12_SN_SO_SP_EUlS12_E0_NS1_11comp_targetILNS1_3genE2ELNS1_11target_archE906ELNS1_3gpuE6ELNS1_3repE0EEENS1_38merge_mergepath_config_static_selectorELNS0_4arch9wavefront6targetE0EEEvSO_
		.amdhsa_group_segment_fixed_size 0
		.amdhsa_private_segment_fixed_size 0
		.amdhsa_kernarg_size 64
		.amdhsa_user_sgpr_count 2
		.amdhsa_user_sgpr_dispatch_ptr 0
		.amdhsa_user_sgpr_queue_ptr 0
		.amdhsa_user_sgpr_kernarg_segment_ptr 1
		.amdhsa_user_sgpr_dispatch_id 0
		.amdhsa_user_sgpr_kernarg_preload_length 0
		.amdhsa_user_sgpr_kernarg_preload_offset 0
		.amdhsa_user_sgpr_private_segment_size 0
		.amdhsa_wavefront_size32 1
		.amdhsa_uses_dynamic_stack 0
		.amdhsa_enable_private_segment 0
		.amdhsa_system_sgpr_workgroup_id_x 1
		.amdhsa_system_sgpr_workgroup_id_y 0
		.amdhsa_system_sgpr_workgroup_id_z 0
		.amdhsa_system_sgpr_workgroup_info 0
		.amdhsa_system_vgpr_workitem_id 0
		.amdhsa_next_free_vgpr 1
		.amdhsa_next_free_sgpr 1
		.amdhsa_named_barrier_count 0
		.amdhsa_reserve_vcc 0
		.amdhsa_float_round_mode_32 0
		.amdhsa_float_round_mode_16_64 0
		.amdhsa_float_denorm_mode_32 3
		.amdhsa_float_denorm_mode_16_64 3
		.amdhsa_fp16_overflow 0
		.amdhsa_memory_ordered 1
		.amdhsa_forward_progress 1
		.amdhsa_inst_pref_size 0
		.amdhsa_round_robin_scheduling 0
		.amdhsa_exception_fp_ieee_invalid_op 0
		.amdhsa_exception_fp_denorm_src 0
		.amdhsa_exception_fp_ieee_div_zero 0
		.amdhsa_exception_fp_ieee_overflow 0
		.amdhsa_exception_fp_ieee_underflow 0
		.amdhsa_exception_fp_ieee_inexact 0
		.amdhsa_exception_int_div_zero 0
	.end_amdhsa_kernel
	.section	.text._ZN7rocprim17ROCPRIM_400000_NS6detail17trampoline_kernelINS0_14default_configENS1_38merge_sort_block_merge_config_selectorIjN6thrust23THRUST_200600_302600_NS5tupleIffNS6_9null_typeES8_S8_S8_S8_S8_S8_S8_EEEEZZNS1_27merge_sort_block_merge_implIS3_NS6_6detail15normal_iteratorINS6_10device_ptrIjEEEENSD_INSE_IS9_EEEEjNS1_19radix_merge_compareILb0ELb0EjNS0_19identity_decomposerEEEEE10hipError_tT0_T1_T2_jT3_P12ihipStream_tbPNSt15iterator_traitsISN_E10value_typeEPNST_ISO_E10value_typeEPSP_NS1_7vsmem_tEENKUlT_SN_SO_SP_E_clISG_PjSI_PS9_EESM_S12_SN_SO_SP_EUlS12_E0_NS1_11comp_targetILNS1_3genE2ELNS1_11target_archE906ELNS1_3gpuE6ELNS1_3repE0EEENS1_38merge_mergepath_config_static_selectorELNS0_4arch9wavefront6targetE0EEEvSO_,"axG",@progbits,_ZN7rocprim17ROCPRIM_400000_NS6detail17trampoline_kernelINS0_14default_configENS1_38merge_sort_block_merge_config_selectorIjN6thrust23THRUST_200600_302600_NS5tupleIffNS6_9null_typeES8_S8_S8_S8_S8_S8_S8_EEEEZZNS1_27merge_sort_block_merge_implIS3_NS6_6detail15normal_iteratorINS6_10device_ptrIjEEEENSD_INSE_IS9_EEEEjNS1_19radix_merge_compareILb0ELb0EjNS0_19identity_decomposerEEEEE10hipError_tT0_T1_T2_jT3_P12ihipStream_tbPNSt15iterator_traitsISN_E10value_typeEPNST_ISO_E10value_typeEPSP_NS1_7vsmem_tEENKUlT_SN_SO_SP_E_clISG_PjSI_PS9_EESM_S12_SN_SO_SP_EUlS12_E0_NS1_11comp_targetILNS1_3genE2ELNS1_11target_archE906ELNS1_3gpuE6ELNS1_3repE0EEENS1_38merge_mergepath_config_static_selectorELNS0_4arch9wavefront6targetE0EEEvSO_,comdat
.Lfunc_end62:
	.size	_ZN7rocprim17ROCPRIM_400000_NS6detail17trampoline_kernelINS0_14default_configENS1_38merge_sort_block_merge_config_selectorIjN6thrust23THRUST_200600_302600_NS5tupleIffNS6_9null_typeES8_S8_S8_S8_S8_S8_S8_EEEEZZNS1_27merge_sort_block_merge_implIS3_NS6_6detail15normal_iteratorINS6_10device_ptrIjEEEENSD_INSE_IS9_EEEEjNS1_19radix_merge_compareILb0ELb0EjNS0_19identity_decomposerEEEEE10hipError_tT0_T1_T2_jT3_P12ihipStream_tbPNSt15iterator_traitsISN_E10value_typeEPNST_ISO_E10value_typeEPSP_NS1_7vsmem_tEENKUlT_SN_SO_SP_E_clISG_PjSI_PS9_EESM_S12_SN_SO_SP_EUlS12_E0_NS1_11comp_targetILNS1_3genE2ELNS1_11target_archE906ELNS1_3gpuE6ELNS1_3repE0EEENS1_38merge_mergepath_config_static_selectorELNS0_4arch9wavefront6targetE0EEEvSO_, .Lfunc_end62-_ZN7rocprim17ROCPRIM_400000_NS6detail17trampoline_kernelINS0_14default_configENS1_38merge_sort_block_merge_config_selectorIjN6thrust23THRUST_200600_302600_NS5tupleIffNS6_9null_typeES8_S8_S8_S8_S8_S8_S8_EEEEZZNS1_27merge_sort_block_merge_implIS3_NS6_6detail15normal_iteratorINS6_10device_ptrIjEEEENSD_INSE_IS9_EEEEjNS1_19radix_merge_compareILb0ELb0EjNS0_19identity_decomposerEEEEE10hipError_tT0_T1_T2_jT3_P12ihipStream_tbPNSt15iterator_traitsISN_E10value_typeEPNST_ISO_E10value_typeEPSP_NS1_7vsmem_tEENKUlT_SN_SO_SP_E_clISG_PjSI_PS9_EESM_S12_SN_SO_SP_EUlS12_E0_NS1_11comp_targetILNS1_3genE2ELNS1_11target_archE906ELNS1_3gpuE6ELNS1_3repE0EEENS1_38merge_mergepath_config_static_selectorELNS0_4arch9wavefront6targetE0EEEvSO_
                                        ; -- End function
	.set _ZN7rocprim17ROCPRIM_400000_NS6detail17trampoline_kernelINS0_14default_configENS1_38merge_sort_block_merge_config_selectorIjN6thrust23THRUST_200600_302600_NS5tupleIffNS6_9null_typeES8_S8_S8_S8_S8_S8_S8_EEEEZZNS1_27merge_sort_block_merge_implIS3_NS6_6detail15normal_iteratorINS6_10device_ptrIjEEEENSD_INSE_IS9_EEEEjNS1_19radix_merge_compareILb0ELb0EjNS0_19identity_decomposerEEEEE10hipError_tT0_T1_T2_jT3_P12ihipStream_tbPNSt15iterator_traitsISN_E10value_typeEPNST_ISO_E10value_typeEPSP_NS1_7vsmem_tEENKUlT_SN_SO_SP_E_clISG_PjSI_PS9_EESM_S12_SN_SO_SP_EUlS12_E0_NS1_11comp_targetILNS1_3genE2ELNS1_11target_archE906ELNS1_3gpuE6ELNS1_3repE0EEENS1_38merge_mergepath_config_static_selectorELNS0_4arch9wavefront6targetE0EEEvSO_.num_vgpr, 0
	.set _ZN7rocprim17ROCPRIM_400000_NS6detail17trampoline_kernelINS0_14default_configENS1_38merge_sort_block_merge_config_selectorIjN6thrust23THRUST_200600_302600_NS5tupleIffNS6_9null_typeES8_S8_S8_S8_S8_S8_S8_EEEEZZNS1_27merge_sort_block_merge_implIS3_NS6_6detail15normal_iteratorINS6_10device_ptrIjEEEENSD_INSE_IS9_EEEEjNS1_19radix_merge_compareILb0ELb0EjNS0_19identity_decomposerEEEEE10hipError_tT0_T1_T2_jT3_P12ihipStream_tbPNSt15iterator_traitsISN_E10value_typeEPNST_ISO_E10value_typeEPSP_NS1_7vsmem_tEENKUlT_SN_SO_SP_E_clISG_PjSI_PS9_EESM_S12_SN_SO_SP_EUlS12_E0_NS1_11comp_targetILNS1_3genE2ELNS1_11target_archE906ELNS1_3gpuE6ELNS1_3repE0EEENS1_38merge_mergepath_config_static_selectorELNS0_4arch9wavefront6targetE0EEEvSO_.num_agpr, 0
	.set _ZN7rocprim17ROCPRIM_400000_NS6detail17trampoline_kernelINS0_14default_configENS1_38merge_sort_block_merge_config_selectorIjN6thrust23THRUST_200600_302600_NS5tupleIffNS6_9null_typeES8_S8_S8_S8_S8_S8_S8_EEEEZZNS1_27merge_sort_block_merge_implIS3_NS6_6detail15normal_iteratorINS6_10device_ptrIjEEEENSD_INSE_IS9_EEEEjNS1_19radix_merge_compareILb0ELb0EjNS0_19identity_decomposerEEEEE10hipError_tT0_T1_T2_jT3_P12ihipStream_tbPNSt15iterator_traitsISN_E10value_typeEPNST_ISO_E10value_typeEPSP_NS1_7vsmem_tEENKUlT_SN_SO_SP_E_clISG_PjSI_PS9_EESM_S12_SN_SO_SP_EUlS12_E0_NS1_11comp_targetILNS1_3genE2ELNS1_11target_archE906ELNS1_3gpuE6ELNS1_3repE0EEENS1_38merge_mergepath_config_static_selectorELNS0_4arch9wavefront6targetE0EEEvSO_.numbered_sgpr, 0
	.set _ZN7rocprim17ROCPRIM_400000_NS6detail17trampoline_kernelINS0_14default_configENS1_38merge_sort_block_merge_config_selectorIjN6thrust23THRUST_200600_302600_NS5tupleIffNS6_9null_typeES8_S8_S8_S8_S8_S8_S8_EEEEZZNS1_27merge_sort_block_merge_implIS3_NS6_6detail15normal_iteratorINS6_10device_ptrIjEEEENSD_INSE_IS9_EEEEjNS1_19radix_merge_compareILb0ELb0EjNS0_19identity_decomposerEEEEE10hipError_tT0_T1_T2_jT3_P12ihipStream_tbPNSt15iterator_traitsISN_E10value_typeEPNST_ISO_E10value_typeEPSP_NS1_7vsmem_tEENKUlT_SN_SO_SP_E_clISG_PjSI_PS9_EESM_S12_SN_SO_SP_EUlS12_E0_NS1_11comp_targetILNS1_3genE2ELNS1_11target_archE906ELNS1_3gpuE6ELNS1_3repE0EEENS1_38merge_mergepath_config_static_selectorELNS0_4arch9wavefront6targetE0EEEvSO_.num_named_barrier, 0
	.set _ZN7rocprim17ROCPRIM_400000_NS6detail17trampoline_kernelINS0_14default_configENS1_38merge_sort_block_merge_config_selectorIjN6thrust23THRUST_200600_302600_NS5tupleIffNS6_9null_typeES8_S8_S8_S8_S8_S8_S8_EEEEZZNS1_27merge_sort_block_merge_implIS3_NS6_6detail15normal_iteratorINS6_10device_ptrIjEEEENSD_INSE_IS9_EEEEjNS1_19radix_merge_compareILb0ELb0EjNS0_19identity_decomposerEEEEE10hipError_tT0_T1_T2_jT3_P12ihipStream_tbPNSt15iterator_traitsISN_E10value_typeEPNST_ISO_E10value_typeEPSP_NS1_7vsmem_tEENKUlT_SN_SO_SP_E_clISG_PjSI_PS9_EESM_S12_SN_SO_SP_EUlS12_E0_NS1_11comp_targetILNS1_3genE2ELNS1_11target_archE906ELNS1_3gpuE6ELNS1_3repE0EEENS1_38merge_mergepath_config_static_selectorELNS0_4arch9wavefront6targetE0EEEvSO_.private_seg_size, 0
	.set _ZN7rocprim17ROCPRIM_400000_NS6detail17trampoline_kernelINS0_14default_configENS1_38merge_sort_block_merge_config_selectorIjN6thrust23THRUST_200600_302600_NS5tupleIffNS6_9null_typeES8_S8_S8_S8_S8_S8_S8_EEEEZZNS1_27merge_sort_block_merge_implIS3_NS6_6detail15normal_iteratorINS6_10device_ptrIjEEEENSD_INSE_IS9_EEEEjNS1_19radix_merge_compareILb0ELb0EjNS0_19identity_decomposerEEEEE10hipError_tT0_T1_T2_jT3_P12ihipStream_tbPNSt15iterator_traitsISN_E10value_typeEPNST_ISO_E10value_typeEPSP_NS1_7vsmem_tEENKUlT_SN_SO_SP_E_clISG_PjSI_PS9_EESM_S12_SN_SO_SP_EUlS12_E0_NS1_11comp_targetILNS1_3genE2ELNS1_11target_archE906ELNS1_3gpuE6ELNS1_3repE0EEENS1_38merge_mergepath_config_static_selectorELNS0_4arch9wavefront6targetE0EEEvSO_.uses_vcc, 0
	.set _ZN7rocprim17ROCPRIM_400000_NS6detail17trampoline_kernelINS0_14default_configENS1_38merge_sort_block_merge_config_selectorIjN6thrust23THRUST_200600_302600_NS5tupleIffNS6_9null_typeES8_S8_S8_S8_S8_S8_S8_EEEEZZNS1_27merge_sort_block_merge_implIS3_NS6_6detail15normal_iteratorINS6_10device_ptrIjEEEENSD_INSE_IS9_EEEEjNS1_19radix_merge_compareILb0ELb0EjNS0_19identity_decomposerEEEEE10hipError_tT0_T1_T2_jT3_P12ihipStream_tbPNSt15iterator_traitsISN_E10value_typeEPNST_ISO_E10value_typeEPSP_NS1_7vsmem_tEENKUlT_SN_SO_SP_E_clISG_PjSI_PS9_EESM_S12_SN_SO_SP_EUlS12_E0_NS1_11comp_targetILNS1_3genE2ELNS1_11target_archE906ELNS1_3gpuE6ELNS1_3repE0EEENS1_38merge_mergepath_config_static_selectorELNS0_4arch9wavefront6targetE0EEEvSO_.uses_flat_scratch, 0
	.set _ZN7rocprim17ROCPRIM_400000_NS6detail17trampoline_kernelINS0_14default_configENS1_38merge_sort_block_merge_config_selectorIjN6thrust23THRUST_200600_302600_NS5tupleIffNS6_9null_typeES8_S8_S8_S8_S8_S8_S8_EEEEZZNS1_27merge_sort_block_merge_implIS3_NS6_6detail15normal_iteratorINS6_10device_ptrIjEEEENSD_INSE_IS9_EEEEjNS1_19radix_merge_compareILb0ELb0EjNS0_19identity_decomposerEEEEE10hipError_tT0_T1_T2_jT3_P12ihipStream_tbPNSt15iterator_traitsISN_E10value_typeEPNST_ISO_E10value_typeEPSP_NS1_7vsmem_tEENKUlT_SN_SO_SP_E_clISG_PjSI_PS9_EESM_S12_SN_SO_SP_EUlS12_E0_NS1_11comp_targetILNS1_3genE2ELNS1_11target_archE906ELNS1_3gpuE6ELNS1_3repE0EEENS1_38merge_mergepath_config_static_selectorELNS0_4arch9wavefront6targetE0EEEvSO_.has_dyn_sized_stack, 0
	.set _ZN7rocprim17ROCPRIM_400000_NS6detail17trampoline_kernelINS0_14default_configENS1_38merge_sort_block_merge_config_selectorIjN6thrust23THRUST_200600_302600_NS5tupleIffNS6_9null_typeES8_S8_S8_S8_S8_S8_S8_EEEEZZNS1_27merge_sort_block_merge_implIS3_NS6_6detail15normal_iteratorINS6_10device_ptrIjEEEENSD_INSE_IS9_EEEEjNS1_19radix_merge_compareILb0ELb0EjNS0_19identity_decomposerEEEEE10hipError_tT0_T1_T2_jT3_P12ihipStream_tbPNSt15iterator_traitsISN_E10value_typeEPNST_ISO_E10value_typeEPSP_NS1_7vsmem_tEENKUlT_SN_SO_SP_E_clISG_PjSI_PS9_EESM_S12_SN_SO_SP_EUlS12_E0_NS1_11comp_targetILNS1_3genE2ELNS1_11target_archE906ELNS1_3gpuE6ELNS1_3repE0EEENS1_38merge_mergepath_config_static_selectorELNS0_4arch9wavefront6targetE0EEEvSO_.has_recursion, 0
	.set _ZN7rocprim17ROCPRIM_400000_NS6detail17trampoline_kernelINS0_14default_configENS1_38merge_sort_block_merge_config_selectorIjN6thrust23THRUST_200600_302600_NS5tupleIffNS6_9null_typeES8_S8_S8_S8_S8_S8_S8_EEEEZZNS1_27merge_sort_block_merge_implIS3_NS6_6detail15normal_iteratorINS6_10device_ptrIjEEEENSD_INSE_IS9_EEEEjNS1_19radix_merge_compareILb0ELb0EjNS0_19identity_decomposerEEEEE10hipError_tT0_T1_T2_jT3_P12ihipStream_tbPNSt15iterator_traitsISN_E10value_typeEPNST_ISO_E10value_typeEPSP_NS1_7vsmem_tEENKUlT_SN_SO_SP_E_clISG_PjSI_PS9_EESM_S12_SN_SO_SP_EUlS12_E0_NS1_11comp_targetILNS1_3genE2ELNS1_11target_archE906ELNS1_3gpuE6ELNS1_3repE0EEENS1_38merge_mergepath_config_static_selectorELNS0_4arch9wavefront6targetE0EEEvSO_.has_indirect_call, 0
	.section	.AMDGPU.csdata,"",@progbits
; Kernel info:
; codeLenInByte = 0
; TotalNumSgprs: 0
; NumVgprs: 0
; ScratchSize: 0
; MemoryBound: 0
; FloatMode: 240
; IeeeMode: 1
; LDSByteSize: 0 bytes/workgroup (compile time only)
; SGPRBlocks: 0
; VGPRBlocks: 0
; NumSGPRsForWavesPerEU: 1
; NumVGPRsForWavesPerEU: 1
; NamedBarCnt: 0
; Occupancy: 16
; WaveLimiterHint : 0
; COMPUTE_PGM_RSRC2:SCRATCH_EN: 0
; COMPUTE_PGM_RSRC2:USER_SGPR: 2
; COMPUTE_PGM_RSRC2:TRAP_HANDLER: 0
; COMPUTE_PGM_RSRC2:TGID_X_EN: 1
; COMPUTE_PGM_RSRC2:TGID_Y_EN: 0
; COMPUTE_PGM_RSRC2:TGID_Z_EN: 0
; COMPUTE_PGM_RSRC2:TIDIG_COMP_CNT: 0
	.section	.text._ZN7rocprim17ROCPRIM_400000_NS6detail17trampoline_kernelINS0_14default_configENS1_38merge_sort_block_merge_config_selectorIjN6thrust23THRUST_200600_302600_NS5tupleIffNS6_9null_typeES8_S8_S8_S8_S8_S8_S8_EEEEZZNS1_27merge_sort_block_merge_implIS3_NS6_6detail15normal_iteratorINS6_10device_ptrIjEEEENSD_INSE_IS9_EEEEjNS1_19radix_merge_compareILb0ELb0EjNS0_19identity_decomposerEEEEE10hipError_tT0_T1_T2_jT3_P12ihipStream_tbPNSt15iterator_traitsISN_E10value_typeEPNST_ISO_E10value_typeEPSP_NS1_7vsmem_tEENKUlT_SN_SO_SP_E_clISG_PjSI_PS9_EESM_S12_SN_SO_SP_EUlS12_E0_NS1_11comp_targetILNS1_3genE9ELNS1_11target_archE1100ELNS1_3gpuE3ELNS1_3repE0EEENS1_38merge_mergepath_config_static_selectorELNS0_4arch9wavefront6targetE0EEEvSO_,"axG",@progbits,_ZN7rocprim17ROCPRIM_400000_NS6detail17trampoline_kernelINS0_14default_configENS1_38merge_sort_block_merge_config_selectorIjN6thrust23THRUST_200600_302600_NS5tupleIffNS6_9null_typeES8_S8_S8_S8_S8_S8_S8_EEEEZZNS1_27merge_sort_block_merge_implIS3_NS6_6detail15normal_iteratorINS6_10device_ptrIjEEEENSD_INSE_IS9_EEEEjNS1_19radix_merge_compareILb0ELb0EjNS0_19identity_decomposerEEEEE10hipError_tT0_T1_T2_jT3_P12ihipStream_tbPNSt15iterator_traitsISN_E10value_typeEPNST_ISO_E10value_typeEPSP_NS1_7vsmem_tEENKUlT_SN_SO_SP_E_clISG_PjSI_PS9_EESM_S12_SN_SO_SP_EUlS12_E0_NS1_11comp_targetILNS1_3genE9ELNS1_11target_archE1100ELNS1_3gpuE3ELNS1_3repE0EEENS1_38merge_mergepath_config_static_selectorELNS0_4arch9wavefront6targetE0EEEvSO_,comdat
	.protected	_ZN7rocprim17ROCPRIM_400000_NS6detail17trampoline_kernelINS0_14default_configENS1_38merge_sort_block_merge_config_selectorIjN6thrust23THRUST_200600_302600_NS5tupleIffNS6_9null_typeES8_S8_S8_S8_S8_S8_S8_EEEEZZNS1_27merge_sort_block_merge_implIS3_NS6_6detail15normal_iteratorINS6_10device_ptrIjEEEENSD_INSE_IS9_EEEEjNS1_19radix_merge_compareILb0ELb0EjNS0_19identity_decomposerEEEEE10hipError_tT0_T1_T2_jT3_P12ihipStream_tbPNSt15iterator_traitsISN_E10value_typeEPNST_ISO_E10value_typeEPSP_NS1_7vsmem_tEENKUlT_SN_SO_SP_E_clISG_PjSI_PS9_EESM_S12_SN_SO_SP_EUlS12_E0_NS1_11comp_targetILNS1_3genE9ELNS1_11target_archE1100ELNS1_3gpuE3ELNS1_3repE0EEENS1_38merge_mergepath_config_static_selectorELNS0_4arch9wavefront6targetE0EEEvSO_ ; -- Begin function _ZN7rocprim17ROCPRIM_400000_NS6detail17trampoline_kernelINS0_14default_configENS1_38merge_sort_block_merge_config_selectorIjN6thrust23THRUST_200600_302600_NS5tupleIffNS6_9null_typeES8_S8_S8_S8_S8_S8_S8_EEEEZZNS1_27merge_sort_block_merge_implIS3_NS6_6detail15normal_iteratorINS6_10device_ptrIjEEEENSD_INSE_IS9_EEEEjNS1_19radix_merge_compareILb0ELb0EjNS0_19identity_decomposerEEEEE10hipError_tT0_T1_T2_jT3_P12ihipStream_tbPNSt15iterator_traitsISN_E10value_typeEPNST_ISO_E10value_typeEPSP_NS1_7vsmem_tEENKUlT_SN_SO_SP_E_clISG_PjSI_PS9_EESM_S12_SN_SO_SP_EUlS12_E0_NS1_11comp_targetILNS1_3genE9ELNS1_11target_archE1100ELNS1_3gpuE3ELNS1_3repE0EEENS1_38merge_mergepath_config_static_selectorELNS0_4arch9wavefront6targetE0EEEvSO_
	.globl	_ZN7rocprim17ROCPRIM_400000_NS6detail17trampoline_kernelINS0_14default_configENS1_38merge_sort_block_merge_config_selectorIjN6thrust23THRUST_200600_302600_NS5tupleIffNS6_9null_typeES8_S8_S8_S8_S8_S8_S8_EEEEZZNS1_27merge_sort_block_merge_implIS3_NS6_6detail15normal_iteratorINS6_10device_ptrIjEEEENSD_INSE_IS9_EEEEjNS1_19radix_merge_compareILb0ELb0EjNS0_19identity_decomposerEEEEE10hipError_tT0_T1_T2_jT3_P12ihipStream_tbPNSt15iterator_traitsISN_E10value_typeEPNST_ISO_E10value_typeEPSP_NS1_7vsmem_tEENKUlT_SN_SO_SP_E_clISG_PjSI_PS9_EESM_S12_SN_SO_SP_EUlS12_E0_NS1_11comp_targetILNS1_3genE9ELNS1_11target_archE1100ELNS1_3gpuE3ELNS1_3repE0EEENS1_38merge_mergepath_config_static_selectorELNS0_4arch9wavefront6targetE0EEEvSO_
	.p2align	8
	.type	_ZN7rocprim17ROCPRIM_400000_NS6detail17trampoline_kernelINS0_14default_configENS1_38merge_sort_block_merge_config_selectorIjN6thrust23THRUST_200600_302600_NS5tupleIffNS6_9null_typeES8_S8_S8_S8_S8_S8_S8_EEEEZZNS1_27merge_sort_block_merge_implIS3_NS6_6detail15normal_iteratorINS6_10device_ptrIjEEEENSD_INSE_IS9_EEEEjNS1_19radix_merge_compareILb0ELb0EjNS0_19identity_decomposerEEEEE10hipError_tT0_T1_T2_jT3_P12ihipStream_tbPNSt15iterator_traitsISN_E10value_typeEPNST_ISO_E10value_typeEPSP_NS1_7vsmem_tEENKUlT_SN_SO_SP_E_clISG_PjSI_PS9_EESM_S12_SN_SO_SP_EUlS12_E0_NS1_11comp_targetILNS1_3genE9ELNS1_11target_archE1100ELNS1_3gpuE3ELNS1_3repE0EEENS1_38merge_mergepath_config_static_selectorELNS0_4arch9wavefront6targetE0EEEvSO_,@function
_ZN7rocprim17ROCPRIM_400000_NS6detail17trampoline_kernelINS0_14default_configENS1_38merge_sort_block_merge_config_selectorIjN6thrust23THRUST_200600_302600_NS5tupleIffNS6_9null_typeES8_S8_S8_S8_S8_S8_S8_EEEEZZNS1_27merge_sort_block_merge_implIS3_NS6_6detail15normal_iteratorINS6_10device_ptrIjEEEENSD_INSE_IS9_EEEEjNS1_19radix_merge_compareILb0ELb0EjNS0_19identity_decomposerEEEEE10hipError_tT0_T1_T2_jT3_P12ihipStream_tbPNSt15iterator_traitsISN_E10value_typeEPNST_ISO_E10value_typeEPSP_NS1_7vsmem_tEENKUlT_SN_SO_SP_E_clISG_PjSI_PS9_EESM_S12_SN_SO_SP_EUlS12_E0_NS1_11comp_targetILNS1_3genE9ELNS1_11target_archE1100ELNS1_3gpuE3ELNS1_3repE0EEENS1_38merge_mergepath_config_static_selectorELNS0_4arch9wavefront6targetE0EEEvSO_: ; @_ZN7rocprim17ROCPRIM_400000_NS6detail17trampoline_kernelINS0_14default_configENS1_38merge_sort_block_merge_config_selectorIjN6thrust23THRUST_200600_302600_NS5tupleIffNS6_9null_typeES8_S8_S8_S8_S8_S8_S8_EEEEZZNS1_27merge_sort_block_merge_implIS3_NS6_6detail15normal_iteratorINS6_10device_ptrIjEEEENSD_INSE_IS9_EEEEjNS1_19radix_merge_compareILb0ELb0EjNS0_19identity_decomposerEEEEE10hipError_tT0_T1_T2_jT3_P12ihipStream_tbPNSt15iterator_traitsISN_E10value_typeEPNST_ISO_E10value_typeEPSP_NS1_7vsmem_tEENKUlT_SN_SO_SP_E_clISG_PjSI_PS9_EESM_S12_SN_SO_SP_EUlS12_E0_NS1_11comp_targetILNS1_3genE9ELNS1_11target_archE1100ELNS1_3gpuE3ELNS1_3repE0EEENS1_38merge_mergepath_config_static_selectorELNS0_4arch9wavefront6targetE0EEEvSO_
; %bb.0:
	.section	.rodata,"a",@progbits
	.p2align	6, 0x0
	.amdhsa_kernel _ZN7rocprim17ROCPRIM_400000_NS6detail17trampoline_kernelINS0_14default_configENS1_38merge_sort_block_merge_config_selectorIjN6thrust23THRUST_200600_302600_NS5tupleIffNS6_9null_typeES8_S8_S8_S8_S8_S8_S8_EEEEZZNS1_27merge_sort_block_merge_implIS3_NS6_6detail15normal_iteratorINS6_10device_ptrIjEEEENSD_INSE_IS9_EEEEjNS1_19radix_merge_compareILb0ELb0EjNS0_19identity_decomposerEEEEE10hipError_tT0_T1_T2_jT3_P12ihipStream_tbPNSt15iterator_traitsISN_E10value_typeEPNST_ISO_E10value_typeEPSP_NS1_7vsmem_tEENKUlT_SN_SO_SP_E_clISG_PjSI_PS9_EESM_S12_SN_SO_SP_EUlS12_E0_NS1_11comp_targetILNS1_3genE9ELNS1_11target_archE1100ELNS1_3gpuE3ELNS1_3repE0EEENS1_38merge_mergepath_config_static_selectorELNS0_4arch9wavefront6targetE0EEEvSO_
		.amdhsa_group_segment_fixed_size 0
		.amdhsa_private_segment_fixed_size 0
		.amdhsa_kernarg_size 64
		.amdhsa_user_sgpr_count 2
		.amdhsa_user_sgpr_dispatch_ptr 0
		.amdhsa_user_sgpr_queue_ptr 0
		.amdhsa_user_sgpr_kernarg_segment_ptr 1
		.amdhsa_user_sgpr_dispatch_id 0
		.amdhsa_user_sgpr_kernarg_preload_length 0
		.amdhsa_user_sgpr_kernarg_preload_offset 0
		.amdhsa_user_sgpr_private_segment_size 0
		.amdhsa_wavefront_size32 1
		.amdhsa_uses_dynamic_stack 0
		.amdhsa_enable_private_segment 0
		.amdhsa_system_sgpr_workgroup_id_x 1
		.amdhsa_system_sgpr_workgroup_id_y 0
		.amdhsa_system_sgpr_workgroup_id_z 0
		.amdhsa_system_sgpr_workgroup_info 0
		.amdhsa_system_vgpr_workitem_id 0
		.amdhsa_next_free_vgpr 1
		.amdhsa_next_free_sgpr 1
		.amdhsa_named_barrier_count 0
		.amdhsa_reserve_vcc 0
		.amdhsa_float_round_mode_32 0
		.amdhsa_float_round_mode_16_64 0
		.amdhsa_float_denorm_mode_32 3
		.amdhsa_float_denorm_mode_16_64 3
		.amdhsa_fp16_overflow 0
		.amdhsa_memory_ordered 1
		.amdhsa_forward_progress 1
		.amdhsa_inst_pref_size 0
		.amdhsa_round_robin_scheduling 0
		.amdhsa_exception_fp_ieee_invalid_op 0
		.amdhsa_exception_fp_denorm_src 0
		.amdhsa_exception_fp_ieee_div_zero 0
		.amdhsa_exception_fp_ieee_overflow 0
		.amdhsa_exception_fp_ieee_underflow 0
		.amdhsa_exception_fp_ieee_inexact 0
		.amdhsa_exception_int_div_zero 0
	.end_amdhsa_kernel
	.section	.text._ZN7rocprim17ROCPRIM_400000_NS6detail17trampoline_kernelINS0_14default_configENS1_38merge_sort_block_merge_config_selectorIjN6thrust23THRUST_200600_302600_NS5tupleIffNS6_9null_typeES8_S8_S8_S8_S8_S8_S8_EEEEZZNS1_27merge_sort_block_merge_implIS3_NS6_6detail15normal_iteratorINS6_10device_ptrIjEEEENSD_INSE_IS9_EEEEjNS1_19radix_merge_compareILb0ELb0EjNS0_19identity_decomposerEEEEE10hipError_tT0_T1_T2_jT3_P12ihipStream_tbPNSt15iterator_traitsISN_E10value_typeEPNST_ISO_E10value_typeEPSP_NS1_7vsmem_tEENKUlT_SN_SO_SP_E_clISG_PjSI_PS9_EESM_S12_SN_SO_SP_EUlS12_E0_NS1_11comp_targetILNS1_3genE9ELNS1_11target_archE1100ELNS1_3gpuE3ELNS1_3repE0EEENS1_38merge_mergepath_config_static_selectorELNS0_4arch9wavefront6targetE0EEEvSO_,"axG",@progbits,_ZN7rocprim17ROCPRIM_400000_NS6detail17trampoline_kernelINS0_14default_configENS1_38merge_sort_block_merge_config_selectorIjN6thrust23THRUST_200600_302600_NS5tupleIffNS6_9null_typeES8_S8_S8_S8_S8_S8_S8_EEEEZZNS1_27merge_sort_block_merge_implIS3_NS6_6detail15normal_iteratorINS6_10device_ptrIjEEEENSD_INSE_IS9_EEEEjNS1_19radix_merge_compareILb0ELb0EjNS0_19identity_decomposerEEEEE10hipError_tT0_T1_T2_jT3_P12ihipStream_tbPNSt15iterator_traitsISN_E10value_typeEPNST_ISO_E10value_typeEPSP_NS1_7vsmem_tEENKUlT_SN_SO_SP_E_clISG_PjSI_PS9_EESM_S12_SN_SO_SP_EUlS12_E0_NS1_11comp_targetILNS1_3genE9ELNS1_11target_archE1100ELNS1_3gpuE3ELNS1_3repE0EEENS1_38merge_mergepath_config_static_selectorELNS0_4arch9wavefront6targetE0EEEvSO_,comdat
.Lfunc_end63:
	.size	_ZN7rocprim17ROCPRIM_400000_NS6detail17trampoline_kernelINS0_14default_configENS1_38merge_sort_block_merge_config_selectorIjN6thrust23THRUST_200600_302600_NS5tupleIffNS6_9null_typeES8_S8_S8_S8_S8_S8_S8_EEEEZZNS1_27merge_sort_block_merge_implIS3_NS6_6detail15normal_iteratorINS6_10device_ptrIjEEEENSD_INSE_IS9_EEEEjNS1_19radix_merge_compareILb0ELb0EjNS0_19identity_decomposerEEEEE10hipError_tT0_T1_T2_jT3_P12ihipStream_tbPNSt15iterator_traitsISN_E10value_typeEPNST_ISO_E10value_typeEPSP_NS1_7vsmem_tEENKUlT_SN_SO_SP_E_clISG_PjSI_PS9_EESM_S12_SN_SO_SP_EUlS12_E0_NS1_11comp_targetILNS1_3genE9ELNS1_11target_archE1100ELNS1_3gpuE3ELNS1_3repE0EEENS1_38merge_mergepath_config_static_selectorELNS0_4arch9wavefront6targetE0EEEvSO_, .Lfunc_end63-_ZN7rocprim17ROCPRIM_400000_NS6detail17trampoline_kernelINS0_14default_configENS1_38merge_sort_block_merge_config_selectorIjN6thrust23THRUST_200600_302600_NS5tupleIffNS6_9null_typeES8_S8_S8_S8_S8_S8_S8_EEEEZZNS1_27merge_sort_block_merge_implIS3_NS6_6detail15normal_iteratorINS6_10device_ptrIjEEEENSD_INSE_IS9_EEEEjNS1_19radix_merge_compareILb0ELb0EjNS0_19identity_decomposerEEEEE10hipError_tT0_T1_T2_jT3_P12ihipStream_tbPNSt15iterator_traitsISN_E10value_typeEPNST_ISO_E10value_typeEPSP_NS1_7vsmem_tEENKUlT_SN_SO_SP_E_clISG_PjSI_PS9_EESM_S12_SN_SO_SP_EUlS12_E0_NS1_11comp_targetILNS1_3genE9ELNS1_11target_archE1100ELNS1_3gpuE3ELNS1_3repE0EEENS1_38merge_mergepath_config_static_selectorELNS0_4arch9wavefront6targetE0EEEvSO_
                                        ; -- End function
	.set _ZN7rocprim17ROCPRIM_400000_NS6detail17trampoline_kernelINS0_14default_configENS1_38merge_sort_block_merge_config_selectorIjN6thrust23THRUST_200600_302600_NS5tupleIffNS6_9null_typeES8_S8_S8_S8_S8_S8_S8_EEEEZZNS1_27merge_sort_block_merge_implIS3_NS6_6detail15normal_iteratorINS6_10device_ptrIjEEEENSD_INSE_IS9_EEEEjNS1_19radix_merge_compareILb0ELb0EjNS0_19identity_decomposerEEEEE10hipError_tT0_T1_T2_jT3_P12ihipStream_tbPNSt15iterator_traitsISN_E10value_typeEPNST_ISO_E10value_typeEPSP_NS1_7vsmem_tEENKUlT_SN_SO_SP_E_clISG_PjSI_PS9_EESM_S12_SN_SO_SP_EUlS12_E0_NS1_11comp_targetILNS1_3genE9ELNS1_11target_archE1100ELNS1_3gpuE3ELNS1_3repE0EEENS1_38merge_mergepath_config_static_selectorELNS0_4arch9wavefront6targetE0EEEvSO_.num_vgpr, 0
	.set _ZN7rocprim17ROCPRIM_400000_NS6detail17trampoline_kernelINS0_14default_configENS1_38merge_sort_block_merge_config_selectorIjN6thrust23THRUST_200600_302600_NS5tupleIffNS6_9null_typeES8_S8_S8_S8_S8_S8_S8_EEEEZZNS1_27merge_sort_block_merge_implIS3_NS6_6detail15normal_iteratorINS6_10device_ptrIjEEEENSD_INSE_IS9_EEEEjNS1_19radix_merge_compareILb0ELb0EjNS0_19identity_decomposerEEEEE10hipError_tT0_T1_T2_jT3_P12ihipStream_tbPNSt15iterator_traitsISN_E10value_typeEPNST_ISO_E10value_typeEPSP_NS1_7vsmem_tEENKUlT_SN_SO_SP_E_clISG_PjSI_PS9_EESM_S12_SN_SO_SP_EUlS12_E0_NS1_11comp_targetILNS1_3genE9ELNS1_11target_archE1100ELNS1_3gpuE3ELNS1_3repE0EEENS1_38merge_mergepath_config_static_selectorELNS0_4arch9wavefront6targetE0EEEvSO_.num_agpr, 0
	.set _ZN7rocprim17ROCPRIM_400000_NS6detail17trampoline_kernelINS0_14default_configENS1_38merge_sort_block_merge_config_selectorIjN6thrust23THRUST_200600_302600_NS5tupleIffNS6_9null_typeES8_S8_S8_S8_S8_S8_S8_EEEEZZNS1_27merge_sort_block_merge_implIS3_NS6_6detail15normal_iteratorINS6_10device_ptrIjEEEENSD_INSE_IS9_EEEEjNS1_19radix_merge_compareILb0ELb0EjNS0_19identity_decomposerEEEEE10hipError_tT0_T1_T2_jT3_P12ihipStream_tbPNSt15iterator_traitsISN_E10value_typeEPNST_ISO_E10value_typeEPSP_NS1_7vsmem_tEENKUlT_SN_SO_SP_E_clISG_PjSI_PS9_EESM_S12_SN_SO_SP_EUlS12_E0_NS1_11comp_targetILNS1_3genE9ELNS1_11target_archE1100ELNS1_3gpuE3ELNS1_3repE0EEENS1_38merge_mergepath_config_static_selectorELNS0_4arch9wavefront6targetE0EEEvSO_.numbered_sgpr, 0
	.set _ZN7rocprim17ROCPRIM_400000_NS6detail17trampoline_kernelINS0_14default_configENS1_38merge_sort_block_merge_config_selectorIjN6thrust23THRUST_200600_302600_NS5tupleIffNS6_9null_typeES8_S8_S8_S8_S8_S8_S8_EEEEZZNS1_27merge_sort_block_merge_implIS3_NS6_6detail15normal_iteratorINS6_10device_ptrIjEEEENSD_INSE_IS9_EEEEjNS1_19radix_merge_compareILb0ELb0EjNS0_19identity_decomposerEEEEE10hipError_tT0_T1_T2_jT3_P12ihipStream_tbPNSt15iterator_traitsISN_E10value_typeEPNST_ISO_E10value_typeEPSP_NS1_7vsmem_tEENKUlT_SN_SO_SP_E_clISG_PjSI_PS9_EESM_S12_SN_SO_SP_EUlS12_E0_NS1_11comp_targetILNS1_3genE9ELNS1_11target_archE1100ELNS1_3gpuE3ELNS1_3repE0EEENS1_38merge_mergepath_config_static_selectorELNS0_4arch9wavefront6targetE0EEEvSO_.num_named_barrier, 0
	.set _ZN7rocprim17ROCPRIM_400000_NS6detail17trampoline_kernelINS0_14default_configENS1_38merge_sort_block_merge_config_selectorIjN6thrust23THRUST_200600_302600_NS5tupleIffNS6_9null_typeES8_S8_S8_S8_S8_S8_S8_EEEEZZNS1_27merge_sort_block_merge_implIS3_NS6_6detail15normal_iteratorINS6_10device_ptrIjEEEENSD_INSE_IS9_EEEEjNS1_19radix_merge_compareILb0ELb0EjNS0_19identity_decomposerEEEEE10hipError_tT0_T1_T2_jT3_P12ihipStream_tbPNSt15iterator_traitsISN_E10value_typeEPNST_ISO_E10value_typeEPSP_NS1_7vsmem_tEENKUlT_SN_SO_SP_E_clISG_PjSI_PS9_EESM_S12_SN_SO_SP_EUlS12_E0_NS1_11comp_targetILNS1_3genE9ELNS1_11target_archE1100ELNS1_3gpuE3ELNS1_3repE0EEENS1_38merge_mergepath_config_static_selectorELNS0_4arch9wavefront6targetE0EEEvSO_.private_seg_size, 0
	.set _ZN7rocprim17ROCPRIM_400000_NS6detail17trampoline_kernelINS0_14default_configENS1_38merge_sort_block_merge_config_selectorIjN6thrust23THRUST_200600_302600_NS5tupleIffNS6_9null_typeES8_S8_S8_S8_S8_S8_S8_EEEEZZNS1_27merge_sort_block_merge_implIS3_NS6_6detail15normal_iteratorINS6_10device_ptrIjEEEENSD_INSE_IS9_EEEEjNS1_19radix_merge_compareILb0ELb0EjNS0_19identity_decomposerEEEEE10hipError_tT0_T1_T2_jT3_P12ihipStream_tbPNSt15iterator_traitsISN_E10value_typeEPNST_ISO_E10value_typeEPSP_NS1_7vsmem_tEENKUlT_SN_SO_SP_E_clISG_PjSI_PS9_EESM_S12_SN_SO_SP_EUlS12_E0_NS1_11comp_targetILNS1_3genE9ELNS1_11target_archE1100ELNS1_3gpuE3ELNS1_3repE0EEENS1_38merge_mergepath_config_static_selectorELNS0_4arch9wavefront6targetE0EEEvSO_.uses_vcc, 0
	.set _ZN7rocprim17ROCPRIM_400000_NS6detail17trampoline_kernelINS0_14default_configENS1_38merge_sort_block_merge_config_selectorIjN6thrust23THRUST_200600_302600_NS5tupleIffNS6_9null_typeES8_S8_S8_S8_S8_S8_S8_EEEEZZNS1_27merge_sort_block_merge_implIS3_NS6_6detail15normal_iteratorINS6_10device_ptrIjEEEENSD_INSE_IS9_EEEEjNS1_19radix_merge_compareILb0ELb0EjNS0_19identity_decomposerEEEEE10hipError_tT0_T1_T2_jT3_P12ihipStream_tbPNSt15iterator_traitsISN_E10value_typeEPNST_ISO_E10value_typeEPSP_NS1_7vsmem_tEENKUlT_SN_SO_SP_E_clISG_PjSI_PS9_EESM_S12_SN_SO_SP_EUlS12_E0_NS1_11comp_targetILNS1_3genE9ELNS1_11target_archE1100ELNS1_3gpuE3ELNS1_3repE0EEENS1_38merge_mergepath_config_static_selectorELNS0_4arch9wavefront6targetE0EEEvSO_.uses_flat_scratch, 0
	.set _ZN7rocprim17ROCPRIM_400000_NS6detail17trampoline_kernelINS0_14default_configENS1_38merge_sort_block_merge_config_selectorIjN6thrust23THRUST_200600_302600_NS5tupleIffNS6_9null_typeES8_S8_S8_S8_S8_S8_S8_EEEEZZNS1_27merge_sort_block_merge_implIS3_NS6_6detail15normal_iteratorINS6_10device_ptrIjEEEENSD_INSE_IS9_EEEEjNS1_19radix_merge_compareILb0ELb0EjNS0_19identity_decomposerEEEEE10hipError_tT0_T1_T2_jT3_P12ihipStream_tbPNSt15iterator_traitsISN_E10value_typeEPNST_ISO_E10value_typeEPSP_NS1_7vsmem_tEENKUlT_SN_SO_SP_E_clISG_PjSI_PS9_EESM_S12_SN_SO_SP_EUlS12_E0_NS1_11comp_targetILNS1_3genE9ELNS1_11target_archE1100ELNS1_3gpuE3ELNS1_3repE0EEENS1_38merge_mergepath_config_static_selectorELNS0_4arch9wavefront6targetE0EEEvSO_.has_dyn_sized_stack, 0
	.set _ZN7rocprim17ROCPRIM_400000_NS6detail17trampoline_kernelINS0_14default_configENS1_38merge_sort_block_merge_config_selectorIjN6thrust23THRUST_200600_302600_NS5tupleIffNS6_9null_typeES8_S8_S8_S8_S8_S8_S8_EEEEZZNS1_27merge_sort_block_merge_implIS3_NS6_6detail15normal_iteratorINS6_10device_ptrIjEEEENSD_INSE_IS9_EEEEjNS1_19radix_merge_compareILb0ELb0EjNS0_19identity_decomposerEEEEE10hipError_tT0_T1_T2_jT3_P12ihipStream_tbPNSt15iterator_traitsISN_E10value_typeEPNST_ISO_E10value_typeEPSP_NS1_7vsmem_tEENKUlT_SN_SO_SP_E_clISG_PjSI_PS9_EESM_S12_SN_SO_SP_EUlS12_E0_NS1_11comp_targetILNS1_3genE9ELNS1_11target_archE1100ELNS1_3gpuE3ELNS1_3repE0EEENS1_38merge_mergepath_config_static_selectorELNS0_4arch9wavefront6targetE0EEEvSO_.has_recursion, 0
	.set _ZN7rocprim17ROCPRIM_400000_NS6detail17trampoline_kernelINS0_14default_configENS1_38merge_sort_block_merge_config_selectorIjN6thrust23THRUST_200600_302600_NS5tupleIffNS6_9null_typeES8_S8_S8_S8_S8_S8_S8_EEEEZZNS1_27merge_sort_block_merge_implIS3_NS6_6detail15normal_iteratorINS6_10device_ptrIjEEEENSD_INSE_IS9_EEEEjNS1_19radix_merge_compareILb0ELb0EjNS0_19identity_decomposerEEEEE10hipError_tT0_T1_T2_jT3_P12ihipStream_tbPNSt15iterator_traitsISN_E10value_typeEPNST_ISO_E10value_typeEPSP_NS1_7vsmem_tEENKUlT_SN_SO_SP_E_clISG_PjSI_PS9_EESM_S12_SN_SO_SP_EUlS12_E0_NS1_11comp_targetILNS1_3genE9ELNS1_11target_archE1100ELNS1_3gpuE3ELNS1_3repE0EEENS1_38merge_mergepath_config_static_selectorELNS0_4arch9wavefront6targetE0EEEvSO_.has_indirect_call, 0
	.section	.AMDGPU.csdata,"",@progbits
; Kernel info:
; codeLenInByte = 0
; TotalNumSgprs: 0
; NumVgprs: 0
; ScratchSize: 0
; MemoryBound: 0
; FloatMode: 240
; IeeeMode: 1
; LDSByteSize: 0 bytes/workgroup (compile time only)
; SGPRBlocks: 0
; VGPRBlocks: 0
; NumSGPRsForWavesPerEU: 1
; NumVGPRsForWavesPerEU: 1
; NamedBarCnt: 0
; Occupancy: 16
; WaveLimiterHint : 0
; COMPUTE_PGM_RSRC2:SCRATCH_EN: 0
; COMPUTE_PGM_RSRC2:USER_SGPR: 2
; COMPUTE_PGM_RSRC2:TRAP_HANDLER: 0
; COMPUTE_PGM_RSRC2:TGID_X_EN: 1
; COMPUTE_PGM_RSRC2:TGID_Y_EN: 0
; COMPUTE_PGM_RSRC2:TGID_Z_EN: 0
; COMPUTE_PGM_RSRC2:TIDIG_COMP_CNT: 0
	.section	.text._ZN7rocprim17ROCPRIM_400000_NS6detail17trampoline_kernelINS0_14default_configENS1_38merge_sort_block_merge_config_selectorIjN6thrust23THRUST_200600_302600_NS5tupleIffNS6_9null_typeES8_S8_S8_S8_S8_S8_S8_EEEEZZNS1_27merge_sort_block_merge_implIS3_NS6_6detail15normal_iteratorINS6_10device_ptrIjEEEENSD_INSE_IS9_EEEEjNS1_19radix_merge_compareILb0ELb0EjNS0_19identity_decomposerEEEEE10hipError_tT0_T1_T2_jT3_P12ihipStream_tbPNSt15iterator_traitsISN_E10value_typeEPNST_ISO_E10value_typeEPSP_NS1_7vsmem_tEENKUlT_SN_SO_SP_E_clISG_PjSI_PS9_EESM_S12_SN_SO_SP_EUlS12_E0_NS1_11comp_targetILNS1_3genE8ELNS1_11target_archE1030ELNS1_3gpuE2ELNS1_3repE0EEENS1_38merge_mergepath_config_static_selectorELNS0_4arch9wavefront6targetE0EEEvSO_,"axG",@progbits,_ZN7rocprim17ROCPRIM_400000_NS6detail17trampoline_kernelINS0_14default_configENS1_38merge_sort_block_merge_config_selectorIjN6thrust23THRUST_200600_302600_NS5tupleIffNS6_9null_typeES8_S8_S8_S8_S8_S8_S8_EEEEZZNS1_27merge_sort_block_merge_implIS3_NS6_6detail15normal_iteratorINS6_10device_ptrIjEEEENSD_INSE_IS9_EEEEjNS1_19radix_merge_compareILb0ELb0EjNS0_19identity_decomposerEEEEE10hipError_tT0_T1_T2_jT3_P12ihipStream_tbPNSt15iterator_traitsISN_E10value_typeEPNST_ISO_E10value_typeEPSP_NS1_7vsmem_tEENKUlT_SN_SO_SP_E_clISG_PjSI_PS9_EESM_S12_SN_SO_SP_EUlS12_E0_NS1_11comp_targetILNS1_3genE8ELNS1_11target_archE1030ELNS1_3gpuE2ELNS1_3repE0EEENS1_38merge_mergepath_config_static_selectorELNS0_4arch9wavefront6targetE0EEEvSO_,comdat
	.protected	_ZN7rocprim17ROCPRIM_400000_NS6detail17trampoline_kernelINS0_14default_configENS1_38merge_sort_block_merge_config_selectorIjN6thrust23THRUST_200600_302600_NS5tupleIffNS6_9null_typeES8_S8_S8_S8_S8_S8_S8_EEEEZZNS1_27merge_sort_block_merge_implIS3_NS6_6detail15normal_iteratorINS6_10device_ptrIjEEEENSD_INSE_IS9_EEEEjNS1_19radix_merge_compareILb0ELb0EjNS0_19identity_decomposerEEEEE10hipError_tT0_T1_T2_jT3_P12ihipStream_tbPNSt15iterator_traitsISN_E10value_typeEPNST_ISO_E10value_typeEPSP_NS1_7vsmem_tEENKUlT_SN_SO_SP_E_clISG_PjSI_PS9_EESM_S12_SN_SO_SP_EUlS12_E0_NS1_11comp_targetILNS1_3genE8ELNS1_11target_archE1030ELNS1_3gpuE2ELNS1_3repE0EEENS1_38merge_mergepath_config_static_selectorELNS0_4arch9wavefront6targetE0EEEvSO_ ; -- Begin function _ZN7rocprim17ROCPRIM_400000_NS6detail17trampoline_kernelINS0_14default_configENS1_38merge_sort_block_merge_config_selectorIjN6thrust23THRUST_200600_302600_NS5tupleIffNS6_9null_typeES8_S8_S8_S8_S8_S8_S8_EEEEZZNS1_27merge_sort_block_merge_implIS3_NS6_6detail15normal_iteratorINS6_10device_ptrIjEEEENSD_INSE_IS9_EEEEjNS1_19radix_merge_compareILb0ELb0EjNS0_19identity_decomposerEEEEE10hipError_tT0_T1_T2_jT3_P12ihipStream_tbPNSt15iterator_traitsISN_E10value_typeEPNST_ISO_E10value_typeEPSP_NS1_7vsmem_tEENKUlT_SN_SO_SP_E_clISG_PjSI_PS9_EESM_S12_SN_SO_SP_EUlS12_E0_NS1_11comp_targetILNS1_3genE8ELNS1_11target_archE1030ELNS1_3gpuE2ELNS1_3repE0EEENS1_38merge_mergepath_config_static_selectorELNS0_4arch9wavefront6targetE0EEEvSO_
	.globl	_ZN7rocprim17ROCPRIM_400000_NS6detail17trampoline_kernelINS0_14default_configENS1_38merge_sort_block_merge_config_selectorIjN6thrust23THRUST_200600_302600_NS5tupleIffNS6_9null_typeES8_S8_S8_S8_S8_S8_S8_EEEEZZNS1_27merge_sort_block_merge_implIS3_NS6_6detail15normal_iteratorINS6_10device_ptrIjEEEENSD_INSE_IS9_EEEEjNS1_19radix_merge_compareILb0ELb0EjNS0_19identity_decomposerEEEEE10hipError_tT0_T1_T2_jT3_P12ihipStream_tbPNSt15iterator_traitsISN_E10value_typeEPNST_ISO_E10value_typeEPSP_NS1_7vsmem_tEENKUlT_SN_SO_SP_E_clISG_PjSI_PS9_EESM_S12_SN_SO_SP_EUlS12_E0_NS1_11comp_targetILNS1_3genE8ELNS1_11target_archE1030ELNS1_3gpuE2ELNS1_3repE0EEENS1_38merge_mergepath_config_static_selectorELNS0_4arch9wavefront6targetE0EEEvSO_
	.p2align	8
	.type	_ZN7rocprim17ROCPRIM_400000_NS6detail17trampoline_kernelINS0_14default_configENS1_38merge_sort_block_merge_config_selectorIjN6thrust23THRUST_200600_302600_NS5tupleIffNS6_9null_typeES8_S8_S8_S8_S8_S8_S8_EEEEZZNS1_27merge_sort_block_merge_implIS3_NS6_6detail15normal_iteratorINS6_10device_ptrIjEEEENSD_INSE_IS9_EEEEjNS1_19radix_merge_compareILb0ELb0EjNS0_19identity_decomposerEEEEE10hipError_tT0_T1_T2_jT3_P12ihipStream_tbPNSt15iterator_traitsISN_E10value_typeEPNST_ISO_E10value_typeEPSP_NS1_7vsmem_tEENKUlT_SN_SO_SP_E_clISG_PjSI_PS9_EESM_S12_SN_SO_SP_EUlS12_E0_NS1_11comp_targetILNS1_3genE8ELNS1_11target_archE1030ELNS1_3gpuE2ELNS1_3repE0EEENS1_38merge_mergepath_config_static_selectorELNS0_4arch9wavefront6targetE0EEEvSO_,@function
_ZN7rocprim17ROCPRIM_400000_NS6detail17trampoline_kernelINS0_14default_configENS1_38merge_sort_block_merge_config_selectorIjN6thrust23THRUST_200600_302600_NS5tupleIffNS6_9null_typeES8_S8_S8_S8_S8_S8_S8_EEEEZZNS1_27merge_sort_block_merge_implIS3_NS6_6detail15normal_iteratorINS6_10device_ptrIjEEEENSD_INSE_IS9_EEEEjNS1_19radix_merge_compareILb0ELb0EjNS0_19identity_decomposerEEEEE10hipError_tT0_T1_T2_jT3_P12ihipStream_tbPNSt15iterator_traitsISN_E10value_typeEPNST_ISO_E10value_typeEPSP_NS1_7vsmem_tEENKUlT_SN_SO_SP_E_clISG_PjSI_PS9_EESM_S12_SN_SO_SP_EUlS12_E0_NS1_11comp_targetILNS1_3genE8ELNS1_11target_archE1030ELNS1_3gpuE2ELNS1_3repE0EEENS1_38merge_mergepath_config_static_selectorELNS0_4arch9wavefront6targetE0EEEvSO_: ; @_ZN7rocprim17ROCPRIM_400000_NS6detail17trampoline_kernelINS0_14default_configENS1_38merge_sort_block_merge_config_selectorIjN6thrust23THRUST_200600_302600_NS5tupleIffNS6_9null_typeES8_S8_S8_S8_S8_S8_S8_EEEEZZNS1_27merge_sort_block_merge_implIS3_NS6_6detail15normal_iteratorINS6_10device_ptrIjEEEENSD_INSE_IS9_EEEEjNS1_19radix_merge_compareILb0ELb0EjNS0_19identity_decomposerEEEEE10hipError_tT0_T1_T2_jT3_P12ihipStream_tbPNSt15iterator_traitsISN_E10value_typeEPNST_ISO_E10value_typeEPSP_NS1_7vsmem_tEENKUlT_SN_SO_SP_E_clISG_PjSI_PS9_EESM_S12_SN_SO_SP_EUlS12_E0_NS1_11comp_targetILNS1_3genE8ELNS1_11target_archE1030ELNS1_3gpuE2ELNS1_3repE0EEENS1_38merge_mergepath_config_static_selectorELNS0_4arch9wavefront6targetE0EEEvSO_
; %bb.0:
	.section	.rodata,"a",@progbits
	.p2align	6, 0x0
	.amdhsa_kernel _ZN7rocprim17ROCPRIM_400000_NS6detail17trampoline_kernelINS0_14default_configENS1_38merge_sort_block_merge_config_selectorIjN6thrust23THRUST_200600_302600_NS5tupleIffNS6_9null_typeES8_S8_S8_S8_S8_S8_S8_EEEEZZNS1_27merge_sort_block_merge_implIS3_NS6_6detail15normal_iteratorINS6_10device_ptrIjEEEENSD_INSE_IS9_EEEEjNS1_19radix_merge_compareILb0ELb0EjNS0_19identity_decomposerEEEEE10hipError_tT0_T1_T2_jT3_P12ihipStream_tbPNSt15iterator_traitsISN_E10value_typeEPNST_ISO_E10value_typeEPSP_NS1_7vsmem_tEENKUlT_SN_SO_SP_E_clISG_PjSI_PS9_EESM_S12_SN_SO_SP_EUlS12_E0_NS1_11comp_targetILNS1_3genE8ELNS1_11target_archE1030ELNS1_3gpuE2ELNS1_3repE0EEENS1_38merge_mergepath_config_static_selectorELNS0_4arch9wavefront6targetE0EEEvSO_
		.amdhsa_group_segment_fixed_size 0
		.amdhsa_private_segment_fixed_size 0
		.amdhsa_kernarg_size 64
		.amdhsa_user_sgpr_count 2
		.amdhsa_user_sgpr_dispatch_ptr 0
		.amdhsa_user_sgpr_queue_ptr 0
		.amdhsa_user_sgpr_kernarg_segment_ptr 1
		.amdhsa_user_sgpr_dispatch_id 0
		.amdhsa_user_sgpr_kernarg_preload_length 0
		.amdhsa_user_sgpr_kernarg_preload_offset 0
		.amdhsa_user_sgpr_private_segment_size 0
		.amdhsa_wavefront_size32 1
		.amdhsa_uses_dynamic_stack 0
		.amdhsa_enable_private_segment 0
		.amdhsa_system_sgpr_workgroup_id_x 1
		.amdhsa_system_sgpr_workgroup_id_y 0
		.amdhsa_system_sgpr_workgroup_id_z 0
		.amdhsa_system_sgpr_workgroup_info 0
		.amdhsa_system_vgpr_workitem_id 0
		.amdhsa_next_free_vgpr 1
		.amdhsa_next_free_sgpr 1
		.amdhsa_named_barrier_count 0
		.amdhsa_reserve_vcc 0
		.amdhsa_float_round_mode_32 0
		.amdhsa_float_round_mode_16_64 0
		.amdhsa_float_denorm_mode_32 3
		.amdhsa_float_denorm_mode_16_64 3
		.amdhsa_fp16_overflow 0
		.amdhsa_memory_ordered 1
		.amdhsa_forward_progress 1
		.amdhsa_inst_pref_size 0
		.amdhsa_round_robin_scheduling 0
		.amdhsa_exception_fp_ieee_invalid_op 0
		.amdhsa_exception_fp_denorm_src 0
		.amdhsa_exception_fp_ieee_div_zero 0
		.amdhsa_exception_fp_ieee_overflow 0
		.amdhsa_exception_fp_ieee_underflow 0
		.amdhsa_exception_fp_ieee_inexact 0
		.amdhsa_exception_int_div_zero 0
	.end_amdhsa_kernel
	.section	.text._ZN7rocprim17ROCPRIM_400000_NS6detail17trampoline_kernelINS0_14default_configENS1_38merge_sort_block_merge_config_selectorIjN6thrust23THRUST_200600_302600_NS5tupleIffNS6_9null_typeES8_S8_S8_S8_S8_S8_S8_EEEEZZNS1_27merge_sort_block_merge_implIS3_NS6_6detail15normal_iteratorINS6_10device_ptrIjEEEENSD_INSE_IS9_EEEEjNS1_19radix_merge_compareILb0ELb0EjNS0_19identity_decomposerEEEEE10hipError_tT0_T1_T2_jT3_P12ihipStream_tbPNSt15iterator_traitsISN_E10value_typeEPNST_ISO_E10value_typeEPSP_NS1_7vsmem_tEENKUlT_SN_SO_SP_E_clISG_PjSI_PS9_EESM_S12_SN_SO_SP_EUlS12_E0_NS1_11comp_targetILNS1_3genE8ELNS1_11target_archE1030ELNS1_3gpuE2ELNS1_3repE0EEENS1_38merge_mergepath_config_static_selectorELNS0_4arch9wavefront6targetE0EEEvSO_,"axG",@progbits,_ZN7rocprim17ROCPRIM_400000_NS6detail17trampoline_kernelINS0_14default_configENS1_38merge_sort_block_merge_config_selectorIjN6thrust23THRUST_200600_302600_NS5tupleIffNS6_9null_typeES8_S8_S8_S8_S8_S8_S8_EEEEZZNS1_27merge_sort_block_merge_implIS3_NS6_6detail15normal_iteratorINS6_10device_ptrIjEEEENSD_INSE_IS9_EEEEjNS1_19radix_merge_compareILb0ELb0EjNS0_19identity_decomposerEEEEE10hipError_tT0_T1_T2_jT3_P12ihipStream_tbPNSt15iterator_traitsISN_E10value_typeEPNST_ISO_E10value_typeEPSP_NS1_7vsmem_tEENKUlT_SN_SO_SP_E_clISG_PjSI_PS9_EESM_S12_SN_SO_SP_EUlS12_E0_NS1_11comp_targetILNS1_3genE8ELNS1_11target_archE1030ELNS1_3gpuE2ELNS1_3repE0EEENS1_38merge_mergepath_config_static_selectorELNS0_4arch9wavefront6targetE0EEEvSO_,comdat
.Lfunc_end64:
	.size	_ZN7rocprim17ROCPRIM_400000_NS6detail17trampoline_kernelINS0_14default_configENS1_38merge_sort_block_merge_config_selectorIjN6thrust23THRUST_200600_302600_NS5tupleIffNS6_9null_typeES8_S8_S8_S8_S8_S8_S8_EEEEZZNS1_27merge_sort_block_merge_implIS3_NS6_6detail15normal_iteratorINS6_10device_ptrIjEEEENSD_INSE_IS9_EEEEjNS1_19radix_merge_compareILb0ELb0EjNS0_19identity_decomposerEEEEE10hipError_tT0_T1_T2_jT3_P12ihipStream_tbPNSt15iterator_traitsISN_E10value_typeEPNST_ISO_E10value_typeEPSP_NS1_7vsmem_tEENKUlT_SN_SO_SP_E_clISG_PjSI_PS9_EESM_S12_SN_SO_SP_EUlS12_E0_NS1_11comp_targetILNS1_3genE8ELNS1_11target_archE1030ELNS1_3gpuE2ELNS1_3repE0EEENS1_38merge_mergepath_config_static_selectorELNS0_4arch9wavefront6targetE0EEEvSO_, .Lfunc_end64-_ZN7rocprim17ROCPRIM_400000_NS6detail17trampoline_kernelINS0_14default_configENS1_38merge_sort_block_merge_config_selectorIjN6thrust23THRUST_200600_302600_NS5tupleIffNS6_9null_typeES8_S8_S8_S8_S8_S8_S8_EEEEZZNS1_27merge_sort_block_merge_implIS3_NS6_6detail15normal_iteratorINS6_10device_ptrIjEEEENSD_INSE_IS9_EEEEjNS1_19radix_merge_compareILb0ELb0EjNS0_19identity_decomposerEEEEE10hipError_tT0_T1_T2_jT3_P12ihipStream_tbPNSt15iterator_traitsISN_E10value_typeEPNST_ISO_E10value_typeEPSP_NS1_7vsmem_tEENKUlT_SN_SO_SP_E_clISG_PjSI_PS9_EESM_S12_SN_SO_SP_EUlS12_E0_NS1_11comp_targetILNS1_3genE8ELNS1_11target_archE1030ELNS1_3gpuE2ELNS1_3repE0EEENS1_38merge_mergepath_config_static_selectorELNS0_4arch9wavefront6targetE0EEEvSO_
                                        ; -- End function
	.set _ZN7rocprim17ROCPRIM_400000_NS6detail17trampoline_kernelINS0_14default_configENS1_38merge_sort_block_merge_config_selectorIjN6thrust23THRUST_200600_302600_NS5tupleIffNS6_9null_typeES8_S8_S8_S8_S8_S8_S8_EEEEZZNS1_27merge_sort_block_merge_implIS3_NS6_6detail15normal_iteratorINS6_10device_ptrIjEEEENSD_INSE_IS9_EEEEjNS1_19radix_merge_compareILb0ELb0EjNS0_19identity_decomposerEEEEE10hipError_tT0_T1_T2_jT3_P12ihipStream_tbPNSt15iterator_traitsISN_E10value_typeEPNST_ISO_E10value_typeEPSP_NS1_7vsmem_tEENKUlT_SN_SO_SP_E_clISG_PjSI_PS9_EESM_S12_SN_SO_SP_EUlS12_E0_NS1_11comp_targetILNS1_3genE8ELNS1_11target_archE1030ELNS1_3gpuE2ELNS1_3repE0EEENS1_38merge_mergepath_config_static_selectorELNS0_4arch9wavefront6targetE0EEEvSO_.num_vgpr, 0
	.set _ZN7rocprim17ROCPRIM_400000_NS6detail17trampoline_kernelINS0_14default_configENS1_38merge_sort_block_merge_config_selectorIjN6thrust23THRUST_200600_302600_NS5tupleIffNS6_9null_typeES8_S8_S8_S8_S8_S8_S8_EEEEZZNS1_27merge_sort_block_merge_implIS3_NS6_6detail15normal_iteratorINS6_10device_ptrIjEEEENSD_INSE_IS9_EEEEjNS1_19radix_merge_compareILb0ELb0EjNS0_19identity_decomposerEEEEE10hipError_tT0_T1_T2_jT3_P12ihipStream_tbPNSt15iterator_traitsISN_E10value_typeEPNST_ISO_E10value_typeEPSP_NS1_7vsmem_tEENKUlT_SN_SO_SP_E_clISG_PjSI_PS9_EESM_S12_SN_SO_SP_EUlS12_E0_NS1_11comp_targetILNS1_3genE8ELNS1_11target_archE1030ELNS1_3gpuE2ELNS1_3repE0EEENS1_38merge_mergepath_config_static_selectorELNS0_4arch9wavefront6targetE0EEEvSO_.num_agpr, 0
	.set _ZN7rocprim17ROCPRIM_400000_NS6detail17trampoline_kernelINS0_14default_configENS1_38merge_sort_block_merge_config_selectorIjN6thrust23THRUST_200600_302600_NS5tupleIffNS6_9null_typeES8_S8_S8_S8_S8_S8_S8_EEEEZZNS1_27merge_sort_block_merge_implIS3_NS6_6detail15normal_iteratorINS6_10device_ptrIjEEEENSD_INSE_IS9_EEEEjNS1_19radix_merge_compareILb0ELb0EjNS0_19identity_decomposerEEEEE10hipError_tT0_T1_T2_jT3_P12ihipStream_tbPNSt15iterator_traitsISN_E10value_typeEPNST_ISO_E10value_typeEPSP_NS1_7vsmem_tEENKUlT_SN_SO_SP_E_clISG_PjSI_PS9_EESM_S12_SN_SO_SP_EUlS12_E0_NS1_11comp_targetILNS1_3genE8ELNS1_11target_archE1030ELNS1_3gpuE2ELNS1_3repE0EEENS1_38merge_mergepath_config_static_selectorELNS0_4arch9wavefront6targetE0EEEvSO_.numbered_sgpr, 0
	.set _ZN7rocprim17ROCPRIM_400000_NS6detail17trampoline_kernelINS0_14default_configENS1_38merge_sort_block_merge_config_selectorIjN6thrust23THRUST_200600_302600_NS5tupleIffNS6_9null_typeES8_S8_S8_S8_S8_S8_S8_EEEEZZNS1_27merge_sort_block_merge_implIS3_NS6_6detail15normal_iteratorINS6_10device_ptrIjEEEENSD_INSE_IS9_EEEEjNS1_19radix_merge_compareILb0ELb0EjNS0_19identity_decomposerEEEEE10hipError_tT0_T1_T2_jT3_P12ihipStream_tbPNSt15iterator_traitsISN_E10value_typeEPNST_ISO_E10value_typeEPSP_NS1_7vsmem_tEENKUlT_SN_SO_SP_E_clISG_PjSI_PS9_EESM_S12_SN_SO_SP_EUlS12_E0_NS1_11comp_targetILNS1_3genE8ELNS1_11target_archE1030ELNS1_3gpuE2ELNS1_3repE0EEENS1_38merge_mergepath_config_static_selectorELNS0_4arch9wavefront6targetE0EEEvSO_.num_named_barrier, 0
	.set _ZN7rocprim17ROCPRIM_400000_NS6detail17trampoline_kernelINS0_14default_configENS1_38merge_sort_block_merge_config_selectorIjN6thrust23THRUST_200600_302600_NS5tupleIffNS6_9null_typeES8_S8_S8_S8_S8_S8_S8_EEEEZZNS1_27merge_sort_block_merge_implIS3_NS6_6detail15normal_iteratorINS6_10device_ptrIjEEEENSD_INSE_IS9_EEEEjNS1_19radix_merge_compareILb0ELb0EjNS0_19identity_decomposerEEEEE10hipError_tT0_T1_T2_jT3_P12ihipStream_tbPNSt15iterator_traitsISN_E10value_typeEPNST_ISO_E10value_typeEPSP_NS1_7vsmem_tEENKUlT_SN_SO_SP_E_clISG_PjSI_PS9_EESM_S12_SN_SO_SP_EUlS12_E0_NS1_11comp_targetILNS1_3genE8ELNS1_11target_archE1030ELNS1_3gpuE2ELNS1_3repE0EEENS1_38merge_mergepath_config_static_selectorELNS0_4arch9wavefront6targetE0EEEvSO_.private_seg_size, 0
	.set _ZN7rocprim17ROCPRIM_400000_NS6detail17trampoline_kernelINS0_14default_configENS1_38merge_sort_block_merge_config_selectorIjN6thrust23THRUST_200600_302600_NS5tupleIffNS6_9null_typeES8_S8_S8_S8_S8_S8_S8_EEEEZZNS1_27merge_sort_block_merge_implIS3_NS6_6detail15normal_iteratorINS6_10device_ptrIjEEEENSD_INSE_IS9_EEEEjNS1_19radix_merge_compareILb0ELb0EjNS0_19identity_decomposerEEEEE10hipError_tT0_T1_T2_jT3_P12ihipStream_tbPNSt15iterator_traitsISN_E10value_typeEPNST_ISO_E10value_typeEPSP_NS1_7vsmem_tEENKUlT_SN_SO_SP_E_clISG_PjSI_PS9_EESM_S12_SN_SO_SP_EUlS12_E0_NS1_11comp_targetILNS1_3genE8ELNS1_11target_archE1030ELNS1_3gpuE2ELNS1_3repE0EEENS1_38merge_mergepath_config_static_selectorELNS0_4arch9wavefront6targetE0EEEvSO_.uses_vcc, 0
	.set _ZN7rocprim17ROCPRIM_400000_NS6detail17trampoline_kernelINS0_14default_configENS1_38merge_sort_block_merge_config_selectorIjN6thrust23THRUST_200600_302600_NS5tupleIffNS6_9null_typeES8_S8_S8_S8_S8_S8_S8_EEEEZZNS1_27merge_sort_block_merge_implIS3_NS6_6detail15normal_iteratorINS6_10device_ptrIjEEEENSD_INSE_IS9_EEEEjNS1_19radix_merge_compareILb0ELb0EjNS0_19identity_decomposerEEEEE10hipError_tT0_T1_T2_jT3_P12ihipStream_tbPNSt15iterator_traitsISN_E10value_typeEPNST_ISO_E10value_typeEPSP_NS1_7vsmem_tEENKUlT_SN_SO_SP_E_clISG_PjSI_PS9_EESM_S12_SN_SO_SP_EUlS12_E0_NS1_11comp_targetILNS1_3genE8ELNS1_11target_archE1030ELNS1_3gpuE2ELNS1_3repE0EEENS1_38merge_mergepath_config_static_selectorELNS0_4arch9wavefront6targetE0EEEvSO_.uses_flat_scratch, 0
	.set _ZN7rocprim17ROCPRIM_400000_NS6detail17trampoline_kernelINS0_14default_configENS1_38merge_sort_block_merge_config_selectorIjN6thrust23THRUST_200600_302600_NS5tupleIffNS6_9null_typeES8_S8_S8_S8_S8_S8_S8_EEEEZZNS1_27merge_sort_block_merge_implIS3_NS6_6detail15normal_iteratorINS6_10device_ptrIjEEEENSD_INSE_IS9_EEEEjNS1_19radix_merge_compareILb0ELb0EjNS0_19identity_decomposerEEEEE10hipError_tT0_T1_T2_jT3_P12ihipStream_tbPNSt15iterator_traitsISN_E10value_typeEPNST_ISO_E10value_typeEPSP_NS1_7vsmem_tEENKUlT_SN_SO_SP_E_clISG_PjSI_PS9_EESM_S12_SN_SO_SP_EUlS12_E0_NS1_11comp_targetILNS1_3genE8ELNS1_11target_archE1030ELNS1_3gpuE2ELNS1_3repE0EEENS1_38merge_mergepath_config_static_selectorELNS0_4arch9wavefront6targetE0EEEvSO_.has_dyn_sized_stack, 0
	.set _ZN7rocprim17ROCPRIM_400000_NS6detail17trampoline_kernelINS0_14default_configENS1_38merge_sort_block_merge_config_selectorIjN6thrust23THRUST_200600_302600_NS5tupleIffNS6_9null_typeES8_S8_S8_S8_S8_S8_S8_EEEEZZNS1_27merge_sort_block_merge_implIS3_NS6_6detail15normal_iteratorINS6_10device_ptrIjEEEENSD_INSE_IS9_EEEEjNS1_19radix_merge_compareILb0ELb0EjNS0_19identity_decomposerEEEEE10hipError_tT0_T1_T2_jT3_P12ihipStream_tbPNSt15iterator_traitsISN_E10value_typeEPNST_ISO_E10value_typeEPSP_NS1_7vsmem_tEENKUlT_SN_SO_SP_E_clISG_PjSI_PS9_EESM_S12_SN_SO_SP_EUlS12_E0_NS1_11comp_targetILNS1_3genE8ELNS1_11target_archE1030ELNS1_3gpuE2ELNS1_3repE0EEENS1_38merge_mergepath_config_static_selectorELNS0_4arch9wavefront6targetE0EEEvSO_.has_recursion, 0
	.set _ZN7rocprim17ROCPRIM_400000_NS6detail17trampoline_kernelINS0_14default_configENS1_38merge_sort_block_merge_config_selectorIjN6thrust23THRUST_200600_302600_NS5tupleIffNS6_9null_typeES8_S8_S8_S8_S8_S8_S8_EEEEZZNS1_27merge_sort_block_merge_implIS3_NS6_6detail15normal_iteratorINS6_10device_ptrIjEEEENSD_INSE_IS9_EEEEjNS1_19radix_merge_compareILb0ELb0EjNS0_19identity_decomposerEEEEE10hipError_tT0_T1_T2_jT3_P12ihipStream_tbPNSt15iterator_traitsISN_E10value_typeEPNST_ISO_E10value_typeEPSP_NS1_7vsmem_tEENKUlT_SN_SO_SP_E_clISG_PjSI_PS9_EESM_S12_SN_SO_SP_EUlS12_E0_NS1_11comp_targetILNS1_3genE8ELNS1_11target_archE1030ELNS1_3gpuE2ELNS1_3repE0EEENS1_38merge_mergepath_config_static_selectorELNS0_4arch9wavefront6targetE0EEEvSO_.has_indirect_call, 0
	.section	.AMDGPU.csdata,"",@progbits
; Kernel info:
; codeLenInByte = 0
; TotalNumSgprs: 0
; NumVgprs: 0
; ScratchSize: 0
; MemoryBound: 0
; FloatMode: 240
; IeeeMode: 1
; LDSByteSize: 0 bytes/workgroup (compile time only)
; SGPRBlocks: 0
; VGPRBlocks: 0
; NumSGPRsForWavesPerEU: 1
; NumVGPRsForWavesPerEU: 1
; NamedBarCnt: 0
; Occupancy: 16
; WaveLimiterHint : 0
; COMPUTE_PGM_RSRC2:SCRATCH_EN: 0
; COMPUTE_PGM_RSRC2:USER_SGPR: 2
; COMPUTE_PGM_RSRC2:TRAP_HANDLER: 0
; COMPUTE_PGM_RSRC2:TGID_X_EN: 1
; COMPUTE_PGM_RSRC2:TGID_Y_EN: 0
; COMPUTE_PGM_RSRC2:TGID_Z_EN: 0
; COMPUTE_PGM_RSRC2:TIDIG_COMP_CNT: 0
	.section	.text._ZN7rocprim17ROCPRIM_400000_NS6detail17trampoline_kernelINS0_14default_configENS1_38merge_sort_block_merge_config_selectorIjN6thrust23THRUST_200600_302600_NS5tupleIffNS6_9null_typeES8_S8_S8_S8_S8_S8_S8_EEEEZZNS1_27merge_sort_block_merge_implIS3_NS6_6detail15normal_iteratorINS6_10device_ptrIjEEEENSD_INSE_IS9_EEEEjNS1_19radix_merge_compareILb0ELb0EjNS0_19identity_decomposerEEEEE10hipError_tT0_T1_T2_jT3_P12ihipStream_tbPNSt15iterator_traitsISN_E10value_typeEPNST_ISO_E10value_typeEPSP_NS1_7vsmem_tEENKUlT_SN_SO_SP_E_clISG_PjSI_PS9_EESM_S12_SN_SO_SP_EUlS12_E1_NS1_11comp_targetILNS1_3genE0ELNS1_11target_archE4294967295ELNS1_3gpuE0ELNS1_3repE0EEENS1_36merge_oddeven_config_static_selectorELNS0_4arch9wavefront6targetE0EEEvSO_,"axG",@progbits,_ZN7rocprim17ROCPRIM_400000_NS6detail17trampoline_kernelINS0_14default_configENS1_38merge_sort_block_merge_config_selectorIjN6thrust23THRUST_200600_302600_NS5tupleIffNS6_9null_typeES8_S8_S8_S8_S8_S8_S8_EEEEZZNS1_27merge_sort_block_merge_implIS3_NS6_6detail15normal_iteratorINS6_10device_ptrIjEEEENSD_INSE_IS9_EEEEjNS1_19radix_merge_compareILb0ELb0EjNS0_19identity_decomposerEEEEE10hipError_tT0_T1_T2_jT3_P12ihipStream_tbPNSt15iterator_traitsISN_E10value_typeEPNST_ISO_E10value_typeEPSP_NS1_7vsmem_tEENKUlT_SN_SO_SP_E_clISG_PjSI_PS9_EESM_S12_SN_SO_SP_EUlS12_E1_NS1_11comp_targetILNS1_3genE0ELNS1_11target_archE4294967295ELNS1_3gpuE0ELNS1_3repE0EEENS1_36merge_oddeven_config_static_selectorELNS0_4arch9wavefront6targetE0EEEvSO_,comdat
	.protected	_ZN7rocprim17ROCPRIM_400000_NS6detail17trampoline_kernelINS0_14default_configENS1_38merge_sort_block_merge_config_selectorIjN6thrust23THRUST_200600_302600_NS5tupleIffNS6_9null_typeES8_S8_S8_S8_S8_S8_S8_EEEEZZNS1_27merge_sort_block_merge_implIS3_NS6_6detail15normal_iteratorINS6_10device_ptrIjEEEENSD_INSE_IS9_EEEEjNS1_19radix_merge_compareILb0ELb0EjNS0_19identity_decomposerEEEEE10hipError_tT0_T1_T2_jT3_P12ihipStream_tbPNSt15iterator_traitsISN_E10value_typeEPNST_ISO_E10value_typeEPSP_NS1_7vsmem_tEENKUlT_SN_SO_SP_E_clISG_PjSI_PS9_EESM_S12_SN_SO_SP_EUlS12_E1_NS1_11comp_targetILNS1_3genE0ELNS1_11target_archE4294967295ELNS1_3gpuE0ELNS1_3repE0EEENS1_36merge_oddeven_config_static_selectorELNS0_4arch9wavefront6targetE0EEEvSO_ ; -- Begin function _ZN7rocprim17ROCPRIM_400000_NS6detail17trampoline_kernelINS0_14default_configENS1_38merge_sort_block_merge_config_selectorIjN6thrust23THRUST_200600_302600_NS5tupleIffNS6_9null_typeES8_S8_S8_S8_S8_S8_S8_EEEEZZNS1_27merge_sort_block_merge_implIS3_NS6_6detail15normal_iteratorINS6_10device_ptrIjEEEENSD_INSE_IS9_EEEEjNS1_19radix_merge_compareILb0ELb0EjNS0_19identity_decomposerEEEEE10hipError_tT0_T1_T2_jT3_P12ihipStream_tbPNSt15iterator_traitsISN_E10value_typeEPNST_ISO_E10value_typeEPSP_NS1_7vsmem_tEENKUlT_SN_SO_SP_E_clISG_PjSI_PS9_EESM_S12_SN_SO_SP_EUlS12_E1_NS1_11comp_targetILNS1_3genE0ELNS1_11target_archE4294967295ELNS1_3gpuE0ELNS1_3repE0EEENS1_36merge_oddeven_config_static_selectorELNS0_4arch9wavefront6targetE0EEEvSO_
	.globl	_ZN7rocprim17ROCPRIM_400000_NS6detail17trampoline_kernelINS0_14default_configENS1_38merge_sort_block_merge_config_selectorIjN6thrust23THRUST_200600_302600_NS5tupleIffNS6_9null_typeES8_S8_S8_S8_S8_S8_S8_EEEEZZNS1_27merge_sort_block_merge_implIS3_NS6_6detail15normal_iteratorINS6_10device_ptrIjEEEENSD_INSE_IS9_EEEEjNS1_19radix_merge_compareILb0ELb0EjNS0_19identity_decomposerEEEEE10hipError_tT0_T1_T2_jT3_P12ihipStream_tbPNSt15iterator_traitsISN_E10value_typeEPNST_ISO_E10value_typeEPSP_NS1_7vsmem_tEENKUlT_SN_SO_SP_E_clISG_PjSI_PS9_EESM_S12_SN_SO_SP_EUlS12_E1_NS1_11comp_targetILNS1_3genE0ELNS1_11target_archE4294967295ELNS1_3gpuE0ELNS1_3repE0EEENS1_36merge_oddeven_config_static_selectorELNS0_4arch9wavefront6targetE0EEEvSO_
	.p2align	8
	.type	_ZN7rocprim17ROCPRIM_400000_NS6detail17trampoline_kernelINS0_14default_configENS1_38merge_sort_block_merge_config_selectorIjN6thrust23THRUST_200600_302600_NS5tupleIffNS6_9null_typeES8_S8_S8_S8_S8_S8_S8_EEEEZZNS1_27merge_sort_block_merge_implIS3_NS6_6detail15normal_iteratorINS6_10device_ptrIjEEEENSD_INSE_IS9_EEEEjNS1_19radix_merge_compareILb0ELb0EjNS0_19identity_decomposerEEEEE10hipError_tT0_T1_T2_jT3_P12ihipStream_tbPNSt15iterator_traitsISN_E10value_typeEPNST_ISO_E10value_typeEPSP_NS1_7vsmem_tEENKUlT_SN_SO_SP_E_clISG_PjSI_PS9_EESM_S12_SN_SO_SP_EUlS12_E1_NS1_11comp_targetILNS1_3genE0ELNS1_11target_archE4294967295ELNS1_3gpuE0ELNS1_3repE0EEENS1_36merge_oddeven_config_static_selectorELNS0_4arch9wavefront6targetE0EEEvSO_,@function
_ZN7rocprim17ROCPRIM_400000_NS6detail17trampoline_kernelINS0_14default_configENS1_38merge_sort_block_merge_config_selectorIjN6thrust23THRUST_200600_302600_NS5tupleIffNS6_9null_typeES8_S8_S8_S8_S8_S8_S8_EEEEZZNS1_27merge_sort_block_merge_implIS3_NS6_6detail15normal_iteratorINS6_10device_ptrIjEEEENSD_INSE_IS9_EEEEjNS1_19radix_merge_compareILb0ELb0EjNS0_19identity_decomposerEEEEE10hipError_tT0_T1_T2_jT3_P12ihipStream_tbPNSt15iterator_traitsISN_E10value_typeEPNST_ISO_E10value_typeEPSP_NS1_7vsmem_tEENKUlT_SN_SO_SP_E_clISG_PjSI_PS9_EESM_S12_SN_SO_SP_EUlS12_E1_NS1_11comp_targetILNS1_3genE0ELNS1_11target_archE4294967295ELNS1_3gpuE0ELNS1_3repE0EEENS1_36merge_oddeven_config_static_selectorELNS0_4arch9wavefront6targetE0EEEvSO_: ; @_ZN7rocprim17ROCPRIM_400000_NS6detail17trampoline_kernelINS0_14default_configENS1_38merge_sort_block_merge_config_selectorIjN6thrust23THRUST_200600_302600_NS5tupleIffNS6_9null_typeES8_S8_S8_S8_S8_S8_S8_EEEEZZNS1_27merge_sort_block_merge_implIS3_NS6_6detail15normal_iteratorINS6_10device_ptrIjEEEENSD_INSE_IS9_EEEEjNS1_19radix_merge_compareILb0ELb0EjNS0_19identity_decomposerEEEEE10hipError_tT0_T1_T2_jT3_P12ihipStream_tbPNSt15iterator_traitsISN_E10value_typeEPNST_ISO_E10value_typeEPSP_NS1_7vsmem_tEENKUlT_SN_SO_SP_E_clISG_PjSI_PS9_EESM_S12_SN_SO_SP_EUlS12_E1_NS1_11comp_targetILNS1_3genE0ELNS1_11target_archE4294967295ELNS1_3gpuE0ELNS1_3repE0EEENS1_36merge_oddeven_config_static_selectorELNS0_4arch9wavefront6targetE0EEEvSO_
; %bb.0:
	s_load_b32 s3, s[0:1], 0x20
	s_bfe_u32 s2, ttmp6, 0x4000c
	s_and_b32 s4, ttmp6, 15
	s_add_co_i32 s2, s2, 1
	s_getreg_b32 s5, hwreg(HW_REG_IB_STS2, 6, 4)
	s_mul_i32 s2, ttmp9, s2
	s_mov_b32 s13, 0
	s_add_co_i32 s4, s4, s2
	s_cmp_eq_u32 s5, 0
	s_cselect_b32 s15, ttmp9, s4
	s_delay_alu instid0(SALU_CYCLE_1) | instskip(SKIP_2) | instid1(SALU_CYCLE_1)
	s_lshl_b32 s12, s15, 8
	s_wait_kmcnt 0x0
	s_lshr_b32 s2, s3, 8
	s_cmp_eq_u32 s15, s2
	s_cselect_b32 s14, -1, 0
	s_cmp_lg_u32 s15, s2
	s_cselect_b32 s4, -1, 0
	s_sub_co_i32 s2, s3, s12
	s_delay_alu instid0(SALU_CYCLE_1) | instskip(SKIP_1) | instid1(SALU_CYCLE_1)
	v_cmp_gt_u32_e64 s2, s2, v0
	s_or_b32 s4, s4, s2
	s_and_saveexec_b32 s5, s4
	s_cbranch_execz .LBB65_24
; %bb.1:
	s_load_b256 s[4:11], s[0:1], 0x0
	s_lshl_b64 s[16:17], s[12:13], 2
	s_lshl_b64 s[18:19], s[12:13], 3
	s_wait_kmcnt 0x0
	s_add_nc_u64 s[16:17], s[4:5], s[16:17]
	s_add_nc_u64 s[8:9], s[8:9], s[18:19]
	s_clause 0x1
	global_load_b32 v1, v0, s[16:17] scale_offset
	global_load_b64 v[2:3], v0, s[8:9] scale_offset
	s_wait_xcnt 0x0
	s_load_b32 s9, s[0:1], 0x24
	v_add_nc_u32_e32 v0, s12, v0
	s_wait_kmcnt 0x0
	s_lshr_b32 s0, s9, 8
	s_delay_alu instid0(SALU_CYCLE_1) | instskip(NEXT) | instid1(SALU_CYCLE_1)
	s_sub_co_i32 s1, 0, s0
	s_and_b32 s1, s15, s1
	s_delay_alu instid0(SALU_CYCLE_1) | instskip(SKIP_4) | instid1(SALU_CYCLE_1)
	s_and_b32 s0, s1, s0
	s_lshl_b32 s13, s1, 8
	s_sub_co_i32 s1, 0, s9
	s_cmp_eq_u32 s0, 0
	s_cselect_b32 s0, -1, 0
	s_and_b32 s8, s0, exec_lo
	s_cselect_b32 s1, s9, s1
	s_mov_b32 s8, -1
	s_add_co_i32 s1, s1, s13
	s_delay_alu instid0(SALU_CYCLE_1)
	s_cmp_gt_u32 s3, s1
	s_cbranch_scc1 .LBB65_9
; %bb.2:
	s_and_b32 vcc_lo, exec_lo, s14
	s_cbranch_vccz .LBB65_6
; %bb.3:
	s_mov_b32 s8, exec_lo
	v_cmpx_gt_u32_e64 s3, v0
	s_cbranch_execz .LBB65_5
; %bb.4:
	s_wait_loadcnt 0x1
	global_store_b32 v0, v1, s[6:7] scale_offset
	s_wait_loadcnt 0x0
	global_store_b64 v0, v[2:3], s[10:11] scale_offset
.LBB65_5:
	s_wait_xcnt 0x0
	s_or_b32 exec_lo, exec_lo, s8
	s_mov_b32 s8, 0
.LBB65_6:
	s_delay_alu instid0(SALU_CYCLE_1)
	s_and_not1_b32 vcc_lo, exec_lo, s8
	s_cbranch_vccnz .LBB65_8
; %bb.7:
	s_wait_loadcnt 0x1
	global_store_b32 v0, v1, s[6:7] scale_offset
	s_wait_loadcnt 0x0
	global_store_b64 v0, v[2:3], s[10:11] scale_offset
.LBB65_8:
	s_mov_b32 s8, 0
.LBB65_9:
	s_delay_alu instid0(SALU_CYCLE_1)
	s_and_not1_b32 vcc_lo, exec_lo, s8
	s_cbranch_vccnz .LBB65_24
; %bb.10:
	s_min_u32 s8, s1, s3
	s_and_b32 vcc_lo, exec_lo, s14
	s_add_co_i32 s12, s13, s8
	s_add_co_i32 s9, s8, s9
	s_wait_xcnt 0x0
	v_subrev_nc_u32_e32 v0, s12, v0
	s_min_u32 s12, s13, s8
	s_min_u32 s3, s9, s3
	s_mov_b32 s9, -1
	s_delay_alu instid0(VALU_DEP_1)
	v_add_nc_u32_e32 v0, s12, v0
	s_cbranch_vccz .LBB65_18
; %bb.11:
	s_and_saveexec_b32 s9, s2
	s_cbranch_execz .LBB65_17
; %bb.12:
	v_mov_b32_e32 v4, s8
	s_cmp_ge_u32 s1, s3
	s_cbranch_scc1 .LBB65_16
; %bb.13:
	v_dual_mov_b32 v5, s3 :: v_dual_mov_b32 v4, s8
	s_mov_b32 s2, 0
.LBB65_14:                              ; =>This Inner Loop Header: Depth=1
	s_delay_alu instid0(VALU_DEP_1) | instskip(NEXT) | instid1(VALU_DEP_1)
	v_add_nc_u32_e32 v6, v4, v5
	v_lshrrev_b32_e32 v6, 1, v6
	global_load_b32 v7, v6, s[4:5] scale_offset
	s_wait_loadcnt 0x0
	v_cmp_gt_u32_e32 vcc_lo, v1, v7
	v_cndmask_b32_e64 v8, 0, 1, vcc_lo
	v_cmp_le_u32_e32 vcc_lo, v7, v1
	v_cndmask_b32_e64 v7, 0, 1, vcc_lo
	s_delay_alu instid0(VALU_DEP_1) | instskip(NEXT) | instid1(VALU_DEP_1)
	v_cndmask_b32_e64 v7, v7, v8, s0
	v_and_b32_e32 v7, 1, v7
	s_delay_alu instid0(VALU_DEP_1) | instskip(SKIP_1) | instid1(VALU_DEP_1)
	v_cmp_eq_u32_e32 vcc_lo, 1, v7
	v_dual_cndmask_b32 v5, v6, v5 :: v_dual_add_nc_u32 v8, 1, v6
	v_cndmask_b32_e32 v4, v4, v8, vcc_lo
	s_delay_alu instid0(VALU_DEP_1)
	v_cmp_ge_u32_e32 vcc_lo, v4, v5
	s_or_b32 s2, vcc_lo, s2
	s_wait_xcnt 0x0
	s_and_not1_b32 exec_lo, exec_lo, s2
	s_cbranch_execnz .LBB65_14
; %bb.15:
	s_or_b32 exec_lo, exec_lo, s2
.LBB65_16:
	s_delay_alu instid0(VALU_DEP_1)
	v_add_nc_u32_e32 v4, v4, v0
	s_wait_loadcnt 0x1
	global_store_b32 v4, v1, s[6:7] scale_offset
	s_wait_loadcnt 0x0
	global_store_b64 v4, v[2:3], s[10:11] scale_offset
.LBB65_17:
	s_wait_xcnt 0x0
	s_or_b32 exec_lo, exec_lo, s9
	s_mov_b32 s9, 0
.LBB65_18:
	s_delay_alu instid0(SALU_CYCLE_1)
	s_and_not1_b32 vcc_lo, exec_lo, s9
	s_cbranch_vccnz .LBB65_24
; %bb.19:
	v_mov_b32_e32 v4, s8
	s_cmp_ge_u32 s1, s3
	s_cbranch_scc1 .LBB65_23
; %bb.20:
	v_dual_mov_b32 v5, s3 :: v_dual_mov_b32 v4, s8
	s_mov_b32 s1, 0
.LBB65_21:                              ; =>This Inner Loop Header: Depth=1
	s_delay_alu instid0(VALU_DEP_1) | instskip(NEXT) | instid1(VALU_DEP_1)
	v_add_nc_u32_e32 v6, v4, v5
	v_lshrrev_b32_e32 v6, 1, v6
	global_load_b32 v7, v6, s[4:5] scale_offset
	s_wait_loadcnt 0x0
	v_cmp_gt_u32_e32 vcc_lo, v1, v7
	v_cndmask_b32_e64 v8, 0, 1, vcc_lo
	v_cmp_le_u32_e32 vcc_lo, v7, v1
	v_cndmask_b32_e64 v7, 0, 1, vcc_lo
	s_delay_alu instid0(VALU_DEP_1) | instskip(NEXT) | instid1(VALU_DEP_1)
	v_cndmask_b32_e64 v7, v7, v8, s0
	v_and_b32_e32 v7, 1, v7
	s_delay_alu instid0(VALU_DEP_1) | instskip(SKIP_1) | instid1(VALU_DEP_1)
	v_cmp_eq_u32_e32 vcc_lo, 1, v7
	v_dual_cndmask_b32 v5, v6, v5 :: v_dual_add_nc_u32 v8, 1, v6
	v_cndmask_b32_e32 v4, v4, v8, vcc_lo
	s_delay_alu instid0(VALU_DEP_1)
	v_cmp_ge_u32_e32 vcc_lo, v4, v5
	s_or_b32 s1, vcc_lo, s1
	s_wait_xcnt 0x0
	s_and_not1_b32 exec_lo, exec_lo, s1
	s_cbranch_execnz .LBB65_21
; %bb.22:
	s_or_b32 exec_lo, exec_lo, s1
.LBB65_23:
	s_delay_alu instid0(VALU_DEP_1)
	v_add_nc_u32_e32 v0, v4, v0
	s_wait_loadcnt 0x1
	global_store_b32 v0, v1, s[6:7] scale_offset
	s_wait_loadcnt 0x0
	global_store_b64 v0, v[2:3], s[10:11] scale_offset
.LBB65_24:
	s_endpgm
	.section	.rodata,"a",@progbits
	.p2align	6, 0x0
	.amdhsa_kernel _ZN7rocprim17ROCPRIM_400000_NS6detail17trampoline_kernelINS0_14default_configENS1_38merge_sort_block_merge_config_selectorIjN6thrust23THRUST_200600_302600_NS5tupleIffNS6_9null_typeES8_S8_S8_S8_S8_S8_S8_EEEEZZNS1_27merge_sort_block_merge_implIS3_NS6_6detail15normal_iteratorINS6_10device_ptrIjEEEENSD_INSE_IS9_EEEEjNS1_19radix_merge_compareILb0ELb0EjNS0_19identity_decomposerEEEEE10hipError_tT0_T1_T2_jT3_P12ihipStream_tbPNSt15iterator_traitsISN_E10value_typeEPNST_ISO_E10value_typeEPSP_NS1_7vsmem_tEENKUlT_SN_SO_SP_E_clISG_PjSI_PS9_EESM_S12_SN_SO_SP_EUlS12_E1_NS1_11comp_targetILNS1_3genE0ELNS1_11target_archE4294967295ELNS1_3gpuE0ELNS1_3repE0EEENS1_36merge_oddeven_config_static_selectorELNS0_4arch9wavefront6targetE0EEEvSO_
		.amdhsa_group_segment_fixed_size 0
		.amdhsa_private_segment_fixed_size 0
		.amdhsa_kernarg_size 48
		.amdhsa_user_sgpr_count 2
		.amdhsa_user_sgpr_dispatch_ptr 0
		.amdhsa_user_sgpr_queue_ptr 0
		.amdhsa_user_sgpr_kernarg_segment_ptr 1
		.amdhsa_user_sgpr_dispatch_id 0
		.amdhsa_user_sgpr_kernarg_preload_length 0
		.amdhsa_user_sgpr_kernarg_preload_offset 0
		.amdhsa_user_sgpr_private_segment_size 0
		.amdhsa_wavefront_size32 1
		.amdhsa_uses_dynamic_stack 0
		.amdhsa_enable_private_segment 0
		.amdhsa_system_sgpr_workgroup_id_x 1
		.amdhsa_system_sgpr_workgroup_id_y 0
		.amdhsa_system_sgpr_workgroup_id_z 0
		.amdhsa_system_sgpr_workgroup_info 0
		.amdhsa_system_vgpr_workitem_id 0
		.amdhsa_next_free_vgpr 9
		.amdhsa_next_free_sgpr 20
		.amdhsa_named_barrier_count 0
		.amdhsa_reserve_vcc 1
		.amdhsa_float_round_mode_32 0
		.amdhsa_float_round_mode_16_64 0
		.amdhsa_float_denorm_mode_32 3
		.amdhsa_float_denorm_mode_16_64 3
		.amdhsa_fp16_overflow 0
		.amdhsa_memory_ordered 1
		.amdhsa_forward_progress 1
		.amdhsa_inst_pref_size 7
		.amdhsa_round_robin_scheduling 0
		.amdhsa_exception_fp_ieee_invalid_op 0
		.amdhsa_exception_fp_denorm_src 0
		.amdhsa_exception_fp_ieee_div_zero 0
		.amdhsa_exception_fp_ieee_overflow 0
		.amdhsa_exception_fp_ieee_underflow 0
		.amdhsa_exception_fp_ieee_inexact 0
		.amdhsa_exception_int_div_zero 0
	.end_amdhsa_kernel
	.section	.text._ZN7rocprim17ROCPRIM_400000_NS6detail17trampoline_kernelINS0_14default_configENS1_38merge_sort_block_merge_config_selectorIjN6thrust23THRUST_200600_302600_NS5tupleIffNS6_9null_typeES8_S8_S8_S8_S8_S8_S8_EEEEZZNS1_27merge_sort_block_merge_implIS3_NS6_6detail15normal_iteratorINS6_10device_ptrIjEEEENSD_INSE_IS9_EEEEjNS1_19radix_merge_compareILb0ELb0EjNS0_19identity_decomposerEEEEE10hipError_tT0_T1_T2_jT3_P12ihipStream_tbPNSt15iterator_traitsISN_E10value_typeEPNST_ISO_E10value_typeEPSP_NS1_7vsmem_tEENKUlT_SN_SO_SP_E_clISG_PjSI_PS9_EESM_S12_SN_SO_SP_EUlS12_E1_NS1_11comp_targetILNS1_3genE0ELNS1_11target_archE4294967295ELNS1_3gpuE0ELNS1_3repE0EEENS1_36merge_oddeven_config_static_selectorELNS0_4arch9wavefront6targetE0EEEvSO_,"axG",@progbits,_ZN7rocprim17ROCPRIM_400000_NS6detail17trampoline_kernelINS0_14default_configENS1_38merge_sort_block_merge_config_selectorIjN6thrust23THRUST_200600_302600_NS5tupleIffNS6_9null_typeES8_S8_S8_S8_S8_S8_S8_EEEEZZNS1_27merge_sort_block_merge_implIS3_NS6_6detail15normal_iteratorINS6_10device_ptrIjEEEENSD_INSE_IS9_EEEEjNS1_19radix_merge_compareILb0ELb0EjNS0_19identity_decomposerEEEEE10hipError_tT0_T1_T2_jT3_P12ihipStream_tbPNSt15iterator_traitsISN_E10value_typeEPNST_ISO_E10value_typeEPSP_NS1_7vsmem_tEENKUlT_SN_SO_SP_E_clISG_PjSI_PS9_EESM_S12_SN_SO_SP_EUlS12_E1_NS1_11comp_targetILNS1_3genE0ELNS1_11target_archE4294967295ELNS1_3gpuE0ELNS1_3repE0EEENS1_36merge_oddeven_config_static_selectorELNS0_4arch9wavefront6targetE0EEEvSO_,comdat
.Lfunc_end65:
	.size	_ZN7rocprim17ROCPRIM_400000_NS6detail17trampoline_kernelINS0_14default_configENS1_38merge_sort_block_merge_config_selectorIjN6thrust23THRUST_200600_302600_NS5tupleIffNS6_9null_typeES8_S8_S8_S8_S8_S8_S8_EEEEZZNS1_27merge_sort_block_merge_implIS3_NS6_6detail15normal_iteratorINS6_10device_ptrIjEEEENSD_INSE_IS9_EEEEjNS1_19radix_merge_compareILb0ELb0EjNS0_19identity_decomposerEEEEE10hipError_tT0_T1_T2_jT3_P12ihipStream_tbPNSt15iterator_traitsISN_E10value_typeEPNST_ISO_E10value_typeEPSP_NS1_7vsmem_tEENKUlT_SN_SO_SP_E_clISG_PjSI_PS9_EESM_S12_SN_SO_SP_EUlS12_E1_NS1_11comp_targetILNS1_3genE0ELNS1_11target_archE4294967295ELNS1_3gpuE0ELNS1_3repE0EEENS1_36merge_oddeven_config_static_selectorELNS0_4arch9wavefront6targetE0EEEvSO_, .Lfunc_end65-_ZN7rocprim17ROCPRIM_400000_NS6detail17trampoline_kernelINS0_14default_configENS1_38merge_sort_block_merge_config_selectorIjN6thrust23THRUST_200600_302600_NS5tupleIffNS6_9null_typeES8_S8_S8_S8_S8_S8_S8_EEEEZZNS1_27merge_sort_block_merge_implIS3_NS6_6detail15normal_iteratorINS6_10device_ptrIjEEEENSD_INSE_IS9_EEEEjNS1_19radix_merge_compareILb0ELb0EjNS0_19identity_decomposerEEEEE10hipError_tT0_T1_T2_jT3_P12ihipStream_tbPNSt15iterator_traitsISN_E10value_typeEPNST_ISO_E10value_typeEPSP_NS1_7vsmem_tEENKUlT_SN_SO_SP_E_clISG_PjSI_PS9_EESM_S12_SN_SO_SP_EUlS12_E1_NS1_11comp_targetILNS1_3genE0ELNS1_11target_archE4294967295ELNS1_3gpuE0ELNS1_3repE0EEENS1_36merge_oddeven_config_static_selectorELNS0_4arch9wavefront6targetE0EEEvSO_
                                        ; -- End function
	.set _ZN7rocprim17ROCPRIM_400000_NS6detail17trampoline_kernelINS0_14default_configENS1_38merge_sort_block_merge_config_selectorIjN6thrust23THRUST_200600_302600_NS5tupleIffNS6_9null_typeES8_S8_S8_S8_S8_S8_S8_EEEEZZNS1_27merge_sort_block_merge_implIS3_NS6_6detail15normal_iteratorINS6_10device_ptrIjEEEENSD_INSE_IS9_EEEEjNS1_19radix_merge_compareILb0ELb0EjNS0_19identity_decomposerEEEEE10hipError_tT0_T1_T2_jT3_P12ihipStream_tbPNSt15iterator_traitsISN_E10value_typeEPNST_ISO_E10value_typeEPSP_NS1_7vsmem_tEENKUlT_SN_SO_SP_E_clISG_PjSI_PS9_EESM_S12_SN_SO_SP_EUlS12_E1_NS1_11comp_targetILNS1_3genE0ELNS1_11target_archE4294967295ELNS1_3gpuE0ELNS1_3repE0EEENS1_36merge_oddeven_config_static_selectorELNS0_4arch9wavefront6targetE0EEEvSO_.num_vgpr, 9
	.set _ZN7rocprim17ROCPRIM_400000_NS6detail17trampoline_kernelINS0_14default_configENS1_38merge_sort_block_merge_config_selectorIjN6thrust23THRUST_200600_302600_NS5tupleIffNS6_9null_typeES8_S8_S8_S8_S8_S8_S8_EEEEZZNS1_27merge_sort_block_merge_implIS3_NS6_6detail15normal_iteratorINS6_10device_ptrIjEEEENSD_INSE_IS9_EEEEjNS1_19radix_merge_compareILb0ELb0EjNS0_19identity_decomposerEEEEE10hipError_tT0_T1_T2_jT3_P12ihipStream_tbPNSt15iterator_traitsISN_E10value_typeEPNST_ISO_E10value_typeEPSP_NS1_7vsmem_tEENKUlT_SN_SO_SP_E_clISG_PjSI_PS9_EESM_S12_SN_SO_SP_EUlS12_E1_NS1_11comp_targetILNS1_3genE0ELNS1_11target_archE4294967295ELNS1_3gpuE0ELNS1_3repE0EEENS1_36merge_oddeven_config_static_selectorELNS0_4arch9wavefront6targetE0EEEvSO_.num_agpr, 0
	.set _ZN7rocprim17ROCPRIM_400000_NS6detail17trampoline_kernelINS0_14default_configENS1_38merge_sort_block_merge_config_selectorIjN6thrust23THRUST_200600_302600_NS5tupleIffNS6_9null_typeES8_S8_S8_S8_S8_S8_S8_EEEEZZNS1_27merge_sort_block_merge_implIS3_NS6_6detail15normal_iteratorINS6_10device_ptrIjEEEENSD_INSE_IS9_EEEEjNS1_19radix_merge_compareILb0ELb0EjNS0_19identity_decomposerEEEEE10hipError_tT0_T1_T2_jT3_P12ihipStream_tbPNSt15iterator_traitsISN_E10value_typeEPNST_ISO_E10value_typeEPSP_NS1_7vsmem_tEENKUlT_SN_SO_SP_E_clISG_PjSI_PS9_EESM_S12_SN_SO_SP_EUlS12_E1_NS1_11comp_targetILNS1_3genE0ELNS1_11target_archE4294967295ELNS1_3gpuE0ELNS1_3repE0EEENS1_36merge_oddeven_config_static_selectorELNS0_4arch9wavefront6targetE0EEEvSO_.numbered_sgpr, 20
	.set _ZN7rocprim17ROCPRIM_400000_NS6detail17trampoline_kernelINS0_14default_configENS1_38merge_sort_block_merge_config_selectorIjN6thrust23THRUST_200600_302600_NS5tupleIffNS6_9null_typeES8_S8_S8_S8_S8_S8_S8_EEEEZZNS1_27merge_sort_block_merge_implIS3_NS6_6detail15normal_iteratorINS6_10device_ptrIjEEEENSD_INSE_IS9_EEEEjNS1_19radix_merge_compareILb0ELb0EjNS0_19identity_decomposerEEEEE10hipError_tT0_T1_T2_jT3_P12ihipStream_tbPNSt15iterator_traitsISN_E10value_typeEPNST_ISO_E10value_typeEPSP_NS1_7vsmem_tEENKUlT_SN_SO_SP_E_clISG_PjSI_PS9_EESM_S12_SN_SO_SP_EUlS12_E1_NS1_11comp_targetILNS1_3genE0ELNS1_11target_archE4294967295ELNS1_3gpuE0ELNS1_3repE0EEENS1_36merge_oddeven_config_static_selectorELNS0_4arch9wavefront6targetE0EEEvSO_.num_named_barrier, 0
	.set _ZN7rocprim17ROCPRIM_400000_NS6detail17trampoline_kernelINS0_14default_configENS1_38merge_sort_block_merge_config_selectorIjN6thrust23THRUST_200600_302600_NS5tupleIffNS6_9null_typeES8_S8_S8_S8_S8_S8_S8_EEEEZZNS1_27merge_sort_block_merge_implIS3_NS6_6detail15normal_iteratorINS6_10device_ptrIjEEEENSD_INSE_IS9_EEEEjNS1_19radix_merge_compareILb0ELb0EjNS0_19identity_decomposerEEEEE10hipError_tT0_T1_T2_jT3_P12ihipStream_tbPNSt15iterator_traitsISN_E10value_typeEPNST_ISO_E10value_typeEPSP_NS1_7vsmem_tEENKUlT_SN_SO_SP_E_clISG_PjSI_PS9_EESM_S12_SN_SO_SP_EUlS12_E1_NS1_11comp_targetILNS1_3genE0ELNS1_11target_archE4294967295ELNS1_3gpuE0ELNS1_3repE0EEENS1_36merge_oddeven_config_static_selectorELNS0_4arch9wavefront6targetE0EEEvSO_.private_seg_size, 0
	.set _ZN7rocprim17ROCPRIM_400000_NS6detail17trampoline_kernelINS0_14default_configENS1_38merge_sort_block_merge_config_selectorIjN6thrust23THRUST_200600_302600_NS5tupleIffNS6_9null_typeES8_S8_S8_S8_S8_S8_S8_EEEEZZNS1_27merge_sort_block_merge_implIS3_NS6_6detail15normal_iteratorINS6_10device_ptrIjEEEENSD_INSE_IS9_EEEEjNS1_19radix_merge_compareILb0ELb0EjNS0_19identity_decomposerEEEEE10hipError_tT0_T1_T2_jT3_P12ihipStream_tbPNSt15iterator_traitsISN_E10value_typeEPNST_ISO_E10value_typeEPSP_NS1_7vsmem_tEENKUlT_SN_SO_SP_E_clISG_PjSI_PS9_EESM_S12_SN_SO_SP_EUlS12_E1_NS1_11comp_targetILNS1_3genE0ELNS1_11target_archE4294967295ELNS1_3gpuE0ELNS1_3repE0EEENS1_36merge_oddeven_config_static_selectorELNS0_4arch9wavefront6targetE0EEEvSO_.uses_vcc, 1
	.set _ZN7rocprim17ROCPRIM_400000_NS6detail17trampoline_kernelINS0_14default_configENS1_38merge_sort_block_merge_config_selectorIjN6thrust23THRUST_200600_302600_NS5tupleIffNS6_9null_typeES8_S8_S8_S8_S8_S8_S8_EEEEZZNS1_27merge_sort_block_merge_implIS3_NS6_6detail15normal_iteratorINS6_10device_ptrIjEEEENSD_INSE_IS9_EEEEjNS1_19radix_merge_compareILb0ELb0EjNS0_19identity_decomposerEEEEE10hipError_tT0_T1_T2_jT3_P12ihipStream_tbPNSt15iterator_traitsISN_E10value_typeEPNST_ISO_E10value_typeEPSP_NS1_7vsmem_tEENKUlT_SN_SO_SP_E_clISG_PjSI_PS9_EESM_S12_SN_SO_SP_EUlS12_E1_NS1_11comp_targetILNS1_3genE0ELNS1_11target_archE4294967295ELNS1_3gpuE0ELNS1_3repE0EEENS1_36merge_oddeven_config_static_selectorELNS0_4arch9wavefront6targetE0EEEvSO_.uses_flat_scratch, 0
	.set _ZN7rocprim17ROCPRIM_400000_NS6detail17trampoline_kernelINS0_14default_configENS1_38merge_sort_block_merge_config_selectorIjN6thrust23THRUST_200600_302600_NS5tupleIffNS6_9null_typeES8_S8_S8_S8_S8_S8_S8_EEEEZZNS1_27merge_sort_block_merge_implIS3_NS6_6detail15normal_iteratorINS6_10device_ptrIjEEEENSD_INSE_IS9_EEEEjNS1_19radix_merge_compareILb0ELb0EjNS0_19identity_decomposerEEEEE10hipError_tT0_T1_T2_jT3_P12ihipStream_tbPNSt15iterator_traitsISN_E10value_typeEPNST_ISO_E10value_typeEPSP_NS1_7vsmem_tEENKUlT_SN_SO_SP_E_clISG_PjSI_PS9_EESM_S12_SN_SO_SP_EUlS12_E1_NS1_11comp_targetILNS1_3genE0ELNS1_11target_archE4294967295ELNS1_3gpuE0ELNS1_3repE0EEENS1_36merge_oddeven_config_static_selectorELNS0_4arch9wavefront6targetE0EEEvSO_.has_dyn_sized_stack, 0
	.set _ZN7rocprim17ROCPRIM_400000_NS6detail17trampoline_kernelINS0_14default_configENS1_38merge_sort_block_merge_config_selectorIjN6thrust23THRUST_200600_302600_NS5tupleIffNS6_9null_typeES8_S8_S8_S8_S8_S8_S8_EEEEZZNS1_27merge_sort_block_merge_implIS3_NS6_6detail15normal_iteratorINS6_10device_ptrIjEEEENSD_INSE_IS9_EEEEjNS1_19radix_merge_compareILb0ELb0EjNS0_19identity_decomposerEEEEE10hipError_tT0_T1_T2_jT3_P12ihipStream_tbPNSt15iterator_traitsISN_E10value_typeEPNST_ISO_E10value_typeEPSP_NS1_7vsmem_tEENKUlT_SN_SO_SP_E_clISG_PjSI_PS9_EESM_S12_SN_SO_SP_EUlS12_E1_NS1_11comp_targetILNS1_3genE0ELNS1_11target_archE4294967295ELNS1_3gpuE0ELNS1_3repE0EEENS1_36merge_oddeven_config_static_selectorELNS0_4arch9wavefront6targetE0EEEvSO_.has_recursion, 0
	.set _ZN7rocprim17ROCPRIM_400000_NS6detail17trampoline_kernelINS0_14default_configENS1_38merge_sort_block_merge_config_selectorIjN6thrust23THRUST_200600_302600_NS5tupleIffNS6_9null_typeES8_S8_S8_S8_S8_S8_S8_EEEEZZNS1_27merge_sort_block_merge_implIS3_NS6_6detail15normal_iteratorINS6_10device_ptrIjEEEENSD_INSE_IS9_EEEEjNS1_19radix_merge_compareILb0ELb0EjNS0_19identity_decomposerEEEEE10hipError_tT0_T1_T2_jT3_P12ihipStream_tbPNSt15iterator_traitsISN_E10value_typeEPNST_ISO_E10value_typeEPSP_NS1_7vsmem_tEENKUlT_SN_SO_SP_E_clISG_PjSI_PS9_EESM_S12_SN_SO_SP_EUlS12_E1_NS1_11comp_targetILNS1_3genE0ELNS1_11target_archE4294967295ELNS1_3gpuE0ELNS1_3repE0EEENS1_36merge_oddeven_config_static_selectorELNS0_4arch9wavefront6targetE0EEEvSO_.has_indirect_call, 0
	.section	.AMDGPU.csdata,"",@progbits
; Kernel info:
; codeLenInByte = 824
; TotalNumSgprs: 22
; NumVgprs: 9
; ScratchSize: 0
; MemoryBound: 0
; FloatMode: 240
; IeeeMode: 1
; LDSByteSize: 0 bytes/workgroup (compile time only)
; SGPRBlocks: 0
; VGPRBlocks: 0
; NumSGPRsForWavesPerEU: 22
; NumVGPRsForWavesPerEU: 9
; NamedBarCnt: 0
; Occupancy: 16
; WaveLimiterHint : 0
; COMPUTE_PGM_RSRC2:SCRATCH_EN: 0
; COMPUTE_PGM_RSRC2:USER_SGPR: 2
; COMPUTE_PGM_RSRC2:TRAP_HANDLER: 0
; COMPUTE_PGM_RSRC2:TGID_X_EN: 1
; COMPUTE_PGM_RSRC2:TGID_Y_EN: 0
; COMPUTE_PGM_RSRC2:TGID_Z_EN: 0
; COMPUTE_PGM_RSRC2:TIDIG_COMP_CNT: 0
	.section	.text._ZN7rocprim17ROCPRIM_400000_NS6detail17trampoline_kernelINS0_14default_configENS1_38merge_sort_block_merge_config_selectorIjN6thrust23THRUST_200600_302600_NS5tupleIffNS6_9null_typeES8_S8_S8_S8_S8_S8_S8_EEEEZZNS1_27merge_sort_block_merge_implIS3_NS6_6detail15normal_iteratorINS6_10device_ptrIjEEEENSD_INSE_IS9_EEEEjNS1_19radix_merge_compareILb0ELb0EjNS0_19identity_decomposerEEEEE10hipError_tT0_T1_T2_jT3_P12ihipStream_tbPNSt15iterator_traitsISN_E10value_typeEPNST_ISO_E10value_typeEPSP_NS1_7vsmem_tEENKUlT_SN_SO_SP_E_clISG_PjSI_PS9_EESM_S12_SN_SO_SP_EUlS12_E1_NS1_11comp_targetILNS1_3genE10ELNS1_11target_archE1201ELNS1_3gpuE5ELNS1_3repE0EEENS1_36merge_oddeven_config_static_selectorELNS0_4arch9wavefront6targetE0EEEvSO_,"axG",@progbits,_ZN7rocprim17ROCPRIM_400000_NS6detail17trampoline_kernelINS0_14default_configENS1_38merge_sort_block_merge_config_selectorIjN6thrust23THRUST_200600_302600_NS5tupleIffNS6_9null_typeES8_S8_S8_S8_S8_S8_S8_EEEEZZNS1_27merge_sort_block_merge_implIS3_NS6_6detail15normal_iteratorINS6_10device_ptrIjEEEENSD_INSE_IS9_EEEEjNS1_19radix_merge_compareILb0ELb0EjNS0_19identity_decomposerEEEEE10hipError_tT0_T1_T2_jT3_P12ihipStream_tbPNSt15iterator_traitsISN_E10value_typeEPNST_ISO_E10value_typeEPSP_NS1_7vsmem_tEENKUlT_SN_SO_SP_E_clISG_PjSI_PS9_EESM_S12_SN_SO_SP_EUlS12_E1_NS1_11comp_targetILNS1_3genE10ELNS1_11target_archE1201ELNS1_3gpuE5ELNS1_3repE0EEENS1_36merge_oddeven_config_static_selectorELNS0_4arch9wavefront6targetE0EEEvSO_,comdat
	.protected	_ZN7rocprim17ROCPRIM_400000_NS6detail17trampoline_kernelINS0_14default_configENS1_38merge_sort_block_merge_config_selectorIjN6thrust23THRUST_200600_302600_NS5tupleIffNS6_9null_typeES8_S8_S8_S8_S8_S8_S8_EEEEZZNS1_27merge_sort_block_merge_implIS3_NS6_6detail15normal_iteratorINS6_10device_ptrIjEEEENSD_INSE_IS9_EEEEjNS1_19radix_merge_compareILb0ELb0EjNS0_19identity_decomposerEEEEE10hipError_tT0_T1_T2_jT3_P12ihipStream_tbPNSt15iterator_traitsISN_E10value_typeEPNST_ISO_E10value_typeEPSP_NS1_7vsmem_tEENKUlT_SN_SO_SP_E_clISG_PjSI_PS9_EESM_S12_SN_SO_SP_EUlS12_E1_NS1_11comp_targetILNS1_3genE10ELNS1_11target_archE1201ELNS1_3gpuE5ELNS1_3repE0EEENS1_36merge_oddeven_config_static_selectorELNS0_4arch9wavefront6targetE0EEEvSO_ ; -- Begin function _ZN7rocprim17ROCPRIM_400000_NS6detail17trampoline_kernelINS0_14default_configENS1_38merge_sort_block_merge_config_selectorIjN6thrust23THRUST_200600_302600_NS5tupleIffNS6_9null_typeES8_S8_S8_S8_S8_S8_S8_EEEEZZNS1_27merge_sort_block_merge_implIS3_NS6_6detail15normal_iteratorINS6_10device_ptrIjEEEENSD_INSE_IS9_EEEEjNS1_19radix_merge_compareILb0ELb0EjNS0_19identity_decomposerEEEEE10hipError_tT0_T1_T2_jT3_P12ihipStream_tbPNSt15iterator_traitsISN_E10value_typeEPNST_ISO_E10value_typeEPSP_NS1_7vsmem_tEENKUlT_SN_SO_SP_E_clISG_PjSI_PS9_EESM_S12_SN_SO_SP_EUlS12_E1_NS1_11comp_targetILNS1_3genE10ELNS1_11target_archE1201ELNS1_3gpuE5ELNS1_3repE0EEENS1_36merge_oddeven_config_static_selectorELNS0_4arch9wavefront6targetE0EEEvSO_
	.globl	_ZN7rocprim17ROCPRIM_400000_NS6detail17trampoline_kernelINS0_14default_configENS1_38merge_sort_block_merge_config_selectorIjN6thrust23THRUST_200600_302600_NS5tupleIffNS6_9null_typeES8_S8_S8_S8_S8_S8_S8_EEEEZZNS1_27merge_sort_block_merge_implIS3_NS6_6detail15normal_iteratorINS6_10device_ptrIjEEEENSD_INSE_IS9_EEEEjNS1_19radix_merge_compareILb0ELb0EjNS0_19identity_decomposerEEEEE10hipError_tT0_T1_T2_jT3_P12ihipStream_tbPNSt15iterator_traitsISN_E10value_typeEPNST_ISO_E10value_typeEPSP_NS1_7vsmem_tEENKUlT_SN_SO_SP_E_clISG_PjSI_PS9_EESM_S12_SN_SO_SP_EUlS12_E1_NS1_11comp_targetILNS1_3genE10ELNS1_11target_archE1201ELNS1_3gpuE5ELNS1_3repE0EEENS1_36merge_oddeven_config_static_selectorELNS0_4arch9wavefront6targetE0EEEvSO_
	.p2align	8
	.type	_ZN7rocprim17ROCPRIM_400000_NS6detail17trampoline_kernelINS0_14default_configENS1_38merge_sort_block_merge_config_selectorIjN6thrust23THRUST_200600_302600_NS5tupleIffNS6_9null_typeES8_S8_S8_S8_S8_S8_S8_EEEEZZNS1_27merge_sort_block_merge_implIS3_NS6_6detail15normal_iteratorINS6_10device_ptrIjEEEENSD_INSE_IS9_EEEEjNS1_19radix_merge_compareILb0ELb0EjNS0_19identity_decomposerEEEEE10hipError_tT0_T1_T2_jT3_P12ihipStream_tbPNSt15iterator_traitsISN_E10value_typeEPNST_ISO_E10value_typeEPSP_NS1_7vsmem_tEENKUlT_SN_SO_SP_E_clISG_PjSI_PS9_EESM_S12_SN_SO_SP_EUlS12_E1_NS1_11comp_targetILNS1_3genE10ELNS1_11target_archE1201ELNS1_3gpuE5ELNS1_3repE0EEENS1_36merge_oddeven_config_static_selectorELNS0_4arch9wavefront6targetE0EEEvSO_,@function
_ZN7rocprim17ROCPRIM_400000_NS6detail17trampoline_kernelINS0_14default_configENS1_38merge_sort_block_merge_config_selectorIjN6thrust23THRUST_200600_302600_NS5tupleIffNS6_9null_typeES8_S8_S8_S8_S8_S8_S8_EEEEZZNS1_27merge_sort_block_merge_implIS3_NS6_6detail15normal_iteratorINS6_10device_ptrIjEEEENSD_INSE_IS9_EEEEjNS1_19radix_merge_compareILb0ELb0EjNS0_19identity_decomposerEEEEE10hipError_tT0_T1_T2_jT3_P12ihipStream_tbPNSt15iterator_traitsISN_E10value_typeEPNST_ISO_E10value_typeEPSP_NS1_7vsmem_tEENKUlT_SN_SO_SP_E_clISG_PjSI_PS9_EESM_S12_SN_SO_SP_EUlS12_E1_NS1_11comp_targetILNS1_3genE10ELNS1_11target_archE1201ELNS1_3gpuE5ELNS1_3repE0EEENS1_36merge_oddeven_config_static_selectorELNS0_4arch9wavefront6targetE0EEEvSO_: ; @_ZN7rocprim17ROCPRIM_400000_NS6detail17trampoline_kernelINS0_14default_configENS1_38merge_sort_block_merge_config_selectorIjN6thrust23THRUST_200600_302600_NS5tupleIffNS6_9null_typeES8_S8_S8_S8_S8_S8_S8_EEEEZZNS1_27merge_sort_block_merge_implIS3_NS6_6detail15normal_iteratorINS6_10device_ptrIjEEEENSD_INSE_IS9_EEEEjNS1_19radix_merge_compareILb0ELb0EjNS0_19identity_decomposerEEEEE10hipError_tT0_T1_T2_jT3_P12ihipStream_tbPNSt15iterator_traitsISN_E10value_typeEPNST_ISO_E10value_typeEPSP_NS1_7vsmem_tEENKUlT_SN_SO_SP_E_clISG_PjSI_PS9_EESM_S12_SN_SO_SP_EUlS12_E1_NS1_11comp_targetILNS1_3genE10ELNS1_11target_archE1201ELNS1_3gpuE5ELNS1_3repE0EEENS1_36merge_oddeven_config_static_selectorELNS0_4arch9wavefront6targetE0EEEvSO_
; %bb.0:
	.section	.rodata,"a",@progbits
	.p2align	6, 0x0
	.amdhsa_kernel _ZN7rocprim17ROCPRIM_400000_NS6detail17trampoline_kernelINS0_14default_configENS1_38merge_sort_block_merge_config_selectorIjN6thrust23THRUST_200600_302600_NS5tupleIffNS6_9null_typeES8_S8_S8_S8_S8_S8_S8_EEEEZZNS1_27merge_sort_block_merge_implIS3_NS6_6detail15normal_iteratorINS6_10device_ptrIjEEEENSD_INSE_IS9_EEEEjNS1_19radix_merge_compareILb0ELb0EjNS0_19identity_decomposerEEEEE10hipError_tT0_T1_T2_jT3_P12ihipStream_tbPNSt15iterator_traitsISN_E10value_typeEPNST_ISO_E10value_typeEPSP_NS1_7vsmem_tEENKUlT_SN_SO_SP_E_clISG_PjSI_PS9_EESM_S12_SN_SO_SP_EUlS12_E1_NS1_11comp_targetILNS1_3genE10ELNS1_11target_archE1201ELNS1_3gpuE5ELNS1_3repE0EEENS1_36merge_oddeven_config_static_selectorELNS0_4arch9wavefront6targetE0EEEvSO_
		.amdhsa_group_segment_fixed_size 0
		.amdhsa_private_segment_fixed_size 0
		.amdhsa_kernarg_size 48
		.amdhsa_user_sgpr_count 2
		.amdhsa_user_sgpr_dispatch_ptr 0
		.amdhsa_user_sgpr_queue_ptr 0
		.amdhsa_user_sgpr_kernarg_segment_ptr 1
		.amdhsa_user_sgpr_dispatch_id 0
		.amdhsa_user_sgpr_kernarg_preload_length 0
		.amdhsa_user_sgpr_kernarg_preload_offset 0
		.amdhsa_user_sgpr_private_segment_size 0
		.amdhsa_wavefront_size32 1
		.amdhsa_uses_dynamic_stack 0
		.amdhsa_enable_private_segment 0
		.amdhsa_system_sgpr_workgroup_id_x 1
		.amdhsa_system_sgpr_workgroup_id_y 0
		.amdhsa_system_sgpr_workgroup_id_z 0
		.amdhsa_system_sgpr_workgroup_info 0
		.amdhsa_system_vgpr_workitem_id 0
		.amdhsa_next_free_vgpr 1
		.amdhsa_next_free_sgpr 1
		.amdhsa_named_barrier_count 0
		.amdhsa_reserve_vcc 0
		.amdhsa_float_round_mode_32 0
		.amdhsa_float_round_mode_16_64 0
		.amdhsa_float_denorm_mode_32 3
		.amdhsa_float_denorm_mode_16_64 3
		.amdhsa_fp16_overflow 0
		.amdhsa_memory_ordered 1
		.amdhsa_forward_progress 1
		.amdhsa_inst_pref_size 0
		.amdhsa_round_robin_scheduling 0
		.amdhsa_exception_fp_ieee_invalid_op 0
		.amdhsa_exception_fp_denorm_src 0
		.amdhsa_exception_fp_ieee_div_zero 0
		.amdhsa_exception_fp_ieee_overflow 0
		.amdhsa_exception_fp_ieee_underflow 0
		.amdhsa_exception_fp_ieee_inexact 0
		.amdhsa_exception_int_div_zero 0
	.end_amdhsa_kernel
	.section	.text._ZN7rocprim17ROCPRIM_400000_NS6detail17trampoline_kernelINS0_14default_configENS1_38merge_sort_block_merge_config_selectorIjN6thrust23THRUST_200600_302600_NS5tupleIffNS6_9null_typeES8_S8_S8_S8_S8_S8_S8_EEEEZZNS1_27merge_sort_block_merge_implIS3_NS6_6detail15normal_iteratorINS6_10device_ptrIjEEEENSD_INSE_IS9_EEEEjNS1_19radix_merge_compareILb0ELb0EjNS0_19identity_decomposerEEEEE10hipError_tT0_T1_T2_jT3_P12ihipStream_tbPNSt15iterator_traitsISN_E10value_typeEPNST_ISO_E10value_typeEPSP_NS1_7vsmem_tEENKUlT_SN_SO_SP_E_clISG_PjSI_PS9_EESM_S12_SN_SO_SP_EUlS12_E1_NS1_11comp_targetILNS1_3genE10ELNS1_11target_archE1201ELNS1_3gpuE5ELNS1_3repE0EEENS1_36merge_oddeven_config_static_selectorELNS0_4arch9wavefront6targetE0EEEvSO_,"axG",@progbits,_ZN7rocprim17ROCPRIM_400000_NS6detail17trampoline_kernelINS0_14default_configENS1_38merge_sort_block_merge_config_selectorIjN6thrust23THRUST_200600_302600_NS5tupleIffNS6_9null_typeES8_S8_S8_S8_S8_S8_S8_EEEEZZNS1_27merge_sort_block_merge_implIS3_NS6_6detail15normal_iteratorINS6_10device_ptrIjEEEENSD_INSE_IS9_EEEEjNS1_19radix_merge_compareILb0ELb0EjNS0_19identity_decomposerEEEEE10hipError_tT0_T1_T2_jT3_P12ihipStream_tbPNSt15iterator_traitsISN_E10value_typeEPNST_ISO_E10value_typeEPSP_NS1_7vsmem_tEENKUlT_SN_SO_SP_E_clISG_PjSI_PS9_EESM_S12_SN_SO_SP_EUlS12_E1_NS1_11comp_targetILNS1_3genE10ELNS1_11target_archE1201ELNS1_3gpuE5ELNS1_3repE0EEENS1_36merge_oddeven_config_static_selectorELNS0_4arch9wavefront6targetE0EEEvSO_,comdat
.Lfunc_end66:
	.size	_ZN7rocprim17ROCPRIM_400000_NS6detail17trampoline_kernelINS0_14default_configENS1_38merge_sort_block_merge_config_selectorIjN6thrust23THRUST_200600_302600_NS5tupleIffNS6_9null_typeES8_S8_S8_S8_S8_S8_S8_EEEEZZNS1_27merge_sort_block_merge_implIS3_NS6_6detail15normal_iteratorINS6_10device_ptrIjEEEENSD_INSE_IS9_EEEEjNS1_19radix_merge_compareILb0ELb0EjNS0_19identity_decomposerEEEEE10hipError_tT0_T1_T2_jT3_P12ihipStream_tbPNSt15iterator_traitsISN_E10value_typeEPNST_ISO_E10value_typeEPSP_NS1_7vsmem_tEENKUlT_SN_SO_SP_E_clISG_PjSI_PS9_EESM_S12_SN_SO_SP_EUlS12_E1_NS1_11comp_targetILNS1_3genE10ELNS1_11target_archE1201ELNS1_3gpuE5ELNS1_3repE0EEENS1_36merge_oddeven_config_static_selectorELNS0_4arch9wavefront6targetE0EEEvSO_, .Lfunc_end66-_ZN7rocprim17ROCPRIM_400000_NS6detail17trampoline_kernelINS0_14default_configENS1_38merge_sort_block_merge_config_selectorIjN6thrust23THRUST_200600_302600_NS5tupleIffNS6_9null_typeES8_S8_S8_S8_S8_S8_S8_EEEEZZNS1_27merge_sort_block_merge_implIS3_NS6_6detail15normal_iteratorINS6_10device_ptrIjEEEENSD_INSE_IS9_EEEEjNS1_19radix_merge_compareILb0ELb0EjNS0_19identity_decomposerEEEEE10hipError_tT0_T1_T2_jT3_P12ihipStream_tbPNSt15iterator_traitsISN_E10value_typeEPNST_ISO_E10value_typeEPSP_NS1_7vsmem_tEENKUlT_SN_SO_SP_E_clISG_PjSI_PS9_EESM_S12_SN_SO_SP_EUlS12_E1_NS1_11comp_targetILNS1_3genE10ELNS1_11target_archE1201ELNS1_3gpuE5ELNS1_3repE0EEENS1_36merge_oddeven_config_static_selectorELNS0_4arch9wavefront6targetE0EEEvSO_
                                        ; -- End function
	.set _ZN7rocprim17ROCPRIM_400000_NS6detail17trampoline_kernelINS0_14default_configENS1_38merge_sort_block_merge_config_selectorIjN6thrust23THRUST_200600_302600_NS5tupleIffNS6_9null_typeES8_S8_S8_S8_S8_S8_S8_EEEEZZNS1_27merge_sort_block_merge_implIS3_NS6_6detail15normal_iteratorINS6_10device_ptrIjEEEENSD_INSE_IS9_EEEEjNS1_19radix_merge_compareILb0ELb0EjNS0_19identity_decomposerEEEEE10hipError_tT0_T1_T2_jT3_P12ihipStream_tbPNSt15iterator_traitsISN_E10value_typeEPNST_ISO_E10value_typeEPSP_NS1_7vsmem_tEENKUlT_SN_SO_SP_E_clISG_PjSI_PS9_EESM_S12_SN_SO_SP_EUlS12_E1_NS1_11comp_targetILNS1_3genE10ELNS1_11target_archE1201ELNS1_3gpuE5ELNS1_3repE0EEENS1_36merge_oddeven_config_static_selectorELNS0_4arch9wavefront6targetE0EEEvSO_.num_vgpr, 0
	.set _ZN7rocprim17ROCPRIM_400000_NS6detail17trampoline_kernelINS0_14default_configENS1_38merge_sort_block_merge_config_selectorIjN6thrust23THRUST_200600_302600_NS5tupleIffNS6_9null_typeES8_S8_S8_S8_S8_S8_S8_EEEEZZNS1_27merge_sort_block_merge_implIS3_NS6_6detail15normal_iteratorINS6_10device_ptrIjEEEENSD_INSE_IS9_EEEEjNS1_19radix_merge_compareILb0ELb0EjNS0_19identity_decomposerEEEEE10hipError_tT0_T1_T2_jT3_P12ihipStream_tbPNSt15iterator_traitsISN_E10value_typeEPNST_ISO_E10value_typeEPSP_NS1_7vsmem_tEENKUlT_SN_SO_SP_E_clISG_PjSI_PS9_EESM_S12_SN_SO_SP_EUlS12_E1_NS1_11comp_targetILNS1_3genE10ELNS1_11target_archE1201ELNS1_3gpuE5ELNS1_3repE0EEENS1_36merge_oddeven_config_static_selectorELNS0_4arch9wavefront6targetE0EEEvSO_.num_agpr, 0
	.set _ZN7rocprim17ROCPRIM_400000_NS6detail17trampoline_kernelINS0_14default_configENS1_38merge_sort_block_merge_config_selectorIjN6thrust23THRUST_200600_302600_NS5tupleIffNS6_9null_typeES8_S8_S8_S8_S8_S8_S8_EEEEZZNS1_27merge_sort_block_merge_implIS3_NS6_6detail15normal_iteratorINS6_10device_ptrIjEEEENSD_INSE_IS9_EEEEjNS1_19radix_merge_compareILb0ELb0EjNS0_19identity_decomposerEEEEE10hipError_tT0_T1_T2_jT3_P12ihipStream_tbPNSt15iterator_traitsISN_E10value_typeEPNST_ISO_E10value_typeEPSP_NS1_7vsmem_tEENKUlT_SN_SO_SP_E_clISG_PjSI_PS9_EESM_S12_SN_SO_SP_EUlS12_E1_NS1_11comp_targetILNS1_3genE10ELNS1_11target_archE1201ELNS1_3gpuE5ELNS1_3repE0EEENS1_36merge_oddeven_config_static_selectorELNS0_4arch9wavefront6targetE0EEEvSO_.numbered_sgpr, 0
	.set _ZN7rocprim17ROCPRIM_400000_NS6detail17trampoline_kernelINS0_14default_configENS1_38merge_sort_block_merge_config_selectorIjN6thrust23THRUST_200600_302600_NS5tupleIffNS6_9null_typeES8_S8_S8_S8_S8_S8_S8_EEEEZZNS1_27merge_sort_block_merge_implIS3_NS6_6detail15normal_iteratorINS6_10device_ptrIjEEEENSD_INSE_IS9_EEEEjNS1_19radix_merge_compareILb0ELb0EjNS0_19identity_decomposerEEEEE10hipError_tT0_T1_T2_jT3_P12ihipStream_tbPNSt15iterator_traitsISN_E10value_typeEPNST_ISO_E10value_typeEPSP_NS1_7vsmem_tEENKUlT_SN_SO_SP_E_clISG_PjSI_PS9_EESM_S12_SN_SO_SP_EUlS12_E1_NS1_11comp_targetILNS1_3genE10ELNS1_11target_archE1201ELNS1_3gpuE5ELNS1_3repE0EEENS1_36merge_oddeven_config_static_selectorELNS0_4arch9wavefront6targetE0EEEvSO_.num_named_barrier, 0
	.set _ZN7rocprim17ROCPRIM_400000_NS6detail17trampoline_kernelINS0_14default_configENS1_38merge_sort_block_merge_config_selectorIjN6thrust23THRUST_200600_302600_NS5tupleIffNS6_9null_typeES8_S8_S8_S8_S8_S8_S8_EEEEZZNS1_27merge_sort_block_merge_implIS3_NS6_6detail15normal_iteratorINS6_10device_ptrIjEEEENSD_INSE_IS9_EEEEjNS1_19radix_merge_compareILb0ELb0EjNS0_19identity_decomposerEEEEE10hipError_tT0_T1_T2_jT3_P12ihipStream_tbPNSt15iterator_traitsISN_E10value_typeEPNST_ISO_E10value_typeEPSP_NS1_7vsmem_tEENKUlT_SN_SO_SP_E_clISG_PjSI_PS9_EESM_S12_SN_SO_SP_EUlS12_E1_NS1_11comp_targetILNS1_3genE10ELNS1_11target_archE1201ELNS1_3gpuE5ELNS1_3repE0EEENS1_36merge_oddeven_config_static_selectorELNS0_4arch9wavefront6targetE0EEEvSO_.private_seg_size, 0
	.set _ZN7rocprim17ROCPRIM_400000_NS6detail17trampoline_kernelINS0_14default_configENS1_38merge_sort_block_merge_config_selectorIjN6thrust23THRUST_200600_302600_NS5tupleIffNS6_9null_typeES8_S8_S8_S8_S8_S8_S8_EEEEZZNS1_27merge_sort_block_merge_implIS3_NS6_6detail15normal_iteratorINS6_10device_ptrIjEEEENSD_INSE_IS9_EEEEjNS1_19radix_merge_compareILb0ELb0EjNS0_19identity_decomposerEEEEE10hipError_tT0_T1_T2_jT3_P12ihipStream_tbPNSt15iterator_traitsISN_E10value_typeEPNST_ISO_E10value_typeEPSP_NS1_7vsmem_tEENKUlT_SN_SO_SP_E_clISG_PjSI_PS9_EESM_S12_SN_SO_SP_EUlS12_E1_NS1_11comp_targetILNS1_3genE10ELNS1_11target_archE1201ELNS1_3gpuE5ELNS1_3repE0EEENS1_36merge_oddeven_config_static_selectorELNS0_4arch9wavefront6targetE0EEEvSO_.uses_vcc, 0
	.set _ZN7rocprim17ROCPRIM_400000_NS6detail17trampoline_kernelINS0_14default_configENS1_38merge_sort_block_merge_config_selectorIjN6thrust23THRUST_200600_302600_NS5tupleIffNS6_9null_typeES8_S8_S8_S8_S8_S8_S8_EEEEZZNS1_27merge_sort_block_merge_implIS3_NS6_6detail15normal_iteratorINS6_10device_ptrIjEEEENSD_INSE_IS9_EEEEjNS1_19radix_merge_compareILb0ELb0EjNS0_19identity_decomposerEEEEE10hipError_tT0_T1_T2_jT3_P12ihipStream_tbPNSt15iterator_traitsISN_E10value_typeEPNST_ISO_E10value_typeEPSP_NS1_7vsmem_tEENKUlT_SN_SO_SP_E_clISG_PjSI_PS9_EESM_S12_SN_SO_SP_EUlS12_E1_NS1_11comp_targetILNS1_3genE10ELNS1_11target_archE1201ELNS1_3gpuE5ELNS1_3repE0EEENS1_36merge_oddeven_config_static_selectorELNS0_4arch9wavefront6targetE0EEEvSO_.uses_flat_scratch, 0
	.set _ZN7rocprim17ROCPRIM_400000_NS6detail17trampoline_kernelINS0_14default_configENS1_38merge_sort_block_merge_config_selectorIjN6thrust23THRUST_200600_302600_NS5tupleIffNS6_9null_typeES8_S8_S8_S8_S8_S8_S8_EEEEZZNS1_27merge_sort_block_merge_implIS3_NS6_6detail15normal_iteratorINS6_10device_ptrIjEEEENSD_INSE_IS9_EEEEjNS1_19radix_merge_compareILb0ELb0EjNS0_19identity_decomposerEEEEE10hipError_tT0_T1_T2_jT3_P12ihipStream_tbPNSt15iterator_traitsISN_E10value_typeEPNST_ISO_E10value_typeEPSP_NS1_7vsmem_tEENKUlT_SN_SO_SP_E_clISG_PjSI_PS9_EESM_S12_SN_SO_SP_EUlS12_E1_NS1_11comp_targetILNS1_3genE10ELNS1_11target_archE1201ELNS1_3gpuE5ELNS1_3repE0EEENS1_36merge_oddeven_config_static_selectorELNS0_4arch9wavefront6targetE0EEEvSO_.has_dyn_sized_stack, 0
	.set _ZN7rocprim17ROCPRIM_400000_NS6detail17trampoline_kernelINS0_14default_configENS1_38merge_sort_block_merge_config_selectorIjN6thrust23THRUST_200600_302600_NS5tupleIffNS6_9null_typeES8_S8_S8_S8_S8_S8_S8_EEEEZZNS1_27merge_sort_block_merge_implIS3_NS6_6detail15normal_iteratorINS6_10device_ptrIjEEEENSD_INSE_IS9_EEEEjNS1_19radix_merge_compareILb0ELb0EjNS0_19identity_decomposerEEEEE10hipError_tT0_T1_T2_jT3_P12ihipStream_tbPNSt15iterator_traitsISN_E10value_typeEPNST_ISO_E10value_typeEPSP_NS1_7vsmem_tEENKUlT_SN_SO_SP_E_clISG_PjSI_PS9_EESM_S12_SN_SO_SP_EUlS12_E1_NS1_11comp_targetILNS1_3genE10ELNS1_11target_archE1201ELNS1_3gpuE5ELNS1_3repE0EEENS1_36merge_oddeven_config_static_selectorELNS0_4arch9wavefront6targetE0EEEvSO_.has_recursion, 0
	.set _ZN7rocprim17ROCPRIM_400000_NS6detail17trampoline_kernelINS0_14default_configENS1_38merge_sort_block_merge_config_selectorIjN6thrust23THRUST_200600_302600_NS5tupleIffNS6_9null_typeES8_S8_S8_S8_S8_S8_S8_EEEEZZNS1_27merge_sort_block_merge_implIS3_NS6_6detail15normal_iteratorINS6_10device_ptrIjEEEENSD_INSE_IS9_EEEEjNS1_19radix_merge_compareILb0ELb0EjNS0_19identity_decomposerEEEEE10hipError_tT0_T1_T2_jT3_P12ihipStream_tbPNSt15iterator_traitsISN_E10value_typeEPNST_ISO_E10value_typeEPSP_NS1_7vsmem_tEENKUlT_SN_SO_SP_E_clISG_PjSI_PS9_EESM_S12_SN_SO_SP_EUlS12_E1_NS1_11comp_targetILNS1_3genE10ELNS1_11target_archE1201ELNS1_3gpuE5ELNS1_3repE0EEENS1_36merge_oddeven_config_static_selectorELNS0_4arch9wavefront6targetE0EEEvSO_.has_indirect_call, 0
	.section	.AMDGPU.csdata,"",@progbits
; Kernel info:
; codeLenInByte = 0
; TotalNumSgprs: 0
; NumVgprs: 0
; ScratchSize: 0
; MemoryBound: 0
; FloatMode: 240
; IeeeMode: 1
; LDSByteSize: 0 bytes/workgroup (compile time only)
; SGPRBlocks: 0
; VGPRBlocks: 0
; NumSGPRsForWavesPerEU: 1
; NumVGPRsForWavesPerEU: 1
; NamedBarCnt: 0
; Occupancy: 16
; WaveLimiterHint : 0
; COMPUTE_PGM_RSRC2:SCRATCH_EN: 0
; COMPUTE_PGM_RSRC2:USER_SGPR: 2
; COMPUTE_PGM_RSRC2:TRAP_HANDLER: 0
; COMPUTE_PGM_RSRC2:TGID_X_EN: 1
; COMPUTE_PGM_RSRC2:TGID_Y_EN: 0
; COMPUTE_PGM_RSRC2:TGID_Z_EN: 0
; COMPUTE_PGM_RSRC2:TIDIG_COMP_CNT: 0
	.section	.text._ZN7rocprim17ROCPRIM_400000_NS6detail17trampoline_kernelINS0_14default_configENS1_38merge_sort_block_merge_config_selectorIjN6thrust23THRUST_200600_302600_NS5tupleIffNS6_9null_typeES8_S8_S8_S8_S8_S8_S8_EEEEZZNS1_27merge_sort_block_merge_implIS3_NS6_6detail15normal_iteratorINS6_10device_ptrIjEEEENSD_INSE_IS9_EEEEjNS1_19radix_merge_compareILb0ELb0EjNS0_19identity_decomposerEEEEE10hipError_tT0_T1_T2_jT3_P12ihipStream_tbPNSt15iterator_traitsISN_E10value_typeEPNST_ISO_E10value_typeEPSP_NS1_7vsmem_tEENKUlT_SN_SO_SP_E_clISG_PjSI_PS9_EESM_S12_SN_SO_SP_EUlS12_E1_NS1_11comp_targetILNS1_3genE5ELNS1_11target_archE942ELNS1_3gpuE9ELNS1_3repE0EEENS1_36merge_oddeven_config_static_selectorELNS0_4arch9wavefront6targetE0EEEvSO_,"axG",@progbits,_ZN7rocprim17ROCPRIM_400000_NS6detail17trampoline_kernelINS0_14default_configENS1_38merge_sort_block_merge_config_selectorIjN6thrust23THRUST_200600_302600_NS5tupleIffNS6_9null_typeES8_S8_S8_S8_S8_S8_S8_EEEEZZNS1_27merge_sort_block_merge_implIS3_NS6_6detail15normal_iteratorINS6_10device_ptrIjEEEENSD_INSE_IS9_EEEEjNS1_19radix_merge_compareILb0ELb0EjNS0_19identity_decomposerEEEEE10hipError_tT0_T1_T2_jT3_P12ihipStream_tbPNSt15iterator_traitsISN_E10value_typeEPNST_ISO_E10value_typeEPSP_NS1_7vsmem_tEENKUlT_SN_SO_SP_E_clISG_PjSI_PS9_EESM_S12_SN_SO_SP_EUlS12_E1_NS1_11comp_targetILNS1_3genE5ELNS1_11target_archE942ELNS1_3gpuE9ELNS1_3repE0EEENS1_36merge_oddeven_config_static_selectorELNS0_4arch9wavefront6targetE0EEEvSO_,comdat
	.protected	_ZN7rocprim17ROCPRIM_400000_NS6detail17trampoline_kernelINS0_14default_configENS1_38merge_sort_block_merge_config_selectorIjN6thrust23THRUST_200600_302600_NS5tupleIffNS6_9null_typeES8_S8_S8_S8_S8_S8_S8_EEEEZZNS1_27merge_sort_block_merge_implIS3_NS6_6detail15normal_iteratorINS6_10device_ptrIjEEEENSD_INSE_IS9_EEEEjNS1_19radix_merge_compareILb0ELb0EjNS0_19identity_decomposerEEEEE10hipError_tT0_T1_T2_jT3_P12ihipStream_tbPNSt15iterator_traitsISN_E10value_typeEPNST_ISO_E10value_typeEPSP_NS1_7vsmem_tEENKUlT_SN_SO_SP_E_clISG_PjSI_PS9_EESM_S12_SN_SO_SP_EUlS12_E1_NS1_11comp_targetILNS1_3genE5ELNS1_11target_archE942ELNS1_3gpuE9ELNS1_3repE0EEENS1_36merge_oddeven_config_static_selectorELNS0_4arch9wavefront6targetE0EEEvSO_ ; -- Begin function _ZN7rocprim17ROCPRIM_400000_NS6detail17trampoline_kernelINS0_14default_configENS1_38merge_sort_block_merge_config_selectorIjN6thrust23THRUST_200600_302600_NS5tupleIffNS6_9null_typeES8_S8_S8_S8_S8_S8_S8_EEEEZZNS1_27merge_sort_block_merge_implIS3_NS6_6detail15normal_iteratorINS6_10device_ptrIjEEEENSD_INSE_IS9_EEEEjNS1_19radix_merge_compareILb0ELb0EjNS0_19identity_decomposerEEEEE10hipError_tT0_T1_T2_jT3_P12ihipStream_tbPNSt15iterator_traitsISN_E10value_typeEPNST_ISO_E10value_typeEPSP_NS1_7vsmem_tEENKUlT_SN_SO_SP_E_clISG_PjSI_PS9_EESM_S12_SN_SO_SP_EUlS12_E1_NS1_11comp_targetILNS1_3genE5ELNS1_11target_archE942ELNS1_3gpuE9ELNS1_3repE0EEENS1_36merge_oddeven_config_static_selectorELNS0_4arch9wavefront6targetE0EEEvSO_
	.globl	_ZN7rocprim17ROCPRIM_400000_NS6detail17trampoline_kernelINS0_14default_configENS1_38merge_sort_block_merge_config_selectorIjN6thrust23THRUST_200600_302600_NS5tupleIffNS6_9null_typeES8_S8_S8_S8_S8_S8_S8_EEEEZZNS1_27merge_sort_block_merge_implIS3_NS6_6detail15normal_iteratorINS6_10device_ptrIjEEEENSD_INSE_IS9_EEEEjNS1_19radix_merge_compareILb0ELb0EjNS0_19identity_decomposerEEEEE10hipError_tT0_T1_T2_jT3_P12ihipStream_tbPNSt15iterator_traitsISN_E10value_typeEPNST_ISO_E10value_typeEPSP_NS1_7vsmem_tEENKUlT_SN_SO_SP_E_clISG_PjSI_PS9_EESM_S12_SN_SO_SP_EUlS12_E1_NS1_11comp_targetILNS1_3genE5ELNS1_11target_archE942ELNS1_3gpuE9ELNS1_3repE0EEENS1_36merge_oddeven_config_static_selectorELNS0_4arch9wavefront6targetE0EEEvSO_
	.p2align	8
	.type	_ZN7rocprim17ROCPRIM_400000_NS6detail17trampoline_kernelINS0_14default_configENS1_38merge_sort_block_merge_config_selectorIjN6thrust23THRUST_200600_302600_NS5tupleIffNS6_9null_typeES8_S8_S8_S8_S8_S8_S8_EEEEZZNS1_27merge_sort_block_merge_implIS3_NS6_6detail15normal_iteratorINS6_10device_ptrIjEEEENSD_INSE_IS9_EEEEjNS1_19radix_merge_compareILb0ELb0EjNS0_19identity_decomposerEEEEE10hipError_tT0_T1_T2_jT3_P12ihipStream_tbPNSt15iterator_traitsISN_E10value_typeEPNST_ISO_E10value_typeEPSP_NS1_7vsmem_tEENKUlT_SN_SO_SP_E_clISG_PjSI_PS9_EESM_S12_SN_SO_SP_EUlS12_E1_NS1_11comp_targetILNS1_3genE5ELNS1_11target_archE942ELNS1_3gpuE9ELNS1_3repE0EEENS1_36merge_oddeven_config_static_selectorELNS0_4arch9wavefront6targetE0EEEvSO_,@function
_ZN7rocprim17ROCPRIM_400000_NS6detail17trampoline_kernelINS0_14default_configENS1_38merge_sort_block_merge_config_selectorIjN6thrust23THRUST_200600_302600_NS5tupleIffNS6_9null_typeES8_S8_S8_S8_S8_S8_S8_EEEEZZNS1_27merge_sort_block_merge_implIS3_NS6_6detail15normal_iteratorINS6_10device_ptrIjEEEENSD_INSE_IS9_EEEEjNS1_19radix_merge_compareILb0ELb0EjNS0_19identity_decomposerEEEEE10hipError_tT0_T1_T2_jT3_P12ihipStream_tbPNSt15iterator_traitsISN_E10value_typeEPNST_ISO_E10value_typeEPSP_NS1_7vsmem_tEENKUlT_SN_SO_SP_E_clISG_PjSI_PS9_EESM_S12_SN_SO_SP_EUlS12_E1_NS1_11comp_targetILNS1_3genE5ELNS1_11target_archE942ELNS1_3gpuE9ELNS1_3repE0EEENS1_36merge_oddeven_config_static_selectorELNS0_4arch9wavefront6targetE0EEEvSO_: ; @_ZN7rocprim17ROCPRIM_400000_NS6detail17trampoline_kernelINS0_14default_configENS1_38merge_sort_block_merge_config_selectorIjN6thrust23THRUST_200600_302600_NS5tupleIffNS6_9null_typeES8_S8_S8_S8_S8_S8_S8_EEEEZZNS1_27merge_sort_block_merge_implIS3_NS6_6detail15normal_iteratorINS6_10device_ptrIjEEEENSD_INSE_IS9_EEEEjNS1_19radix_merge_compareILb0ELb0EjNS0_19identity_decomposerEEEEE10hipError_tT0_T1_T2_jT3_P12ihipStream_tbPNSt15iterator_traitsISN_E10value_typeEPNST_ISO_E10value_typeEPSP_NS1_7vsmem_tEENKUlT_SN_SO_SP_E_clISG_PjSI_PS9_EESM_S12_SN_SO_SP_EUlS12_E1_NS1_11comp_targetILNS1_3genE5ELNS1_11target_archE942ELNS1_3gpuE9ELNS1_3repE0EEENS1_36merge_oddeven_config_static_selectorELNS0_4arch9wavefront6targetE0EEEvSO_
; %bb.0:
	.section	.rodata,"a",@progbits
	.p2align	6, 0x0
	.amdhsa_kernel _ZN7rocprim17ROCPRIM_400000_NS6detail17trampoline_kernelINS0_14default_configENS1_38merge_sort_block_merge_config_selectorIjN6thrust23THRUST_200600_302600_NS5tupleIffNS6_9null_typeES8_S8_S8_S8_S8_S8_S8_EEEEZZNS1_27merge_sort_block_merge_implIS3_NS6_6detail15normal_iteratorINS6_10device_ptrIjEEEENSD_INSE_IS9_EEEEjNS1_19radix_merge_compareILb0ELb0EjNS0_19identity_decomposerEEEEE10hipError_tT0_T1_T2_jT3_P12ihipStream_tbPNSt15iterator_traitsISN_E10value_typeEPNST_ISO_E10value_typeEPSP_NS1_7vsmem_tEENKUlT_SN_SO_SP_E_clISG_PjSI_PS9_EESM_S12_SN_SO_SP_EUlS12_E1_NS1_11comp_targetILNS1_3genE5ELNS1_11target_archE942ELNS1_3gpuE9ELNS1_3repE0EEENS1_36merge_oddeven_config_static_selectorELNS0_4arch9wavefront6targetE0EEEvSO_
		.amdhsa_group_segment_fixed_size 0
		.amdhsa_private_segment_fixed_size 0
		.amdhsa_kernarg_size 48
		.amdhsa_user_sgpr_count 2
		.amdhsa_user_sgpr_dispatch_ptr 0
		.amdhsa_user_sgpr_queue_ptr 0
		.amdhsa_user_sgpr_kernarg_segment_ptr 1
		.amdhsa_user_sgpr_dispatch_id 0
		.amdhsa_user_sgpr_kernarg_preload_length 0
		.amdhsa_user_sgpr_kernarg_preload_offset 0
		.amdhsa_user_sgpr_private_segment_size 0
		.amdhsa_wavefront_size32 1
		.amdhsa_uses_dynamic_stack 0
		.amdhsa_enable_private_segment 0
		.amdhsa_system_sgpr_workgroup_id_x 1
		.amdhsa_system_sgpr_workgroup_id_y 0
		.amdhsa_system_sgpr_workgroup_id_z 0
		.amdhsa_system_sgpr_workgroup_info 0
		.amdhsa_system_vgpr_workitem_id 0
		.amdhsa_next_free_vgpr 1
		.amdhsa_next_free_sgpr 1
		.amdhsa_named_barrier_count 0
		.amdhsa_reserve_vcc 0
		.amdhsa_float_round_mode_32 0
		.amdhsa_float_round_mode_16_64 0
		.amdhsa_float_denorm_mode_32 3
		.amdhsa_float_denorm_mode_16_64 3
		.amdhsa_fp16_overflow 0
		.amdhsa_memory_ordered 1
		.amdhsa_forward_progress 1
		.amdhsa_inst_pref_size 0
		.amdhsa_round_robin_scheduling 0
		.amdhsa_exception_fp_ieee_invalid_op 0
		.amdhsa_exception_fp_denorm_src 0
		.amdhsa_exception_fp_ieee_div_zero 0
		.amdhsa_exception_fp_ieee_overflow 0
		.amdhsa_exception_fp_ieee_underflow 0
		.amdhsa_exception_fp_ieee_inexact 0
		.amdhsa_exception_int_div_zero 0
	.end_amdhsa_kernel
	.section	.text._ZN7rocprim17ROCPRIM_400000_NS6detail17trampoline_kernelINS0_14default_configENS1_38merge_sort_block_merge_config_selectorIjN6thrust23THRUST_200600_302600_NS5tupleIffNS6_9null_typeES8_S8_S8_S8_S8_S8_S8_EEEEZZNS1_27merge_sort_block_merge_implIS3_NS6_6detail15normal_iteratorINS6_10device_ptrIjEEEENSD_INSE_IS9_EEEEjNS1_19radix_merge_compareILb0ELb0EjNS0_19identity_decomposerEEEEE10hipError_tT0_T1_T2_jT3_P12ihipStream_tbPNSt15iterator_traitsISN_E10value_typeEPNST_ISO_E10value_typeEPSP_NS1_7vsmem_tEENKUlT_SN_SO_SP_E_clISG_PjSI_PS9_EESM_S12_SN_SO_SP_EUlS12_E1_NS1_11comp_targetILNS1_3genE5ELNS1_11target_archE942ELNS1_3gpuE9ELNS1_3repE0EEENS1_36merge_oddeven_config_static_selectorELNS0_4arch9wavefront6targetE0EEEvSO_,"axG",@progbits,_ZN7rocprim17ROCPRIM_400000_NS6detail17trampoline_kernelINS0_14default_configENS1_38merge_sort_block_merge_config_selectorIjN6thrust23THRUST_200600_302600_NS5tupleIffNS6_9null_typeES8_S8_S8_S8_S8_S8_S8_EEEEZZNS1_27merge_sort_block_merge_implIS3_NS6_6detail15normal_iteratorINS6_10device_ptrIjEEEENSD_INSE_IS9_EEEEjNS1_19radix_merge_compareILb0ELb0EjNS0_19identity_decomposerEEEEE10hipError_tT0_T1_T2_jT3_P12ihipStream_tbPNSt15iterator_traitsISN_E10value_typeEPNST_ISO_E10value_typeEPSP_NS1_7vsmem_tEENKUlT_SN_SO_SP_E_clISG_PjSI_PS9_EESM_S12_SN_SO_SP_EUlS12_E1_NS1_11comp_targetILNS1_3genE5ELNS1_11target_archE942ELNS1_3gpuE9ELNS1_3repE0EEENS1_36merge_oddeven_config_static_selectorELNS0_4arch9wavefront6targetE0EEEvSO_,comdat
.Lfunc_end67:
	.size	_ZN7rocprim17ROCPRIM_400000_NS6detail17trampoline_kernelINS0_14default_configENS1_38merge_sort_block_merge_config_selectorIjN6thrust23THRUST_200600_302600_NS5tupleIffNS6_9null_typeES8_S8_S8_S8_S8_S8_S8_EEEEZZNS1_27merge_sort_block_merge_implIS3_NS6_6detail15normal_iteratorINS6_10device_ptrIjEEEENSD_INSE_IS9_EEEEjNS1_19radix_merge_compareILb0ELb0EjNS0_19identity_decomposerEEEEE10hipError_tT0_T1_T2_jT3_P12ihipStream_tbPNSt15iterator_traitsISN_E10value_typeEPNST_ISO_E10value_typeEPSP_NS1_7vsmem_tEENKUlT_SN_SO_SP_E_clISG_PjSI_PS9_EESM_S12_SN_SO_SP_EUlS12_E1_NS1_11comp_targetILNS1_3genE5ELNS1_11target_archE942ELNS1_3gpuE9ELNS1_3repE0EEENS1_36merge_oddeven_config_static_selectorELNS0_4arch9wavefront6targetE0EEEvSO_, .Lfunc_end67-_ZN7rocprim17ROCPRIM_400000_NS6detail17trampoline_kernelINS0_14default_configENS1_38merge_sort_block_merge_config_selectorIjN6thrust23THRUST_200600_302600_NS5tupleIffNS6_9null_typeES8_S8_S8_S8_S8_S8_S8_EEEEZZNS1_27merge_sort_block_merge_implIS3_NS6_6detail15normal_iteratorINS6_10device_ptrIjEEEENSD_INSE_IS9_EEEEjNS1_19radix_merge_compareILb0ELb0EjNS0_19identity_decomposerEEEEE10hipError_tT0_T1_T2_jT3_P12ihipStream_tbPNSt15iterator_traitsISN_E10value_typeEPNST_ISO_E10value_typeEPSP_NS1_7vsmem_tEENKUlT_SN_SO_SP_E_clISG_PjSI_PS9_EESM_S12_SN_SO_SP_EUlS12_E1_NS1_11comp_targetILNS1_3genE5ELNS1_11target_archE942ELNS1_3gpuE9ELNS1_3repE0EEENS1_36merge_oddeven_config_static_selectorELNS0_4arch9wavefront6targetE0EEEvSO_
                                        ; -- End function
	.set _ZN7rocprim17ROCPRIM_400000_NS6detail17trampoline_kernelINS0_14default_configENS1_38merge_sort_block_merge_config_selectorIjN6thrust23THRUST_200600_302600_NS5tupleIffNS6_9null_typeES8_S8_S8_S8_S8_S8_S8_EEEEZZNS1_27merge_sort_block_merge_implIS3_NS6_6detail15normal_iteratorINS6_10device_ptrIjEEEENSD_INSE_IS9_EEEEjNS1_19radix_merge_compareILb0ELb0EjNS0_19identity_decomposerEEEEE10hipError_tT0_T1_T2_jT3_P12ihipStream_tbPNSt15iterator_traitsISN_E10value_typeEPNST_ISO_E10value_typeEPSP_NS1_7vsmem_tEENKUlT_SN_SO_SP_E_clISG_PjSI_PS9_EESM_S12_SN_SO_SP_EUlS12_E1_NS1_11comp_targetILNS1_3genE5ELNS1_11target_archE942ELNS1_3gpuE9ELNS1_3repE0EEENS1_36merge_oddeven_config_static_selectorELNS0_4arch9wavefront6targetE0EEEvSO_.num_vgpr, 0
	.set _ZN7rocprim17ROCPRIM_400000_NS6detail17trampoline_kernelINS0_14default_configENS1_38merge_sort_block_merge_config_selectorIjN6thrust23THRUST_200600_302600_NS5tupleIffNS6_9null_typeES8_S8_S8_S8_S8_S8_S8_EEEEZZNS1_27merge_sort_block_merge_implIS3_NS6_6detail15normal_iteratorINS6_10device_ptrIjEEEENSD_INSE_IS9_EEEEjNS1_19radix_merge_compareILb0ELb0EjNS0_19identity_decomposerEEEEE10hipError_tT0_T1_T2_jT3_P12ihipStream_tbPNSt15iterator_traitsISN_E10value_typeEPNST_ISO_E10value_typeEPSP_NS1_7vsmem_tEENKUlT_SN_SO_SP_E_clISG_PjSI_PS9_EESM_S12_SN_SO_SP_EUlS12_E1_NS1_11comp_targetILNS1_3genE5ELNS1_11target_archE942ELNS1_3gpuE9ELNS1_3repE0EEENS1_36merge_oddeven_config_static_selectorELNS0_4arch9wavefront6targetE0EEEvSO_.num_agpr, 0
	.set _ZN7rocprim17ROCPRIM_400000_NS6detail17trampoline_kernelINS0_14default_configENS1_38merge_sort_block_merge_config_selectorIjN6thrust23THRUST_200600_302600_NS5tupleIffNS6_9null_typeES8_S8_S8_S8_S8_S8_S8_EEEEZZNS1_27merge_sort_block_merge_implIS3_NS6_6detail15normal_iteratorINS6_10device_ptrIjEEEENSD_INSE_IS9_EEEEjNS1_19radix_merge_compareILb0ELb0EjNS0_19identity_decomposerEEEEE10hipError_tT0_T1_T2_jT3_P12ihipStream_tbPNSt15iterator_traitsISN_E10value_typeEPNST_ISO_E10value_typeEPSP_NS1_7vsmem_tEENKUlT_SN_SO_SP_E_clISG_PjSI_PS9_EESM_S12_SN_SO_SP_EUlS12_E1_NS1_11comp_targetILNS1_3genE5ELNS1_11target_archE942ELNS1_3gpuE9ELNS1_3repE0EEENS1_36merge_oddeven_config_static_selectorELNS0_4arch9wavefront6targetE0EEEvSO_.numbered_sgpr, 0
	.set _ZN7rocprim17ROCPRIM_400000_NS6detail17trampoline_kernelINS0_14default_configENS1_38merge_sort_block_merge_config_selectorIjN6thrust23THRUST_200600_302600_NS5tupleIffNS6_9null_typeES8_S8_S8_S8_S8_S8_S8_EEEEZZNS1_27merge_sort_block_merge_implIS3_NS6_6detail15normal_iteratorINS6_10device_ptrIjEEEENSD_INSE_IS9_EEEEjNS1_19radix_merge_compareILb0ELb0EjNS0_19identity_decomposerEEEEE10hipError_tT0_T1_T2_jT3_P12ihipStream_tbPNSt15iterator_traitsISN_E10value_typeEPNST_ISO_E10value_typeEPSP_NS1_7vsmem_tEENKUlT_SN_SO_SP_E_clISG_PjSI_PS9_EESM_S12_SN_SO_SP_EUlS12_E1_NS1_11comp_targetILNS1_3genE5ELNS1_11target_archE942ELNS1_3gpuE9ELNS1_3repE0EEENS1_36merge_oddeven_config_static_selectorELNS0_4arch9wavefront6targetE0EEEvSO_.num_named_barrier, 0
	.set _ZN7rocprim17ROCPRIM_400000_NS6detail17trampoline_kernelINS0_14default_configENS1_38merge_sort_block_merge_config_selectorIjN6thrust23THRUST_200600_302600_NS5tupleIffNS6_9null_typeES8_S8_S8_S8_S8_S8_S8_EEEEZZNS1_27merge_sort_block_merge_implIS3_NS6_6detail15normal_iteratorINS6_10device_ptrIjEEEENSD_INSE_IS9_EEEEjNS1_19radix_merge_compareILb0ELb0EjNS0_19identity_decomposerEEEEE10hipError_tT0_T1_T2_jT3_P12ihipStream_tbPNSt15iterator_traitsISN_E10value_typeEPNST_ISO_E10value_typeEPSP_NS1_7vsmem_tEENKUlT_SN_SO_SP_E_clISG_PjSI_PS9_EESM_S12_SN_SO_SP_EUlS12_E1_NS1_11comp_targetILNS1_3genE5ELNS1_11target_archE942ELNS1_3gpuE9ELNS1_3repE0EEENS1_36merge_oddeven_config_static_selectorELNS0_4arch9wavefront6targetE0EEEvSO_.private_seg_size, 0
	.set _ZN7rocprim17ROCPRIM_400000_NS6detail17trampoline_kernelINS0_14default_configENS1_38merge_sort_block_merge_config_selectorIjN6thrust23THRUST_200600_302600_NS5tupleIffNS6_9null_typeES8_S8_S8_S8_S8_S8_S8_EEEEZZNS1_27merge_sort_block_merge_implIS3_NS6_6detail15normal_iteratorINS6_10device_ptrIjEEEENSD_INSE_IS9_EEEEjNS1_19radix_merge_compareILb0ELb0EjNS0_19identity_decomposerEEEEE10hipError_tT0_T1_T2_jT3_P12ihipStream_tbPNSt15iterator_traitsISN_E10value_typeEPNST_ISO_E10value_typeEPSP_NS1_7vsmem_tEENKUlT_SN_SO_SP_E_clISG_PjSI_PS9_EESM_S12_SN_SO_SP_EUlS12_E1_NS1_11comp_targetILNS1_3genE5ELNS1_11target_archE942ELNS1_3gpuE9ELNS1_3repE0EEENS1_36merge_oddeven_config_static_selectorELNS0_4arch9wavefront6targetE0EEEvSO_.uses_vcc, 0
	.set _ZN7rocprim17ROCPRIM_400000_NS6detail17trampoline_kernelINS0_14default_configENS1_38merge_sort_block_merge_config_selectorIjN6thrust23THRUST_200600_302600_NS5tupleIffNS6_9null_typeES8_S8_S8_S8_S8_S8_S8_EEEEZZNS1_27merge_sort_block_merge_implIS3_NS6_6detail15normal_iteratorINS6_10device_ptrIjEEEENSD_INSE_IS9_EEEEjNS1_19radix_merge_compareILb0ELb0EjNS0_19identity_decomposerEEEEE10hipError_tT0_T1_T2_jT3_P12ihipStream_tbPNSt15iterator_traitsISN_E10value_typeEPNST_ISO_E10value_typeEPSP_NS1_7vsmem_tEENKUlT_SN_SO_SP_E_clISG_PjSI_PS9_EESM_S12_SN_SO_SP_EUlS12_E1_NS1_11comp_targetILNS1_3genE5ELNS1_11target_archE942ELNS1_3gpuE9ELNS1_3repE0EEENS1_36merge_oddeven_config_static_selectorELNS0_4arch9wavefront6targetE0EEEvSO_.uses_flat_scratch, 0
	.set _ZN7rocprim17ROCPRIM_400000_NS6detail17trampoline_kernelINS0_14default_configENS1_38merge_sort_block_merge_config_selectorIjN6thrust23THRUST_200600_302600_NS5tupleIffNS6_9null_typeES8_S8_S8_S8_S8_S8_S8_EEEEZZNS1_27merge_sort_block_merge_implIS3_NS6_6detail15normal_iteratorINS6_10device_ptrIjEEEENSD_INSE_IS9_EEEEjNS1_19radix_merge_compareILb0ELb0EjNS0_19identity_decomposerEEEEE10hipError_tT0_T1_T2_jT3_P12ihipStream_tbPNSt15iterator_traitsISN_E10value_typeEPNST_ISO_E10value_typeEPSP_NS1_7vsmem_tEENKUlT_SN_SO_SP_E_clISG_PjSI_PS9_EESM_S12_SN_SO_SP_EUlS12_E1_NS1_11comp_targetILNS1_3genE5ELNS1_11target_archE942ELNS1_3gpuE9ELNS1_3repE0EEENS1_36merge_oddeven_config_static_selectorELNS0_4arch9wavefront6targetE0EEEvSO_.has_dyn_sized_stack, 0
	.set _ZN7rocprim17ROCPRIM_400000_NS6detail17trampoline_kernelINS0_14default_configENS1_38merge_sort_block_merge_config_selectorIjN6thrust23THRUST_200600_302600_NS5tupleIffNS6_9null_typeES8_S8_S8_S8_S8_S8_S8_EEEEZZNS1_27merge_sort_block_merge_implIS3_NS6_6detail15normal_iteratorINS6_10device_ptrIjEEEENSD_INSE_IS9_EEEEjNS1_19radix_merge_compareILb0ELb0EjNS0_19identity_decomposerEEEEE10hipError_tT0_T1_T2_jT3_P12ihipStream_tbPNSt15iterator_traitsISN_E10value_typeEPNST_ISO_E10value_typeEPSP_NS1_7vsmem_tEENKUlT_SN_SO_SP_E_clISG_PjSI_PS9_EESM_S12_SN_SO_SP_EUlS12_E1_NS1_11comp_targetILNS1_3genE5ELNS1_11target_archE942ELNS1_3gpuE9ELNS1_3repE0EEENS1_36merge_oddeven_config_static_selectorELNS0_4arch9wavefront6targetE0EEEvSO_.has_recursion, 0
	.set _ZN7rocprim17ROCPRIM_400000_NS6detail17trampoline_kernelINS0_14default_configENS1_38merge_sort_block_merge_config_selectorIjN6thrust23THRUST_200600_302600_NS5tupleIffNS6_9null_typeES8_S8_S8_S8_S8_S8_S8_EEEEZZNS1_27merge_sort_block_merge_implIS3_NS6_6detail15normal_iteratorINS6_10device_ptrIjEEEENSD_INSE_IS9_EEEEjNS1_19radix_merge_compareILb0ELb0EjNS0_19identity_decomposerEEEEE10hipError_tT0_T1_T2_jT3_P12ihipStream_tbPNSt15iterator_traitsISN_E10value_typeEPNST_ISO_E10value_typeEPSP_NS1_7vsmem_tEENKUlT_SN_SO_SP_E_clISG_PjSI_PS9_EESM_S12_SN_SO_SP_EUlS12_E1_NS1_11comp_targetILNS1_3genE5ELNS1_11target_archE942ELNS1_3gpuE9ELNS1_3repE0EEENS1_36merge_oddeven_config_static_selectorELNS0_4arch9wavefront6targetE0EEEvSO_.has_indirect_call, 0
	.section	.AMDGPU.csdata,"",@progbits
; Kernel info:
; codeLenInByte = 0
; TotalNumSgprs: 0
; NumVgprs: 0
; ScratchSize: 0
; MemoryBound: 0
; FloatMode: 240
; IeeeMode: 1
; LDSByteSize: 0 bytes/workgroup (compile time only)
; SGPRBlocks: 0
; VGPRBlocks: 0
; NumSGPRsForWavesPerEU: 1
; NumVGPRsForWavesPerEU: 1
; NamedBarCnt: 0
; Occupancy: 16
; WaveLimiterHint : 0
; COMPUTE_PGM_RSRC2:SCRATCH_EN: 0
; COMPUTE_PGM_RSRC2:USER_SGPR: 2
; COMPUTE_PGM_RSRC2:TRAP_HANDLER: 0
; COMPUTE_PGM_RSRC2:TGID_X_EN: 1
; COMPUTE_PGM_RSRC2:TGID_Y_EN: 0
; COMPUTE_PGM_RSRC2:TGID_Z_EN: 0
; COMPUTE_PGM_RSRC2:TIDIG_COMP_CNT: 0
	.section	.text._ZN7rocprim17ROCPRIM_400000_NS6detail17trampoline_kernelINS0_14default_configENS1_38merge_sort_block_merge_config_selectorIjN6thrust23THRUST_200600_302600_NS5tupleIffNS6_9null_typeES8_S8_S8_S8_S8_S8_S8_EEEEZZNS1_27merge_sort_block_merge_implIS3_NS6_6detail15normal_iteratorINS6_10device_ptrIjEEEENSD_INSE_IS9_EEEEjNS1_19radix_merge_compareILb0ELb0EjNS0_19identity_decomposerEEEEE10hipError_tT0_T1_T2_jT3_P12ihipStream_tbPNSt15iterator_traitsISN_E10value_typeEPNST_ISO_E10value_typeEPSP_NS1_7vsmem_tEENKUlT_SN_SO_SP_E_clISG_PjSI_PS9_EESM_S12_SN_SO_SP_EUlS12_E1_NS1_11comp_targetILNS1_3genE4ELNS1_11target_archE910ELNS1_3gpuE8ELNS1_3repE0EEENS1_36merge_oddeven_config_static_selectorELNS0_4arch9wavefront6targetE0EEEvSO_,"axG",@progbits,_ZN7rocprim17ROCPRIM_400000_NS6detail17trampoline_kernelINS0_14default_configENS1_38merge_sort_block_merge_config_selectorIjN6thrust23THRUST_200600_302600_NS5tupleIffNS6_9null_typeES8_S8_S8_S8_S8_S8_S8_EEEEZZNS1_27merge_sort_block_merge_implIS3_NS6_6detail15normal_iteratorINS6_10device_ptrIjEEEENSD_INSE_IS9_EEEEjNS1_19radix_merge_compareILb0ELb0EjNS0_19identity_decomposerEEEEE10hipError_tT0_T1_T2_jT3_P12ihipStream_tbPNSt15iterator_traitsISN_E10value_typeEPNST_ISO_E10value_typeEPSP_NS1_7vsmem_tEENKUlT_SN_SO_SP_E_clISG_PjSI_PS9_EESM_S12_SN_SO_SP_EUlS12_E1_NS1_11comp_targetILNS1_3genE4ELNS1_11target_archE910ELNS1_3gpuE8ELNS1_3repE0EEENS1_36merge_oddeven_config_static_selectorELNS0_4arch9wavefront6targetE0EEEvSO_,comdat
	.protected	_ZN7rocprim17ROCPRIM_400000_NS6detail17trampoline_kernelINS0_14default_configENS1_38merge_sort_block_merge_config_selectorIjN6thrust23THRUST_200600_302600_NS5tupleIffNS6_9null_typeES8_S8_S8_S8_S8_S8_S8_EEEEZZNS1_27merge_sort_block_merge_implIS3_NS6_6detail15normal_iteratorINS6_10device_ptrIjEEEENSD_INSE_IS9_EEEEjNS1_19radix_merge_compareILb0ELb0EjNS0_19identity_decomposerEEEEE10hipError_tT0_T1_T2_jT3_P12ihipStream_tbPNSt15iterator_traitsISN_E10value_typeEPNST_ISO_E10value_typeEPSP_NS1_7vsmem_tEENKUlT_SN_SO_SP_E_clISG_PjSI_PS9_EESM_S12_SN_SO_SP_EUlS12_E1_NS1_11comp_targetILNS1_3genE4ELNS1_11target_archE910ELNS1_3gpuE8ELNS1_3repE0EEENS1_36merge_oddeven_config_static_selectorELNS0_4arch9wavefront6targetE0EEEvSO_ ; -- Begin function _ZN7rocprim17ROCPRIM_400000_NS6detail17trampoline_kernelINS0_14default_configENS1_38merge_sort_block_merge_config_selectorIjN6thrust23THRUST_200600_302600_NS5tupleIffNS6_9null_typeES8_S8_S8_S8_S8_S8_S8_EEEEZZNS1_27merge_sort_block_merge_implIS3_NS6_6detail15normal_iteratorINS6_10device_ptrIjEEEENSD_INSE_IS9_EEEEjNS1_19radix_merge_compareILb0ELb0EjNS0_19identity_decomposerEEEEE10hipError_tT0_T1_T2_jT3_P12ihipStream_tbPNSt15iterator_traitsISN_E10value_typeEPNST_ISO_E10value_typeEPSP_NS1_7vsmem_tEENKUlT_SN_SO_SP_E_clISG_PjSI_PS9_EESM_S12_SN_SO_SP_EUlS12_E1_NS1_11comp_targetILNS1_3genE4ELNS1_11target_archE910ELNS1_3gpuE8ELNS1_3repE0EEENS1_36merge_oddeven_config_static_selectorELNS0_4arch9wavefront6targetE0EEEvSO_
	.globl	_ZN7rocprim17ROCPRIM_400000_NS6detail17trampoline_kernelINS0_14default_configENS1_38merge_sort_block_merge_config_selectorIjN6thrust23THRUST_200600_302600_NS5tupleIffNS6_9null_typeES8_S8_S8_S8_S8_S8_S8_EEEEZZNS1_27merge_sort_block_merge_implIS3_NS6_6detail15normal_iteratorINS6_10device_ptrIjEEEENSD_INSE_IS9_EEEEjNS1_19radix_merge_compareILb0ELb0EjNS0_19identity_decomposerEEEEE10hipError_tT0_T1_T2_jT3_P12ihipStream_tbPNSt15iterator_traitsISN_E10value_typeEPNST_ISO_E10value_typeEPSP_NS1_7vsmem_tEENKUlT_SN_SO_SP_E_clISG_PjSI_PS9_EESM_S12_SN_SO_SP_EUlS12_E1_NS1_11comp_targetILNS1_3genE4ELNS1_11target_archE910ELNS1_3gpuE8ELNS1_3repE0EEENS1_36merge_oddeven_config_static_selectorELNS0_4arch9wavefront6targetE0EEEvSO_
	.p2align	8
	.type	_ZN7rocprim17ROCPRIM_400000_NS6detail17trampoline_kernelINS0_14default_configENS1_38merge_sort_block_merge_config_selectorIjN6thrust23THRUST_200600_302600_NS5tupleIffNS6_9null_typeES8_S8_S8_S8_S8_S8_S8_EEEEZZNS1_27merge_sort_block_merge_implIS3_NS6_6detail15normal_iteratorINS6_10device_ptrIjEEEENSD_INSE_IS9_EEEEjNS1_19radix_merge_compareILb0ELb0EjNS0_19identity_decomposerEEEEE10hipError_tT0_T1_T2_jT3_P12ihipStream_tbPNSt15iterator_traitsISN_E10value_typeEPNST_ISO_E10value_typeEPSP_NS1_7vsmem_tEENKUlT_SN_SO_SP_E_clISG_PjSI_PS9_EESM_S12_SN_SO_SP_EUlS12_E1_NS1_11comp_targetILNS1_3genE4ELNS1_11target_archE910ELNS1_3gpuE8ELNS1_3repE0EEENS1_36merge_oddeven_config_static_selectorELNS0_4arch9wavefront6targetE0EEEvSO_,@function
_ZN7rocprim17ROCPRIM_400000_NS6detail17trampoline_kernelINS0_14default_configENS1_38merge_sort_block_merge_config_selectorIjN6thrust23THRUST_200600_302600_NS5tupleIffNS6_9null_typeES8_S8_S8_S8_S8_S8_S8_EEEEZZNS1_27merge_sort_block_merge_implIS3_NS6_6detail15normal_iteratorINS6_10device_ptrIjEEEENSD_INSE_IS9_EEEEjNS1_19radix_merge_compareILb0ELb0EjNS0_19identity_decomposerEEEEE10hipError_tT0_T1_T2_jT3_P12ihipStream_tbPNSt15iterator_traitsISN_E10value_typeEPNST_ISO_E10value_typeEPSP_NS1_7vsmem_tEENKUlT_SN_SO_SP_E_clISG_PjSI_PS9_EESM_S12_SN_SO_SP_EUlS12_E1_NS1_11comp_targetILNS1_3genE4ELNS1_11target_archE910ELNS1_3gpuE8ELNS1_3repE0EEENS1_36merge_oddeven_config_static_selectorELNS0_4arch9wavefront6targetE0EEEvSO_: ; @_ZN7rocprim17ROCPRIM_400000_NS6detail17trampoline_kernelINS0_14default_configENS1_38merge_sort_block_merge_config_selectorIjN6thrust23THRUST_200600_302600_NS5tupleIffNS6_9null_typeES8_S8_S8_S8_S8_S8_S8_EEEEZZNS1_27merge_sort_block_merge_implIS3_NS6_6detail15normal_iteratorINS6_10device_ptrIjEEEENSD_INSE_IS9_EEEEjNS1_19radix_merge_compareILb0ELb0EjNS0_19identity_decomposerEEEEE10hipError_tT0_T1_T2_jT3_P12ihipStream_tbPNSt15iterator_traitsISN_E10value_typeEPNST_ISO_E10value_typeEPSP_NS1_7vsmem_tEENKUlT_SN_SO_SP_E_clISG_PjSI_PS9_EESM_S12_SN_SO_SP_EUlS12_E1_NS1_11comp_targetILNS1_3genE4ELNS1_11target_archE910ELNS1_3gpuE8ELNS1_3repE0EEENS1_36merge_oddeven_config_static_selectorELNS0_4arch9wavefront6targetE0EEEvSO_
; %bb.0:
	.section	.rodata,"a",@progbits
	.p2align	6, 0x0
	.amdhsa_kernel _ZN7rocprim17ROCPRIM_400000_NS6detail17trampoline_kernelINS0_14default_configENS1_38merge_sort_block_merge_config_selectorIjN6thrust23THRUST_200600_302600_NS5tupleIffNS6_9null_typeES8_S8_S8_S8_S8_S8_S8_EEEEZZNS1_27merge_sort_block_merge_implIS3_NS6_6detail15normal_iteratorINS6_10device_ptrIjEEEENSD_INSE_IS9_EEEEjNS1_19radix_merge_compareILb0ELb0EjNS0_19identity_decomposerEEEEE10hipError_tT0_T1_T2_jT3_P12ihipStream_tbPNSt15iterator_traitsISN_E10value_typeEPNST_ISO_E10value_typeEPSP_NS1_7vsmem_tEENKUlT_SN_SO_SP_E_clISG_PjSI_PS9_EESM_S12_SN_SO_SP_EUlS12_E1_NS1_11comp_targetILNS1_3genE4ELNS1_11target_archE910ELNS1_3gpuE8ELNS1_3repE0EEENS1_36merge_oddeven_config_static_selectorELNS0_4arch9wavefront6targetE0EEEvSO_
		.amdhsa_group_segment_fixed_size 0
		.amdhsa_private_segment_fixed_size 0
		.amdhsa_kernarg_size 48
		.amdhsa_user_sgpr_count 2
		.amdhsa_user_sgpr_dispatch_ptr 0
		.amdhsa_user_sgpr_queue_ptr 0
		.amdhsa_user_sgpr_kernarg_segment_ptr 1
		.amdhsa_user_sgpr_dispatch_id 0
		.amdhsa_user_sgpr_kernarg_preload_length 0
		.amdhsa_user_sgpr_kernarg_preload_offset 0
		.amdhsa_user_sgpr_private_segment_size 0
		.amdhsa_wavefront_size32 1
		.amdhsa_uses_dynamic_stack 0
		.amdhsa_enable_private_segment 0
		.amdhsa_system_sgpr_workgroup_id_x 1
		.amdhsa_system_sgpr_workgroup_id_y 0
		.amdhsa_system_sgpr_workgroup_id_z 0
		.amdhsa_system_sgpr_workgroup_info 0
		.amdhsa_system_vgpr_workitem_id 0
		.amdhsa_next_free_vgpr 1
		.amdhsa_next_free_sgpr 1
		.amdhsa_named_barrier_count 0
		.amdhsa_reserve_vcc 0
		.amdhsa_float_round_mode_32 0
		.amdhsa_float_round_mode_16_64 0
		.amdhsa_float_denorm_mode_32 3
		.amdhsa_float_denorm_mode_16_64 3
		.amdhsa_fp16_overflow 0
		.amdhsa_memory_ordered 1
		.amdhsa_forward_progress 1
		.amdhsa_inst_pref_size 0
		.amdhsa_round_robin_scheduling 0
		.amdhsa_exception_fp_ieee_invalid_op 0
		.amdhsa_exception_fp_denorm_src 0
		.amdhsa_exception_fp_ieee_div_zero 0
		.amdhsa_exception_fp_ieee_overflow 0
		.amdhsa_exception_fp_ieee_underflow 0
		.amdhsa_exception_fp_ieee_inexact 0
		.amdhsa_exception_int_div_zero 0
	.end_amdhsa_kernel
	.section	.text._ZN7rocprim17ROCPRIM_400000_NS6detail17trampoline_kernelINS0_14default_configENS1_38merge_sort_block_merge_config_selectorIjN6thrust23THRUST_200600_302600_NS5tupleIffNS6_9null_typeES8_S8_S8_S8_S8_S8_S8_EEEEZZNS1_27merge_sort_block_merge_implIS3_NS6_6detail15normal_iteratorINS6_10device_ptrIjEEEENSD_INSE_IS9_EEEEjNS1_19radix_merge_compareILb0ELb0EjNS0_19identity_decomposerEEEEE10hipError_tT0_T1_T2_jT3_P12ihipStream_tbPNSt15iterator_traitsISN_E10value_typeEPNST_ISO_E10value_typeEPSP_NS1_7vsmem_tEENKUlT_SN_SO_SP_E_clISG_PjSI_PS9_EESM_S12_SN_SO_SP_EUlS12_E1_NS1_11comp_targetILNS1_3genE4ELNS1_11target_archE910ELNS1_3gpuE8ELNS1_3repE0EEENS1_36merge_oddeven_config_static_selectorELNS0_4arch9wavefront6targetE0EEEvSO_,"axG",@progbits,_ZN7rocprim17ROCPRIM_400000_NS6detail17trampoline_kernelINS0_14default_configENS1_38merge_sort_block_merge_config_selectorIjN6thrust23THRUST_200600_302600_NS5tupleIffNS6_9null_typeES8_S8_S8_S8_S8_S8_S8_EEEEZZNS1_27merge_sort_block_merge_implIS3_NS6_6detail15normal_iteratorINS6_10device_ptrIjEEEENSD_INSE_IS9_EEEEjNS1_19radix_merge_compareILb0ELb0EjNS0_19identity_decomposerEEEEE10hipError_tT0_T1_T2_jT3_P12ihipStream_tbPNSt15iterator_traitsISN_E10value_typeEPNST_ISO_E10value_typeEPSP_NS1_7vsmem_tEENKUlT_SN_SO_SP_E_clISG_PjSI_PS9_EESM_S12_SN_SO_SP_EUlS12_E1_NS1_11comp_targetILNS1_3genE4ELNS1_11target_archE910ELNS1_3gpuE8ELNS1_3repE0EEENS1_36merge_oddeven_config_static_selectorELNS0_4arch9wavefront6targetE0EEEvSO_,comdat
.Lfunc_end68:
	.size	_ZN7rocprim17ROCPRIM_400000_NS6detail17trampoline_kernelINS0_14default_configENS1_38merge_sort_block_merge_config_selectorIjN6thrust23THRUST_200600_302600_NS5tupleIffNS6_9null_typeES8_S8_S8_S8_S8_S8_S8_EEEEZZNS1_27merge_sort_block_merge_implIS3_NS6_6detail15normal_iteratorINS6_10device_ptrIjEEEENSD_INSE_IS9_EEEEjNS1_19radix_merge_compareILb0ELb0EjNS0_19identity_decomposerEEEEE10hipError_tT0_T1_T2_jT3_P12ihipStream_tbPNSt15iterator_traitsISN_E10value_typeEPNST_ISO_E10value_typeEPSP_NS1_7vsmem_tEENKUlT_SN_SO_SP_E_clISG_PjSI_PS9_EESM_S12_SN_SO_SP_EUlS12_E1_NS1_11comp_targetILNS1_3genE4ELNS1_11target_archE910ELNS1_3gpuE8ELNS1_3repE0EEENS1_36merge_oddeven_config_static_selectorELNS0_4arch9wavefront6targetE0EEEvSO_, .Lfunc_end68-_ZN7rocprim17ROCPRIM_400000_NS6detail17trampoline_kernelINS0_14default_configENS1_38merge_sort_block_merge_config_selectorIjN6thrust23THRUST_200600_302600_NS5tupleIffNS6_9null_typeES8_S8_S8_S8_S8_S8_S8_EEEEZZNS1_27merge_sort_block_merge_implIS3_NS6_6detail15normal_iteratorINS6_10device_ptrIjEEEENSD_INSE_IS9_EEEEjNS1_19radix_merge_compareILb0ELb0EjNS0_19identity_decomposerEEEEE10hipError_tT0_T1_T2_jT3_P12ihipStream_tbPNSt15iterator_traitsISN_E10value_typeEPNST_ISO_E10value_typeEPSP_NS1_7vsmem_tEENKUlT_SN_SO_SP_E_clISG_PjSI_PS9_EESM_S12_SN_SO_SP_EUlS12_E1_NS1_11comp_targetILNS1_3genE4ELNS1_11target_archE910ELNS1_3gpuE8ELNS1_3repE0EEENS1_36merge_oddeven_config_static_selectorELNS0_4arch9wavefront6targetE0EEEvSO_
                                        ; -- End function
	.set _ZN7rocprim17ROCPRIM_400000_NS6detail17trampoline_kernelINS0_14default_configENS1_38merge_sort_block_merge_config_selectorIjN6thrust23THRUST_200600_302600_NS5tupleIffNS6_9null_typeES8_S8_S8_S8_S8_S8_S8_EEEEZZNS1_27merge_sort_block_merge_implIS3_NS6_6detail15normal_iteratorINS6_10device_ptrIjEEEENSD_INSE_IS9_EEEEjNS1_19radix_merge_compareILb0ELb0EjNS0_19identity_decomposerEEEEE10hipError_tT0_T1_T2_jT3_P12ihipStream_tbPNSt15iterator_traitsISN_E10value_typeEPNST_ISO_E10value_typeEPSP_NS1_7vsmem_tEENKUlT_SN_SO_SP_E_clISG_PjSI_PS9_EESM_S12_SN_SO_SP_EUlS12_E1_NS1_11comp_targetILNS1_3genE4ELNS1_11target_archE910ELNS1_3gpuE8ELNS1_3repE0EEENS1_36merge_oddeven_config_static_selectorELNS0_4arch9wavefront6targetE0EEEvSO_.num_vgpr, 0
	.set _ZN7rocprim17ROCPRIM_400000_NS6detail17trampoline_kernelINS0_14default_configENS1_38merge_sort_block_merge_config_selectorIjN6thrust23THRUST_200600_302600_NS5tupleIffNS6_9null_typeES8_S8_S8_S8_S8_S8_S8_EEEEZZNS1_27merge_sort_block_merge_implIS3_NS6_6detail15normal_iteratorINS6_10device_ptrIjEEEENSD_INSE_IS9_EEEEjNS1_19radix_merge_compareILb0ELb0EjNS0_19identity_decomposerEEEEE10hipError_tT0_T1_T2_jT3_P12ihipStream_tbPNSt15iterator_traitsISN_E10value_typeEPNST_ISO_E10value_typeEPSP_NS1_7vsmem_tEENKUlT_SN_SO_SP_E_clISG_PjSI_PS9_EESM_S12_SN_SO_SP_EUlS12_E1_NS1_11comp_targetILNS1_3genE4ELNS1_11target_archE910ELNS1_3gpuE8ELNS1_3repE0EEENS1_36merge_oddeven_config_static_selectorELNS0_4arch9wavefront6targetE0EEEvSO_.num_agpr, 0
	.set _ZN7rocprim17ROCPRIM_400000_NS6detail17trampoline_kernelINS0_14default_configENS1_38merge_sort_block_merge_config_selectorIjN6thrust23THRUST_200600_302600_NS5tupleIffNS6_9null_typeES8_S8_S8_S8_S8_S8_S8_EEEEZZNS1_27merge_sort_block_merge_implIS3_NS6_6detail15normal_iteratorINS6_10device_ptrIjEEEENSD_INSE_IS9_EEEEjNS1_19radix_merge_compareILb0ELb0EjNS0_19identity_decomposerEEEEE10hipError_tT0_T1_T2_jT3_P12ihipStream_tbPNSt15iterator_traitsISN_E10value_typeEPNST_ISO_E10value_typeEPSP_NS1_7vsmem_tEENKUlT_SN_SO_SP_E_clISG_PjSI_PS9_EESM_S12_SN_SO_SP_EUlS12_E1_NS1_11comp_targetILNS1_3genE4ELNS1_11target_archE910ELNS1_3gpuE8ELNS1_3repE0EEENS1_36merge_oddeven_config_static_selectorELNS0_4arch9wavefront6targetE0EEEvSO_.numbered_sgpr, 0
	.set _ZN7rocprim17ROCPRIM_400000_NS6detail17trampoline_kernelINS0_14default_configENS1_38merge_sort_block_merge_config_selectorIjN6thrust23THRUST_200600_302600_NS5tupleIffNS6_9null_typeES8_S8_S8_S8_S8_S8_S8_EEEEZZNS1_27merge_sort_block_merge_implIS3_NS6_6detail15normal_iteratorINS6_10device_ptrIjEEEENSD_INSE_IS9_EEEEjNS1_19radix_merge_compareILb0ELb0EjNS0_19identity_decomposerEEEEE10hipError_tT0_T1_T2_jT3_P12ihipStream_tbPNSt15iterator_traitsISN_E10value_typeEPNST_ISO_E10value_typeEPSP_NS1_7vsmem_tEENKUlT_SN_SO_SP_E_clISG_PjSI_PS9_EESM_S12_SN_SO_SP_EUlS12_E1_NS1_11comp_targetILNS1_3genE4ELNS1_11target_archE910ELNS1_3gpuE8ELNS1_3repE0EEENS1_36merge_oddeven_config_static_selectorELNS0_4arch9wavefront6targetE0EEEvSO_.num_named_barrier, 0
	.set _ZN7rocprim17ROCPRIM_400000_NS6detail17trampoline_kernelINS0_14default_configENS1_38merge_sort_block_merge_config_selectorIjN6thrust23THRUST_200600_302600_NS5tupleIffNS6_9null_typeES8_S8_S8_S8_S8_S8_S8_EEEEZZNS1_27merge_sort_block_merge_implIS3_NS6_6detail15normal_iteratorINS6_10device_ptrIjEEEENSD_INSE_IS9_EEEEjNS1_19radix_merge_compareILb0ELb0EjNS0_19identity_decomposerEEEEE10hipError_tT0_T1_T2_jT3_P12ihipStream_tbPNSt15iterator_traitsISN_E10value_typeEPNST_ISO_E10value_typeEPSP_NS1_7vsmem_tEENKUlT_SN_SO_SP_E_clISG_PjSI_PS9_EESM_S12_SN_SO_SP_EUlS12_E1_NS1_11comp_targetILNS1_3genE4ELNS1_11target_archE910ELNS1_3gpuE8ELNS1_3repE0EEENS1_36merge_oddeven_config_static_selectorELNS0_4arch9wavefront6targetE0EEEvSO_.private_seg_size, 0
	.set _ZN7rocprim17ROCPRIM_400000_NS6detail17trampoline_kernelINS0_14default_configENS1_38merge_sort_block_merge_config_selectorIjN6thrust23THRUST_200600_302600_NS5tupleIffNS6_9null_typeES8_S8_S8_S8_S8_S8_S8_EEEEZZNS1_27merge_sort_block_merge_implIS3_NS6_6detail15normal_iteratorINS6_10device_ptrIjEEEENSD_INSE_IS9_EEEEjNS1_19radix_merge_compareILb0ELb0EjNS0_19identity_decomposerEEEEE10hipError_tT0_T1_T2_jT3_P12ihipStream_tbPNSt15iterator_traitsISN_E10value_typeEPNST_ISO_E10value_typeEPSP_NS1_7vsmem_tEENKUlT_SN_SO_SP_E_clISG_PjSI_PS9_EESM_S12_SN_SO_SP_EUlS12_E1_NS1_11comp_targetILNS1_3genE4ELNS1_11target_archE910ELNS1_3gpuE8ELNS1_3repE0EEENS1_36merge_oddeven_config_static_selectorELNS0_4arch9wavefront6targetE0EEEvSO_.uses_vcc, 0
	.set _ZN7rocprim17ROCPRIM_400000_NS6detail17trampoline_kernelINS0_14default_configENS1_38merge_sort_block_merge_config_selectorIjN6thrust23THRUST_200600_302600_NS5tupleIffNS6_9null_typeES8_S8_S8_S8_S8_S8_S8_EEEEZZNS1_27merge_sort_block_merge_implIS3_NS6_6detail15normal_iteratorINS6_10device_ptrIjEEEENSD_INSE_IS9_EEEEjNS1_19radix_merge_compareILb0ELb0EjNS0_19identity_decomposerEEEEE10hipError_tT0_T1_T2_jT3_P12ihipStream_tbPNSt15iterator_traitsISN_E10value_typeEPNST_ISO_E10value_typeEPSP_NS1_7vsmem_tEENKUlT_SN_SO_SP_E_clISG_PjSI_PS9_EESM_S12_SN_SO_SP_EUlS12_E1_NS1_11comp_targetILNS1_3genE4ELNS1_11target_archE910ELNS1_3gpuE8ELNS1_3repE0EEENS1_36merge_oddeven_config_static_selectorELNS0_4arch9wavefront6targetE0EEEvSO_.uses_flat_scratch, 0
	.set _ZN7rocprim17ROCPRIM_400000_NS6detail17trampoline_kernelINS0_14default_configENS1_38merge_sort_block_merge_config_selectorIjN6thrust23THRUST_200600_302600_NS5tupleIffNS6_9null_typeES8_S8_S8_S8_S8_S8_S8_EEEEZZNS1_27merge_sort_block_merge_implIS3_NS6_6detail15normal_iteratorINS6_10device_ptrIjEEEENSD_INSE_IS9_EEEEjNS1_19radix_merge_compareILb0ELb0EjNS0_19identity_decomposerEEEEE10hipError_tT0_T1_T2_jT3_P12ihipStream_tbPNSt15iterator_traitsISN_E10value_typeEPNST_ISO_E10value_typeEPSP_NS1_7vsmem_tEENKUlT_SN_SO_SP_E_clISG_PjSI_PS9_EESM_S12_SN_SO_SP_EUlS12_E1_NS1_11comp_targetILNS1_3genE4ELNS1_11target_archE910ELNS1_3gpuE8ELNS1_3repE0EEENS1_36merge_oddeven_config_static_selectorELNS0_4arch9wavefront6targetE0EEEvSO_.has_dyn_sized_stack, 0
	.set _ZN7rocprim17ROCPRIM_400000_NS6detail17trampoline_kernelINS0_14default_configENS1_38merge_sort_block_merge_config_selectorIjN6thrust23THRUST_200600_302600_NS5tupleIffNS6_9null_typeES8_S8_S8_S8_S8_S8_S8_EEEEZZNS1_27merge_sort_block_merge_implIS3_NS6_6detail15normal_iteratorINS6_10device_ptrIjEEEENSD_INSE_IS9_EEEEjNS1_19radix_merge_compareILb0ELb0EjNS0_19identity_decomposerEEEEE10hipError_tT0_T1_T2_jT3_P12ihipStream_tbPNSt15iterator_traitsISN_E10value_typeEPNST_ISO_E10value_typeEPSP_NS1_7vsmem_tEENKUlT_SN_SO_SP_E_clISG_PjSI_PS9_EESM_S12_SN_SO_SP_EUlS12_E1_NS1_11comp_targetILNS1_3genE4ELNS1_11target_archE910ELNS1_3gpuE8ELNS1_3repE0EEENS1_36merge_oddeven_config_static_selectorELNS0_4arch9wavefront6targetE0EEEvSO_.has_recursion, 0
	.set _ZN7rocprim17ROCPRIM_400000_NS6detail17trampoline_kernelINS0_14default_configENS1_38merge_sort_block_merge_config_selectorIjN6thrust23THRUST_200600_302600_NS5tupleIffNS6_9null_typeES8_S8_S8_S8_S8_S8_S8_EEEEZZNS1_27merge_sort_block_merge_implIS3_NS6_6detail15normal_iteratorINS6_10device_ptrIjEEEENSD_INSE_IS9_EEEEjNS1_19radix_merge_compareILb0ELb0EjNS0_19identity_decomposerEEEEE10hipError_tT0_T1_T2_jT3_P12ihipStream_tbPNSt15iterator_traitsISN_E10value_typeEPNST_ISO_E10value_typeEPSP_NS1_7vsmem_tEENKUlT_SN_SO_SP_E_clISG_PjSI_PS9_EESM_S12_SN_SO_SP_EUlS12_E1_NS1_11comp_targetILNS1_3genE4ELNS1_11target_archE910ELNS1_3gpuE8ELNS1_3repE0EEENS1_36merge_oddeven_config_static_selectorELNS0_4arch9wavefront6targetE0EEEvSO_.has_indirect_call, 0
	.section	.AMDGPU.csdata,"",@progbits
; Kernel info:
; codeLenInByte = 0
; TotalNumSgprs: 0
; NumVgprs: 0
; ScratchSize: 0
; MemoryBound: 0
; FloatMode: 240
; IeeeMode: 1
; LDSByteSize: 0 bytes/workgroup (compile time only)
; SGPRBlocks: 0
; VGPRBlocks: 0
; NumSGPRsForWavesPerEU: 1
; NumVGPRsForWavesPerEU: 1
; NamedBarCnt: 0
; Occupancy: 16
; WaveLimiterHint : 0
; COMPUTE_PGM_RSRC2:SCRATCH_EN: 0
; COMPUTE_PGM_RSRC2:USER_SGPR: 2
; COMPUTE_PGM_RSRC2:TRAP_HANDLER: 0
; COMPUTE_PGM_RSRC2:TGID_X_EN: 1
; COMPUTE_PGM_RSRC2:TGID_Y_EN: 0
; COMPUTE_PGM_RSRC2:TGID_Z_EN: 0
; COMPUTE_PGM_RSRC2:TIDIG_COMP_CNT: 0
	.section	.text._ZN7rocprim17ROCPRIM_400000_NS6detail17trampoline_kernelINS0_14default_configENS1_38merge_sort_block_merge_config_selectorIjN6thrust23THRUST_200600_302600_NS5tupleIffNS6_9null_typeES8_S8_S8_S8_S8_S8_S8_EEEEZZNS1_27merge_sort_block_merge_implIS3_NS6_6detail15normal_iteratorINS6_10device_ptrIjEEEENSD_INSE_IS9_EEEEjNS1_19radix_merge_compareILb0ELb0EjNS0_19identity_decomposerEEEEE10hipError_tT0_T1_T2_jT3_P12ihipStream_tbPNSt15iterator_traitsISN_E10value_typeEPNST_ISO_E10value_typeEPSP_NS1_7vsmem_tEENKUlT_SN_SO_SP_E_clISG_PjSI_PS9_EESM_S12_SN_SO_SP_EUlS12_E1_NS1_11comp_targetILNS1_3genE3ELNS1_11target_archE908ELNS1_3gpuE7ELNS1_3repE0EEENS1_36merge_oddeven_config_static_selectorELNS0_4arch9wavefront6targetE0EEEvSO_,"axG",@progbits,_ZN7rocprim17ROCPRIM_400000_NS6detail17trampoline_kernelINS0_14default_configENS1_38merge_sort_block_merge_config_selectorIjN6thrust23THRUST_200600_302600_NS5tupleIffNS6_9null_typeES8_S8_S8_S8_S8_S8_S8_EEEEZZNS1_27merge_sort_block_merge_implIS3_NS6_6detail15normal_iteratorINS6_10device_ptrIjEEEENSD_INSE_IS9_EEEEjNS1_19radix_merge_compareILb0ELb0EjNS0_19identity_decomposerEEEEE10hipError_tT0_T1_T2_jT3_P12ihipStream_tbPNSt15iterator_traitsISN_E10value_typeEPNST_ISO_E10value_typeEPSP_NS1_7vsmem_tEENKUlT_SN_SO_SP_E_clISG_PjSI_PS9_EESM_S12_SN_SO_SP_EUlS12_E1_NS1_11comp_targetILNS1_3genE3ELNS1_11target_archE908ELNS1_3gpuE7ELNS1_3repE0EEENS1_36merge_oddeven_config_static_selectorELNS0_4arch9wavefront6targetE0EEEvSO_,comdat
	.protected	_ZN7rocprim17ROCPRIM_400000_NS6detail17trampoline_kernelINS0_14default_configENS1_38merge_sort_block_merge_config_selectorIjN6thrust23THRUST_200600_302600_NS5tupleIffNS6_9null_typeES8_S8_S8_S8_S8_S8_S8_EEEEZZNS1_27merge_sort_block_merge_implIS3_NS6_6detail15normal_iteratorINS6_10device_ptrIjEEEENSD_INSE_IS9_EEEEjNS1_19radix_merge_compareILb0ELb0EjNS0_19identity_decomposerEEEEE10hipError_tT0_T1_T2_jT3_P12ihipStream_tbPNSt15iterator_traitsISN_E10value_typeEPNST_ISO_E10value_typeEPSP_NS1_7vsmem_tEENKUlT_SN_SO_SP_E_clISG_PjSI_PS9_EESM_S12_SN_SO_SP_EUlS12_E1_NS1_11comp_targetILNS1_3genE3ELNS1_11target_archE908ELNS1_3gpuE7ELNS1_3repE0EEENS1_36merge_oddeven_config_static_selectorELNS0_4arch9wavefront6targetE0EEEvSO_ ; -- Begin function _ZN7rocprim17ROCPRIM_400000_NS6detail17trampoline_kernelINS0_14default_configENS1_38merge_sort_block_merge_config_selectorIjN6thrust23THRUST_200600_302600_NS5tupleIffNS6_9null_typeES8_S8_S8_S8_S8_S8_S8_EEEEZZNS1_27merge_sort_block_merge_implIS3_NS6_6detail15normal_iteratorINS6_10device_ptrIjEEEENSD_INSE_IS9_EEEEjNS1_19radix_merge_compareILb0ELb0EjNS0_19identity_decomposerEEEEE10hipError_tT0_T1_T2_jT3_P12ihipStream_tbPNSt15iterator_traitsISN_E10value_typeEPNST_ISO_E10value_typeEPSP_NS1_7vsmem_tEENKUlT_SN_SO_SP_E_clISG_PjSI_PS9_EESM_S12_SN_SO_SP_EUlS12_E1_NS1_11comp_targetILNS1_3genE3ELNS1_11target_archE908ELNS1_3gpuE7ELNS1_3repE0EEENS1_36merge_oddeven_config_static_selectorELNS0_4arch9wavefront6targetE0EEEvSO_
	.globl	_ZN7rocprim17ROCPRIM_400000_NS6detail17trampoline_kernelINS0_14default_configENS1_38merge_sort_block_merge_config_selectorIjN6thrust23THRUST_200600_302600_NS5tupleIffNS6_9null_typeES8_S8_S8_S8_S8_S8_S8_EEEEZZNS1_27merge_sort_block_merge_implIS3_NS6_6detail15normal_iteratorINS6_10device_ptrIjEEEENSD_INSE_IS9_EEEEjNS1_19radix_merge_compareILb0ELb0EjNS0_19identity_decomposerEEEEE10hipError_tT0_T1_T2_jT3_P12ihipStream_tbPNSt15iterator_traitsISN_E10value_typeEPNST_ISO_E10value_typeEPSP_NS1_7vsmem_tEENKUlT_SN_SO_SP_E_clISG_PjSI_PS9_EESM_S12_SN_SO_SP_EUlS12_E1_NS1_11comp_targetILNS1_3genE3ELNS1_11target_archE908ELNS1_3gpuE7ELNS1_3repE0EEENS1_36merge_oddeven_config_static_selectorELNS0_4arch9wavefront6targetE0EEEvSO_
	.p2align	8
	.type	_ZN7rocprim17ROCPRIM_400000_NS6detail17trampoline_kernelINS0_14default_configENS1_38merge_sort_block_merge_config_selectorIjN6thrust23THRUST_200600_302600_NS5tupleIffNS6_9null_typeES8_S8_S8_S8_S8_S8_S8_EEEEZZNS1_27merge_sort_block_merge_implIS3_NS6_6detail15normal_iteratorINS6_10device_ptrIjEEEENSD_INSE_IS9_EEEEjNS1_19radix_merge_compareILb0ELb0EjNS0_19identity_decomposerEEEEE10hipError_tT0_T1_T2_jT3_P12ihipStream_tbPNSt15iterator_traitsISN_E10value_typeEPNST_ISO_E10value_typeEPSP_NS1_7vsmem_tEENKUlT_SN_SO_SP_E_clISG_PjSI_PS9_EESM_S12_SN_SO_SP_EUlS12_E1_NS1_11comp_targetILNS1_3genE3ELNS1_11target_archE908ELNS1_3gpuE7ELNS1_3repE0EEENS1_36merge_oddeven_config_static_selectorELNS0_4arch9wavefront6targetE0EEEvSO_,@function
_ZN7rocprim17ROCPRIM_400000_NS6detail17trampoline_kernelINS0_14default_configENS1_38merge_sort_block_merge_config_selectorIjN6thrust23THRUST_200600_302600_NS5tupleIffNS6_9null_typeES8_S8_S8_S8_S8_S8_S8_EEEEZZNS1_27merge_sort_block_merge_implIS3_NS6_6detail15normal_iteratorINS6_10device_ptrIjEEEENSD_INSE_IS9_EEEEjNS1_19radix_merge_compareILb0ELb0EjNS0_19identity_decomposerEEEEE10hipError_tT0_T1_T2_jT3_P12ihipStream_tbPNSt15iterator_traitsISN_E10value_typeEPNST_ISO_E10value_typeEPSP_NS1_7vsmem_tEENKUlT_SN_SO_SP_E_clISG_PjSI_PS9_EESM_S12_SN_SO_SP_EUlS12_E1_NS1_11comp_targetILNS1_3genE3ELNS1_11target_archE908ELNS1_3gpuE7ELNS1_3repE0EEENS1_36merge_oddeven_config_static_selectorELNS0_4arch9wavefront6targetE0EEEvSO_: ; @_ZN7rocprim17ROCPRIM_400000_NS6detail17trampoline_kernelINS0_14default_configENS1_38merge_sort_block_merge_config_selectorIjN6thrust23THRUST_200600_302600_NS5tupleIffNS6_9null_typeES8_S8_S8_S8_S8_S8_S8_EEEEZZNS1_27merge_sort_block_merge_implIS3_NS6_6detail15normal_iteratorINS6_10device_ptrIjEEEENSD_INSE_IS9_EEEEjNS1_19radix_merge_compareILb0ELb0EjNS0_19identity_decomposerEEEEE10hipError_tT0_T1_T2_jT3_P12ihipStream_tbPNSt15iterator_traitsISN_E10value_typeEPNST_ISO_E10value_typeEPSP_NS1_7vsmem_tEENKUlT_SN_SO_SP_E_clISG_PjSI_PS9_EESM_S12_SN_SO_SP_EUlS12_E1_NS1_11comp_targetILNS1_3genE3ELNS1_11target_archE908ELNS1_3gpuE7ELNS1_3repE0EEENS1_36merge_oddeven_config_static_selectorELNS0_4arch9wavefront6targetE0EEEvSO_
; %bb.0:
	.section	.rodata,"a",@progbits
	.p2align	6, 0x0
	.amdhsa_kernel _ZN7rocprim17ROCPRIM_400000_NS6detail17trampoline_kernelINS0_14default_configENS1_38merge_sort_block_merge_config_selectorIjN6thrust23THRUST_200600_302600_NS5tupleIffNS6_9null_typeES8_S8_S8_S8_S8_S8_S8_EEEEZZNS1_27merge_sort_block_merge_implIS3_NS6_6detail15normal_iteratorINS6_10device_ptrIjEEEENSD_INSE_IS9_EEEEjNS1_19radix_merge_compareILb0ELb0EjNS0_19identity_decomposerEEEEE10hipError_tT0_T1_T2_jT3_P12ihipStream_tbPNSt15iterator_traitsISN_E10value_typeEPNST_ISO_E10value_typeEPSP_NS1_7vsmem_tEENKUlT_SN_SO_SP_E_clISG_PjSI_PS9_EESM_S12_SN_SO_SP_EUlS12_E1_NS1_11comp_targetILNS1_3genE3ELNS1_11target_archE908ELNS1_3gpuE7ELNS1_3repE0EEENS1_36merge_oddeven_config_static_selectorELNS0_4arch9wavefront6targetE0EEEvSO_
		.amdhsa_group_segment_fixed_size 0
		.amdhsa_private_segment_fixed_size 0
		.amdhsa_kernarg_size 48
		.amdhsa_user_sgpr_count 2
		.amdhsa_user_sgpr_dispatch_ptr 0
		.amdhsa_user_sgpr_queue_ptr 0
		.amdhsa_user_sgpr_kernarg_segment_ptr 1
		.amdhsa_user_sgpr_dispatch_id 0
		.amdhsa_user_sgpr_kernarg_preload_length 0
		.amdhsa_user_sgpr_kernarg_preload_offset 0
		.amdhsa_user_sgpr_private_segment_size 0
		.amdhsa_wavefront_size32 1
		.amdhsa_uses_dynamic_stack 0
		.amdhsa_enable_private_segment 0
		.amdhsa_system_sgpr_workgroup_id_x 1
		.amdhsa_system_sgpr_workgroup_id_y 0
		.amdhsa_system_sgpr_workgroup_id_z 0
		.amdhsa_system_sgpr_workgroup_info 0
		.amdhsa_system_vgpr_workitem_id 0
		.amdhsa_next_free_vgpr 1
		.amdhsa_next_free_sgpr 1
		.amdhsa_named_barrier_count 0
		.amdhsa_reserve_vcc 0
		.amdhsa_float_round_mode_32 0
		.amdhsa_float_round_mode_16_64 0
		.amdhsa_float_denorm_mode_32 3
		.amdhsa_float_denorm_mode_16_64 3
		.amdhsa_fp16_overflow 0
		.amdhsa_memory_ordered 1
		.amdhsa_forward_progress 1
		.amdhsa_inst_pref_size 0
		.amdhsa_round_robin_scheduling 0
		.amdhsa_exception_fp_ieee_invalid_op 0
		.amdhsa_exception_fp_denorm_src 0
		.amdhsa_exception_fp_ieee_div_zero 0
		.amdhsa_exception_fp_ieee_overflow 0
		.amdhsa_exception_fp_ieee_underflow 0
		.amdhsa_exception_fp_ieee_inexact 0
		.amdhsa_exception_int_div_zero 0
	.end_amdhsa_kernel
	.section	.text._ZN7rocprim17ROCPRIM_400000_NS6detail17trampoline_kernelINS0_14default_configENS1_38merge_sort_block_merge_config_selectorIjN6thrust23THRUST_200600_302600_NS5tupleIffNS6_9null_typeES8_S8_S8_S8_S8_S8_S8_EEEEZZNS1_27merge_sort_block_merge_implIS3_NS6_6detail15normal_iteratorINS6_10device_ptrIjEEEENSD_INSE_IS9_EEEEjNS1_19radix_merge_compareILb0ELb0EjNS0_19identity_decomposerEEEEE10hipError_tT0_T1_T2_jT3_P12ihipStream_tbPNSt15iterator_traitsISN_E10value_typeEPNST_ISO_E10value_typeEPSP_NS1_7vsmem_tEENKUlT_SN_SO_SP_E_clISG_PjSI_PS9_EESM_S12_SN_SO_SP_EUlS12_E1_NS1_11comp_targetILNS1_3genE3ELNS1_11target_archE908ELNS1_3gpuE7ELNS1_3repE0EEENS1_36merge_oddeven_config_static_selectorELNS0_4arch9wavefront6targetE0EEEvSO_,"axG",@progbits,_ZN7rocprim17ROCPRIM_400000_NS6detail17trampoline_kernelINS0_14default_configENS1_38merge_sort_block_merge_config_selectorIjN6thrust23THRUST_200600_302600_NS5tupleIffNS6_9null_typeES8_S8_S8_S8_S8_S8_S8_EEEEZZNS1_27merge_sort_block_merge_implIS3_NS6_6detail15normal_iteratorINS6_10device_ptrIjEEEENSD_INSE_IS9_EEEEjNS1_19radix_merge_compareILb0ELb0EjNS0_19identity_decomposerEEEEE10hipError_tT0_T1_T2_jT3_P12ihipStream_tbPNSt15iterator_traitsISN_E10value_typeEPNST_ISO_E10value_typeEPSP_NS1_7vsmem_tEENKUlT_SN_SO_SP_E_clISG_PjSI_PS9_EESM_S12_SN_SO_SP_EUlS12_E1_NS1_11comp_targetILNS1_3genE3ELNS1_11target_archE908ELNS1_3gpuE7ELNS1_3repE0EEENS1_36merge_oddeven_config_static_selectorELNS0_4arch9wavefront6targetE0EEEvSO_,comdat
.Lfunc_end69:
	.size	_ZN7rocprim17ROCPRIM_400000_NS6detail17trampoline_kernelINS0_14default_configENS1_38merge_sort_block_merge_config_selectorIjN6thrust23THRUST_200600_302600_NS5tupleIffNS6_9null_typeES8_S8_S8_S8_S8_S8_S8_EEEEZZNS1_27merge_sort_block_merge_implIS3_NS6_6detail15normal_iteratorINS6_10device_ptrIjEEEENSD_INSE_IS9_EEEEjNS1_19radix_merge_compareILb0ELb0EjNS0_19identity_decomposerEEEEE10hipError_tT0_T1_T2_jT3_P12ihipStream_tbPNSt15iterator_traitsISN_E10value_typeEPNST_ISO_E10value_typeEPSP_NS1_7vsmem_tEENKUlT_SN_SO_SP_E_clISG_PjSI_PS9_EESM_S12_SN_SO_SP_EUlS12_E1_NS1_11comp_targetILNS1_3genE3ELNS1_11target_archE908ELNS1_3gpuE7ELNS1_3repE0EEENS1_36merge_oddeven_config_static_selectorELNS0_4arch9wavefront6targetE0EEEvSO_, .Lfunc_end69-_ZN7rocprim17ROCPRIM_400000_NS6detail17trampoline_kernelINS0_14default_configENS1_38merge_sort_block_merge_config_selectorIjN6thrust23THRUST_200600_302600_NS5tupleIffNS6_9null_typeES8_S8_S8_S8_S8_S8_S8_EEEEZZNS1_27merge_sort_block_merge_implIS3_NS6_6detail15normal_iteratorINS6_10device_ptrIjEEEENSD_INSE_IS9_EEEEjNS1_19radix_merge_compareILb0ELb0EjNS0_19identity_decomposerEEEEE10hipError_tT0_T1_T2_jT3_P12ihipStream_tbPNSt15iterator_traitsISN_E10value_typeEPNST_ISO_E10value_typeEPSP_NS1_7vsmem_tEENKUlT_SN_SO_SP_E_clISG_PjSI_PS9_EESM_S12_SN_SO_SP_EUlS12_E1_NS1_11comp_targetILNS1_3genE3ELNS1_11target_archE908ELNS1_3gpuE7ELNS1_3repE0EEENS1_36merge_oddeven_config_static_selectorELNS0_4arch9wavefront6targetE0EEEvSO_
                                        ; -- End function
	.set _ZN7rocprim17ROCPRIM_400000_NS6detail17trampoline_kernelINS0_14default_configENS1_38merge_sort_block_merge_config_selectorIjN6thrust23THRUST_200600_302600_NS5tupleIffNS6_9null_typeES8_S8_S8_S8_S8_S8_S8_EEEEZZNS1_27merge_sort_block_merge_implIS3_NS6_6detail15normal_iteratorINS6_10device_ptrIjEEEENSD_INSE_IS9_EEEEjNS1_19radix_merge_compareILb0ELb0EjNS0_19identity_decomposerEEEEE10hipError_tT0_T1_T2_jT3_P12ihipStream_tbPNSt15iterator_traitsISN_E10value_typeEPNST_ISO_E10value_typeEPSP_NS1_7vsmem_tEENKUlT_SN_SO_SP_E_clISG_PjSI_PS9_EESM_S12_SN_SO_SP_EUlS12_E1_NS1_11comp_targetILNS1_3genE3ELNS1_11target_archE908ELNS1_3gpuE7ELNS1_3repE0EEENS1_36merge_oddeven_config_static_selectorELNS0_4arch9wavefront6targetE0EEEvSO_.num_vgpr, 0
	.set _ZN7rocprim17ROCPRIM_400000_NS6detail17trampoline_kernelINS0_14default_configENS1_38merge_sort_block_merge_config_selectorIjN6thrust23THRUST_200600_302600_NS5tupleIffNS6_9null_typeES8_S8_S8_S8_S8_S8_S8_EEEEZZNS1_27merge_sort_block_merge_implIS3_NS6_6detail15normal_iteratorINS6_10device_ptrIjEEEENSD_INSE_IS9_EEEEjNS1_19radix_merge_compareILb0ELb0EjNS0_19identity_decomposerEEEEE10hipError_tT0_T1_T2_jT3_P12ihipStream_tbPNSt15iterator_traitsISN_E10value_typeEPNST_ISO_E10value_typeEPSP_NS1_7vsmem_tEENKUlT_SN_SO_SP_E_clISG_PjSI_PS9_EESM_S12_SN_SO_SP_EUlS12_E1_NS1_11comp_targetILNS1_3genE3ELNS1_11target_archE908ELNS1_3gpuE7ELNS1_3repE0EEENS1_36merge_oddeven_config_static_selectorELNS0_4arch9wavefront6targetE0EEEvSO_.num_agpr, 0
	.set _ZN7rocprim17ROCPRIM_400000_NS6detail17trampoline_kernelINS0_14default_configENS1_38merge_sort_block_merge_config_selectorIjN6thrust23THRUST_200600_302600_NS5tupleIffNS6_9null_typeES8_S8_S8_S8_S8_S8_S8_EEEEZZNS1_27merge_sort_block_merge_implIS3_NS6_6detail15normal_iteratorINS6_10device_ptrIjEEEENSD_INSE_IS9_EEEEjNS1_19radix_merge_compareILb0ELb0EjNS0_19identity_decomposerEEEEE10hipError_tT0_T1_T2_jT3_P12ihipStream_tbPNSt15iterator_traitsISN_E10value_typeEPNST_ISO_E10value_typeEPSP_NS1_7vsmem_tEENKUlT_SN_SO_SP_E_clISG_PjSI_PS9_EESM_S12_SN_SO_SP_EUlS12_E1_NS1_11comp_targetILNS1_3genE3ELNS1_11target_archE908ELNS1_3gpuE7ELNS1_3repE0EEENS1_36merge_oddeven_config_static_selectorELNS0_4arch9wavefront6targetE0EEEvSO_.numbered_sgpr, 0
	.set _ZN7rocprim17ROCPRIM_400000_NS6detail17trampoline_kernelINS0_14default_configENS1_38merge_sort_block_merge_config_selectorIjN6thrust23THRUST_200600_302600_NS5tupleIffNS6_9null_typeES8_S8_S8_S8_S8_S8_S8_EEEEZZNS1_27merge_sort_block_merge_implIS3_NS6_6detail15normal_iteratorINS6_10device_ptrIjEEEENSD_INSE_IS9_EEEEjNS1_19radix_merge_compareILb0ELb0EjNS0_19identity_decomposerEEEEE10hipError_tT0_T1_T2_jT3_P12ihipStream_tbPNSt15iterator_traitsISN_E10value_typeEPNST_ISO_E10value_typeEPSP_NS1_7vsmem_tEENKUlT_SN_SO_SP_E_clISG_PjSI_PS9_EESM_S12_SN_SO_SP_EUlS12_E1_NS1_11comp_targetILNS1_3genE3ELNS1_11target_archE908ELNS1_3gpuE7ELNS1_3repE0EEENS1_36merge_oddeven_config_static_selectorELNS0_4arch9wavefront6targetE0EEEvSO_.num_named_barrier, 0
	.set _ZN7rocprim17ROCPRIM_400000_NS6detail17trampoline_kernelINS0_14default_configENS1_38merge_sort_block_merge_config_selectorIjN6thrust23THRUST_200600_302600_NS5tupleIffNS6_9null_typeES8_S8_S8_S8_S8_S8_S8_EEEEZZNS1_27merge_sort_block_merge_implIS3_NS6_6detail15normal_iteratorINS6_10device_ptrIjEEEENSD_INSE_IS9_EEEEjNS1_19radix_merge_compareILb0ELb0EjNS0_19identity_decomposerEEEEE10hipError_tT0_T1_T2_jT3_P12ihipStream_tbPNSt15iterator_traitsISN_E10value_typeEPNST_ISO_E10value_typeEPSP_NS1_7vsmem_tEENKUlT_SN_SO_SP_E_clISG_PjSI_PS9_EESM_S12_SN_SO_SP_EUlS12_E1_NS1_11comp_targetILNS1_3genE3ELNS1_11target_archE908ELNS1_3gpuE7ELNS1_3repE0EEENS1_36merge_oddeven_config_static_selectorELNS0_4arch9wavefront6targetE0EEEvSO_.private_seg_size, 0
	.set _ZN7rocprim17ROCPRIM_400000_NS6detail17trampoline_kernelINS0_14default_configENS1_38merge_sort_block_merge_config_selectorIjN6thrust23THRUST_200600_302600_NS5tupleIffNS6_9null_typeES8_S8_S8_S8_S8_S8_S8_EEEEZZNS1_27merge_sort_block_merge_implIS3_NS6_6detail15normal_iteratorINS6_10device_ptrIjEEEENSD_INSE_IS9_EEEEjNS1_19radix_merge_compareILb0ELb0EjNS0_19identity_decomposerEEEEE10hipError_tT0_T1_T2_jT3_P12ihipStream_tbPNSt15iterator_traitsISN_E10value_typeEPNST_ISO_E10value_typeEPSP_NS1_7vsmem_tEENKUlT_SN_SO_SP_E_clISG_PjSI_PS9_EESM_S12_SN_SO_SP_EUlS12_E1_NS1_11comp_targetILNS1_3genE3ELNS1_11target_archE908ELNS1_3gpuE7ELNS1_3repE0EEENS1_36merge_oddeven_config_static_selectorELNS0_4arch9wavefront6targetE0EEEvSO_.uses_vcc, 0
	.set _ZN7rocprim17ROCPRIM_400000_NS6detail17trampoline_kernelINS0_14default_configENS1_38merge_sort_block_merge_config_selectorIjN6thrust23THRUST_200600_302600_NS5tupleIffNS6_9null_typeES8_S8_S8_S8_S8_S8_S8_EEEEZZNS1_27merge_sort_block_merge_implIS3_NS6_6detail15normal_iteratorINS6_10device_ptrIjEEEENSD_INSE_IS9_EEEEjNS1_19radix_merge_compareILb0ELb0EjNS0_19identity_decomposerEEEEE10hipError_tT0_T1_T2_jT3_P12ihipStream_tbPNSt15iterator_traitsISN_E10value_typeEPNST_ISO_E10value_typeEPSP_NS1_7vsmem_tEENKUlT_SN_SO_SP_E_clISG_PjSI_PS9_EESM_S12_SN_SO_SP_EUlS12_E1_NS1_11comp_targetILNS1_3genE3ELNS1_11target_archE908ELNS1_3gpuE7ELNS1_3repE0EEENS1_36merge_oddeven_config_static_selectorELNS0_4arch9wavefront6targetE0EEEvSO_.uses_flat_scratch, 0
	.set _ZN7rocprim17ROCPRIM_400000_NS6detail17trampoline_kernelINS0_14default_configENS1_38merge_sort_block_merge_config_selectorIjN6thrust23THRUST_200600_302600_NS5tupleIffNS6_9null_typeES8_S8_S8_S8_S8_S8_S8_EEEEZZNS1_27merge_sort_block_merge_implIS3_NS6_6detail15normal_iteratorINS6_10device_ptrIjEEEENSD_INSE_IS9_EEEEjNS1_19radix_merge_compareILb0ELb0EjNS0_19identity_decomposerEEEEE10hipError_tT0_T1_T2_jT3_P12ihipStream_tbPNSt15iterator_traitsISN_E10value_typeEPNST_ISO_E10value_typeEPSP_NS1_7vsmem_tEENKUlT_SN_SO_SP_E_clISG_PjSI_PS9_EESM_S12_SN_SO_SP_EUlS12_E1_NS1_11comp_targetILNS1_3genE3ELNS1_11target_archE908ELNS1_3gpuE7ELNS1_3repE0EEENS1_36merge_oddeven_config_static_selectorELNS0_4arch9wavefront6targetE0EEEvSO_.has_dyn_sized_stack, 0
	.set _ZN7rocprim17ROCPRIM_400000_NS6detail17trampoline_kernelINS0_14default_configENS1_38merge_sort_block_merge_config_selectorIjN6thrust23THRUST_200600_302600_NS5tupleIffNS6_9null_typeES8_S8_S8_S8_S8_S8_S8_EEEEZZNS1_27merge_sort_block_merge_implIS3_NS6_6detail15normal_iteratorINS6_10device_ptrIjEEEENSD_INSE_IS9_EEEEjNS1_19radix_merge_compareILb0ELb0EjNS0_19identity_decomposerEEEEE10hipError_tT0_T1_T2_jT3_P12ihipStream_tbPNSt15iterator_traitsISN_E10value_typeEPNST_ISO_E10value_typeEPSP_NS1_7vsmem_tEENKUlT_SN_SO_SP_E_clISG_PjSI_PS9_EESM_S12_SN_SO_SP_EUlS12_E1_NS1_11comp_targetILNS1_3genE3ELNS1_11target_archE908ELNS1_3gpuE7ELNS1_3repE0EEENS1_36merge_oddeven_config_static_selectorELNS0_4arch9wavefront6targetE0EEEvSO_.has_recursion, 0
	.set _ZN7rocprim17ROCPRIM_400000_NS6detail17trampoline_kernelINS0_14default_configENS1_38merge_sort_block_merge_config_selectorIjN6thrust23THRUST_200600_302600_NS5tupleIffNS6_9null_typeES8_S8_S8_S8_S8_S8_S8_EEEEZZNS1_27merge_sort_block_merge_implIS3_NS6_6detail15normal_iteratorINS6_10device_ptrIjEEEENSD_INSE_IS9_EEEEjNS1_19radix_merge_compareILb0ELb0EjNS0_19identity_decomposerEEEEE10hipError_tT0_T1_T2_jT3_P12ihipStream_tbPNSt15iterator_traitsISN_E10value_typeEPNST_ISO_E10value_typeEPSP_NS1_7vsmem_tEENKUlT_SN_SO_SP_E_clISG_PjSI_PS9_EESM_S12_SN_SO_SP_EUlS12_E1_NS1_11comp_targetILNS1_3genE3ELNS1_11target_archE908ELNS1_3gpuE7ELNS1_3repE0EEENS1_36merge_oddeven_config_static_selectorELNS0_4arch9wavefront6targetE0EEEvSO_.has_indirect_call, 0
	.section	.AMDGPU.csdata,"",@progbits
; Kernel info:
; codeLenInByte = 0
; TotalNumSgprs: 0
; NumVgprs: 0
; ScratchSize: 0
; MemoryBound: 0
; FloatMode: 240
; IeeeMode: 1
; LDSByteSize: 0 bytes/workgroup (compile time only)
; SGPRBlocks: 0
; VGPRBlocks: 0
; NumSGPRsForWavesPerEU: 1
; NumVGPRsForWavesPerEU: 1
; NamedBarCnt: 0
; Occupancy: 16
; WaveLimiterHint : 0
; COMPUTE_PGM_RSRC2:SCRATCH_EN: 0
; COMPUTE_PGM_RSRC2:USER_SGPR: 2
; COMPUTE_PGM_RSRC2:TRAP_HANDLER: 0
; COMPUTE_PGM_RSRC2:TGID_X_EN: 1
; COMPUTE_PGM_RSRC2:TGID_Y_EN: 0
; COMPUTE_PGM_RSRC2:TGID_Z_EN: 0
; COMPUTE_PGM_RSRC2:TIDIG_COMP_CNT: 0
	.section	.text._ZN7rocprim17ROCPRIM_400000_NS6detail17trampoline_kernelINS0_14default_configENS1_38merge_sort_block_merge_config_selectorIjN6thrust23THRUST_200600_302600_NS5tupleIffNS6_9null_typeES8_S8_S8_S8_S8_S8_S8_EEEEZZNS1_27merge_sort_block_merge_implIS3_NS6_6detail15normal_iteratorINS6_10device_ptrIjEEEENSD_INSE_IS9_EEEEjNS1_19radix_merge_compareILb0ELb0EjNS0_19identity_decomposerEEEEE10hipError_tT0_T1_T2_jT3_P12ihipStream_tbPNSt15iterator_traitsISN_E10value_typeEPNST_ISO_E10value_typeEPSP_NS1_7vsmem_tEENKUlT_SN_SO_SP_E_clISG_PjSI_PS9_EESM_S12_SN_SO_SP_EUlS12_E1_NS1_11comp_targetILNS1_3genE2ELNS1_11target_archE906ELNS1_3gpuE6ELNS1_3repE0EEENS1_36merge_oddeven_config_static_selectorELNS0_4arch9wavefront6targetE0EEEvSO_,"axG",@progbits,_ZN7rocprim17ROCPRIM_400000_NS6detail17trampoline_kernelINS0_14default_configENS1_38merge_sort_block_merge_config_selectorIjN6thrust23THRUST_200600_302600_NS5tupleIffNS6_9null_typeES8_S8_S8_S8_S8_S8_S8_EEEEZZNS1_27merge_sort_block_merge_implIS3_NS6_6detail15normal_iteratorINS6_10device_ptrIjEEEENSD_INSE_IS9_EEEEjNS1_19radix_merge_compareILb0ELb0EjNS0_19identity_decomposerEEEEE10hipError_tT0_T1_T2_jT3_P12ihipStream_tbPNSt15iterator_traitsISN_E10value_typeEPNST_ISO_E10value_typeEPSP_NS1_7vsmem_tEENKUlT_SN_SO_SP_E_clISG_PjSI_PS9_EESM_S12_SN_SO_SP_EUlS12_E1_NS1_11comp_targetILNS1_3genE2ELNS1_11target_archE906ELNS1_3gpuE6ELNS1_3repE0EEENS1_36merge_oddeven_config_static_selectorELNS0_4arch9wavefront6targetE0EEEvSO_,comdat
	.protected	_ZN7rocprim17ROCPRIM_400000_NS6detail17trampoline_kernelINS0_14default_configENS1_38merge_sort_block_merge_config_selectorIjN6thrust23THRUST_200600_302600_NS5tupleIffNS6_9null_typeES8_S8_S8_S8_S8_S8_S8_EEEEZZNS1_27merge_sort_block_merge_implIS3_NS6_6detail15normal_iteratorINS6_10device_ptrIjEEEENSD_INSE_IS9_EEEEjNS1_19radix_merge_compareILb0ELb0EjNS0_19identity_decomposerEEEEE10hipError_tT0_T1_T2_jT3_P12ihipStream_tbPNSt15iterator_traitsISN_E10value_typeEPNST_ISO_E10value_typeEPSP_NS1_7vsmem_tEENKUlT_SN_SO_SP_E_clISG_PjSI_PS9_EESM_S12_SN_SO_SP_EUlS12_E1_NS1_11comp_targetILNS1_3genE2ELNS1_11target_archE906ELNS1_3gpuE6ELNS1_3repE0EEENS1_36merge_oddeven_config_static_selectorELNS0_4arch9wavefront6targetE0EEEvSO_ ; -- Begin function _ZN7rocprim17ROCPRIM_400000_NS6detail17trampoline_kernelINS0_14default_configENS1_38merge_sort_block_merge_config_selectorIjN6thrust23THRUST_200600_302600_NS5tupleIffNS6_9null_typeES8_S8_S8_S8_S8_S8_S8_EEEEZZNS1_27merge_sort_block_merge_implIS3_NS6_6detail15normal_iteratorINS6_10device_ptrIjEEEENSD_INSE_IS9_EEEEjNS1_19radix_merge_compareILb0ELb0EjNS0_19identity_decomposerEEEEE10hipError_tT0_T1_T2_jT3_P12ihipStream_tbPNSt15iterator_traitsISN_E10value_typeEPNST_ISO_E10value_typeEPSP_NS1_7vsmem_tEENKUlT_SN_SO_SP_E_clISG_PjSI_PS9_EESM_S12_SN_SO_SP_EUlS12_E1_NS1_11comp_targetILNS1_3genE2ELNS1_11target_archE906ELNS1_3gpuE6ELNS1_3repE0EEENS1_36merge_oddeven_config_static_selectorELNS0_4arch9wavefront6targetE0EEEvSO_
	.globl	_ZN7rocprim17ROCPRIM_400000_NS6detail17trampoline_kernelINS0_14default_configENS1_38merge_sort_block_merge_config_selectorIjN6thrust23THRUST_200600_302600_NS5tupleIffNS6_9null_typeES8_S8_S8_S8_S8_S8_S8_EEEEZZNS1_27merge_sort_block_merge_implIS3_NS6_6detail15normal_iteratorINS6_10device_ptrIjEEEENSD_INSE_IS9_EEEEjNS1_19radix_merge_compareILb0ELb0EjNS0_19identity_decomposerEEEEE10hipError_tT0_T1_T2_jT3_P12ihipStream_tbPNSt15iterator_traitsISN_E10value_typeEPNST_ISO_E10value_typeEPSP_NS1_7vsmem_tEENKUlT_SN_SO_SP_E_clISG_PjSI_PS9_EESM_S12_SN_SO_SP_EUlS12_E1_NS1_11comp_targetILNS1_3genE2ELNS1_11target_archE906ELNS1_3gpuE6ELNS1_3repE0EEENS1_36merge_oddeven_config_static_selectorELNS0_4arch9wavefront6targetE0EEEvSO_
	.p2align	8
	.type	_ZN7rocprim17ROCPRIM_400000_NS6detail17trampoline_kernelINS0_14default_configENS1_38merge_sort_block_merge_config_selectorIjN6thrust23THRUST_200600_302600_NS5tupleIffNS6_9null_typeES8_S8_S8_S8_S8_S8_S8_EEEEZZNS1_27merge_sort_block_merge_implIS3_NS6_6detail15normal_iteratorINS6_10device_ptrIjEEEENSD_INSE_IS9_EEEEjNS1_19radix_merge_compareILb0ELb0EjNS0_19identity_decomposerEEEEE10hipError_tT0_T1_T2_jT3_P12ihipStream_tbPNSt15iterator_traitsISN_E10value_typeEPNST_ISO_E10value_typeEPSP_NS1_7vsmem_tEENKUlT_SN_SO_SP_E_clISG_PjSI_PS9_EESM_S12_SN_SO_SP_EUlS12_E1_NS1_11comp_targetILNS1_3genE2ELNS1_11target_archE906ELNS1_3gpuE6ELNS1_3repE0EEENS1_36merge_oddeven_config_static_selectorELNS0_4arch9wavefront6targetE0EEEvSO_,@function
_ZN7rocprim17ROCPRIM_400000_NS6detail17trampoline_kernelINS0_14default_configENS1_38merge_sort_block_merge_config_selectorIjN6thrust23THRUST_200600_302600_NS5tupleIffNS6_9null_typeES8_S8_S8_S8_S8_S8_S8_EEEEZZNS1_27merge_sort_block_merge_implIS3_NS6_6detail15normal_iteratorINS6_10device_ptrIjEEEENSD_INSE_IS9_EEEEjNS1_19radix_merge_compareILb0ELb0EjNS0_19identity_decomposerEEEEE10hipError_tT0_T1_T2_jT3_P12ihipStream_tbPNSt15iterator_traitsISN_E10value_typeEPNST_ISO_E10value_typeEPSP_NS1_7vsmem_tEENKUlT_SN_SO_SP_E_clISG_PjSI_PS9_EESM_S12_SN_SO_SP_EUlS12_E1_NS1_11comp_targetILNS1_3genE2ELNS1_11target_archE906ELNS1_3gpuE6ELNS1_3repE0EEENS1_36merge_oddeven_config_static_selectorELNS0_4arch9wavefront6targetE0EEEvSO_: ; @_ZN7rocprim17ROCPRIM_400000_NS6detail17trampoline_kernelINS0_14default_configENS1_38merge_sort_block_merge_config_selectorIjN6thrust23THRUST_200600_302600_NS5tupleIffNS6_9null_typeES8_S8_S8_S8_S8_S8_S8_EEEEZZNS1_27merge_sort_block_merge_implIS3_NS6_6detail15normal_iteratorINS6_10device_ptrIjEEEENSD_INSE_IS9_EEEEjNS1_19radix_merge_compareILb0ELb0EjNS0_19identity_decomposerEEEEE10hipError_tT0_T1_T2_jT3_P12ihipStream_tbPNSt15iterator_traitsISN_E10value_typeEPNST_ISO_E10value_typeEPSP_NS1_7vsmem_tEENKUlT_SN_SO_SP_E_clISG_PjSI_PS9_EESM_S12_SN_SO_SP_EUlS12_E1_NS1_11comp_targetILNS1_3genE2ELNS1_11target_archE906ELNS1_3gpuE6ELNS1_3repE0EEENS1_36merge_oddeven_config_static_selectorELNS0_4arch9wavefront6targetE0EEEvSO_
; %bb.0:
	.section	.rodata,"a",@progbits
	.p2align	6, 0x0
	.amdhsa_kernel _ZN7rocprim17ROCPRIM_400000_NS6detail17trampoline_kernelINS0_14default_configENS1_38merge_sort_block_merge_config_selectorIjN6thrust23THRUST_200600_302600_NS5tupleIffNS6_9null_typeES8_S8_S8_S8_S8_S8_S8_EEEEZZNS1_27merge_sort_block_merge_implIS3_NS6_6detail15normal_iteratorINS6_10device_ptrIjEEEENSD_INSE_IS9_EEEEjNS1_19radix_merge_compareILb0ELb0EjNS0_19identity_decomposerEEEEE10hipError_tT0_T1_T2_jT3_P12ihipStream_tbPNSt15iterator_traitsISN_E10value_typeEPNST_ISO_E10value_typeEPSP_NS1_7vsmem_tEENKUlT_SN_SO_SP_E_clISG_PjSI_PS9_EESM_S12_SN_SO_SP_EUlS12_E1_NS1_11comp_targetILNS1_3genE2ELNS1_11target_archE906ELNS1_3gpuE6ELNS1_3repE0EEENS1_36merge_oddeven_config_static_selectorELNS0_4arch9wavefront6targetE0EEEvSO_
		.amdhsa_group_segment_fixed_size 0
		.amdhsa_private_segment_fixed_size 0
		.amdhsa_kernarg_size 48
		.amdhsa_user_sgpr_count 2
		.amdhsa_user_sgpr_dispatch_ptr 0
		.amdhsa_user_sgpr_queue_ptr 0
		.amdhsa_user_sgpr_kernarg_segment_ptr 1
		.amdhsa_user_sgpr_dispatch_id 0
		.amdhsa_user_sgpr_kernarg_preload_length 0
		.amdhsa_user_sgpr_kernarg_preload_offset 0
		.amdhsa_user_sgpr_private_segment_size 0
		.amdhsa_wavefront_size32 1
		.amdhsa_uses_dynamic_stack 0
		.amdhsa_enable_private_segment 0
		.amdhsa_system_sgpr_workgroup_id_x 1
		.amdhsa_system_sgpr_workgroup_id_y 0
		.amdhsa_system_sgpr_workgroup_id_z 0
		.amdhsa_system_sgpr_workgroup_info 0
		.amdhsa_system_vgpr_workitem_id 0
		.amdhsa_next_free_vgpr 1
		.amdhsa_next_free_sgpr 1
		.amdhsa_named_barrier_count 0
		.amdhsa_reserve_vcc 0
		.amdhsa_float_round_mode_32 0
		.amdhsa_float_round_mode_16_64 0
		.amdhsa_float_denorm_mode_32 3
		.amdhsa_float_denorm_mode_16_64 3
		.amdhsa_fp16_overflow 0
		.amdhsa_memory_ordered 1
		.amdhsa_forward_progress 1
		.amdhsa_inst_pref_size 0
		.amdhsa_round_robin_scheduling 0
		.amdhsa_exception_fp_ieee_invalid_op 0
		.amdhsa_exception_fp_denorm_src 0
		.amdhsa_exception_fp_ieee_div_zero 0
		.amdhsa_exception_fp_ieee_overflow 0
		.amdhsa_exception_fp_ieee_underflow 0
		.amdhsa_exception_fp_ieee_inexact 0
		.amdhsa_exception_int_div_zero 0
	.end_amdhsa_kernel
	.section	.text._ZN7rocprim17ROCPRIM_400000_NS6detail17trampoline_kernelINS0_14default_configENS1_38merge_sort_block_merge_config_selectorIjN6thrust23THRUST_200600_302600_NS5tupleIffNS6_9null_typeES8_S8_S8_S8_S8_S8_S8_EEEEZZNS1_27merge_sort_block_merge_implIS3_NS6_6detail15normal_iteratorINS6_10device_ptrIjEEEENSD_INSE_IS9_EEEEjNS1_19radix_merge_compareILb0ELb0EjNS0_19identity_decomposerEEEEE10hipError_tT0_T1_T2_jT3_P12ihipStream_tbPNSt15iterator_traitsISN_E10value_typeEPNST_ISO_E10value_typeEPSP_NS1_7vsmem_tEENKUlT_SN_SO_SP_E_clISG_PjSI_PS9_EESM_S12_SN_SO_SP_EUlS12_E1_NS1_11comp_targetILNS1_3genE2ELNS1_11target_archE906ELNS1_3gpuE6ELNS1_3repE0EEENS1_36merge_oddeven_config_static_selectorELNS0_4arch9wavefront6targetE0EEEvSO_,"axG",@progbits,_ZN7rocprim17ROCPRIM_400000_NS6detail17trampoline_kernelINS0_14default_configENS1_38merge_sort_block_merge_config_selectorIjN6thrust23THRUST_200600_302600_NS5tupleIffNS6_9null_typeES8_S8_S8_S8_S8_S8_S8_EEEEZZNS1_27merge_sort_block_merge_implIS3_NS6_6detail15normal_iteratorINS6_10device_ptrIjEEEENSD_INSE_IS9_EEEEjNS1_19radix_merge_compareILb0ELb0EjNS0_19identity_decomposerEEEEE10hipError_tT0_T1_T2_jT3_P12ihipStream_tbPNSt15iterator_traitsISN_E10value_typeEPNST_ISO_E10value_typeEPSP_NS1_7vsmem_tEENKUlT_SN_SO_SP_E_clISG_PjSI_PS9_EESM_S12_SN_SO_SP_EUlS12_E1_NS1_11comp_targetILNS1_3genE2ELNS1_11target_archE906ELNS1_3gpuE6ELNS1_3repE0EEENS1_36merge_oddeven_config_static_selectorELNS0_4arch9wavefront6targetE0EEEvSO_,comdat
.Lfunc_end70:
	.size	_ZN7rocprim17ROCPRIM_400000_NS6detail17trampoline_kernelINS0_14default_configENS1_38merge_sort_block_merge_config_selectorIjN6thrust23THRUST_200600_302600_NS5tupleIffNS6_9null_typeES8_S8_S8_S8_S8_S8_S8_EEEEZZNS1_27merge_sort_block_merge_implIS3_NS6_6detail15normal_iteratorINS6_10device_ptrIjEEEENSD_INSE_IS9_EEEEjNS1_19radix_merge_compareILb0ELb0EjNS0_19identity_decomposerEEEEE10hipError_tT0_T1_T2_jT3_P12ihipStream_tbPNSt15iterator_traitsISN_E10value_typeEPNST_ISO_E10value_typeEPSP_NS1_7vsmem_tEENKUlT_SN_SO_SP_E_clISG_PjSI_PS9_EESM_S12_SN_SO_SP_EUlS12_E1_NS1_11comp_targetILNS1_3genE2ELNS1_11target_archE906ELNS1_3gpuE6ELNS1_3repE0EEENS1_36merge_oddeven_config_static_selectorELNS0_4arch9wavefront6targetE0EEEvSO_, .Lfunc_end70-_ZN7rocprim17ROCPRIM_400000_NS6detail17trampoline_kernelINS0_14default_configENS1_38merge_sort_block_merge_config_selectorIjN6thrust23THRUST_200600_302600_NS5tupleIffNS6_9null_typeES8_S8_S8_S8_S8_S8_S8_EEEEZZNS1_27merge_sort_block_merge_implIS3_NS6_6detail15normal_iteratorINS6_10device_ptrIjEEEENSD_INSE_IS9_EEEEjNS1_19radix_merge_compareILb0ELb0EjNS0_19identity_decomposerEEEEE10hipError_tT0_T1_T2_jT3_P12ihipStream_tbPNSt15iterator_traitsISN_E10value_typeEPNST_ISO_E10value_typeEPSP_NS1_7vsmem_tEENKUlT_SN_SO_SP_E_clISG_PjSI_PS9_EESM_S12_SN_SO_SP_EUlS12_E1_NS1_11comp_targetILNS1_3genE2ELNS1_11target_archE906ELNS1_3gpuE6ELNS1_3repE0EEENS1_36merge_oddeven_config_static_selectorELNS0_4arch9wavefront6targetE0EEEvSO_
                                        ; -- End function
	.set _ZN7rocprim17ROCPRIM_400000_NS6detail17trampoline_kernelINS0_14default_configENS1_38merge_sort_block_merge_config_selectorIjN6thrust23THRUST_200600_302600_NS5tupleIffNS6_9null_typeES8_S8_S8_S8_S8_S8_S8_EEEEZZNS1_27merge_sort_block_merge_implIS3_NS6_6detail15normal_iteratorINS6_10device_ptrIjEEEENSD_INSE_IS9_EEEEjNS1_19radix_merge_compareILb0ELb0EjNS0_19identity_decomposerEEEEE10hipError_tT0_T1_T2_jT3_P12ihipStream_tbPNSt15iterator_traitsISN_E10value_typeEPNST_ISO_E10value_typeEPSP_NS1_7vsmem_tEENKUlT_SN_SO_SP_E_clISG_PjSI_PS9_EESM_S12_SN_SO_SP_EUlS12_E1_NS1_11comp_targetILNS1_3genE2ELNS1_11target_archE906ELNS1_3gpuE6ELNS1_3repE0EEENS1_36merge_oddeven_config_static_selectorELNS0_4arch9wavefront6targetE0EEEvSO_.num_vgpr, 0
	.set _ZN7rocprim17ROCPRIM_400000_NS6detail17trampoline_kernelINS0_14default_configENS1_38merge_sort_block_merge_config_selectorIjN6thrust23THRUST_200600_302600_NS5tupleIffNS6_9null_typeES8_S8_S8_S8_S8_S8_S8_EEEEZZNS1_27merge_sort_block_merge_implIS3_NS6_6detail15normal_iteratorINS6_10device_ptrIjEEEENSD_INSE_IS9_EEEEjNS1_19radix_merge_compareILb0ELb0EjNS0_19identity_decomposerEEEEE10hipError_tT0_T1_T2_jT3_P12ihipStream_tbPNSt15iterator_traitsISN_E10value_typeEPNST_ISO_E10value_typeEPSP_NS1_7vsmem_tEENKUlT_SN_SO_SP_E_clISG_PjSI_PS9_EESM_S12_SN_SO_SP_EUlS12_E1_NS1_11comp_targetILNS1_3genE2ELNS1_11target_archE906ELNS1_3gpuE6ELNS1_3repE0EEENS1_36merge_oddeven_config_static_selectorELNS0_4arch9wavefront6targetE0EEEvSO_.num_agpr, 0
	.set _ZN7rocprim17ROCPRIM_400000_NS6detail17trampoline_kernelINS0_14default_configENS1_38merge_sort_block_merge_config_selectorIjN6thrust23THRUST_200600_302600_NS5tupleIffNS6_9null_typeES8_S8_S8_S8_S8_S8_S8_EEEEZZNS1_27merge_sort_block_merge_implIS3_NS6_6detail15normal_iteratorINS6_10device_ptrIjEEEENSD_INSE_IS9_EEEEjNS1_19radix_merge_compareILb0ELb0EjNS0_19identity_decomposerEEEEE10hipError_tT0_T1_T2_jT3_P12ihipStream_tbPNSt15iterator_traitsISN_E10value_typeEPNST_ISO_E10value_typeEPSP_NS1_7vsmem_tEENKUlT_SN_SO_SP_E_clISG_PjSI_PS9_EESM_S12_SN_SO_SP_EUlS12_E1_NS1_11comp_targetILNS1_3genE2ELNS1_11target_archE906ELNS1_3gpuE6ELNS1_3repE0EEENS1_36merge_oddeven_config_static_selectorELNS0_4arch9wavefront6targetE0EEEvSO_.numbered_sgpr, 0
	.set _ZN7rocprim17ROCPRIM_400000_NS6detail17trampoline_kernelINS0_14default_configENS1_38merge_sort_block_merge_config_selectorIjN6thrust23THRUST_200600_302600_NS5tupleIffNS6_9null_typeES8_S8_S8_S8_S8_S8_S8_EEEEZZNS1_27merge_sort_block_merge_implIS3_NS6_6detail15normal_iteratorINS6_10device_ptrIjEEEENSD_INSE_IS9_EEEEjNS1_19radix_merge_compareILb0ELb0EjNS0_19identity_decomposerEEEEE10hipError_tT0_T1_T2_jT3_P12ihipStream_tbPNSt15iterator_traitsISN_E10value_typeEPNST_ISO_E10value_typeEPSP_NS1_7vsmem_tEENKUlT_SN_SO_SP_E_clISG_PjSI_PS9_EESM_S12_SN_SO_SP_EUlS12_E1_NS1_11comp_targetILNS1_3genE2ELNS1_11target_archE906ELNS1_3gpuE6ELNS1_3repE0EEENS1_36merge_oddeven_config_static_selectorELNS0_4arch9wavefront6targetE0EEEvSO_.num_named_barrier, 0
	.set _ZN7rocprim17ROCPRIM_400000_NS6detail17trampoline_kernelINS0_14default_configENS1_38merge_sort_block_merge_config_selectorIjN6thrust23THRUST_200600_302600_NS5tupleIffNS6_9null_typeES8_S8_S8_S8_S8_S8_S8_EEEEZZNS1_27merge_sort_block_merge_implIS3_NS6_6detail15normal_iteratorINS6_10device_ptrIjEEEENSD_INSE_IS9_EEEEjNS1_19radix_merge_compareILb0ELb0EjNS0_19identity_decomposerEEEEE10hipError_tT0_T1_T2_jT3_P12ihipStream_tbPNSt15iterator_traitsISN_E10value_typeEPNST_ISO_E10value_typeEPSP_NS1_7vsmem_tEENKUlT_SN_SO_SP_E_clISG_PjSI_PS9_EESM_S12_SN_SO_SP_EUlS12_E1_NS1_11comp_targetILNS1_3genE2ELNS1_11target_archE906ELNS1_3gpuE6ELNS1_3repE0EEENS1_36merge_oddeven_config_static_selectorELNS0_4arch9wavefront6targetE0EEEvSO_.private_seg_size, 0
	.set _ZN7rocprim17ROCPRIM_400000_NS6detail17trampoline_kernelINS0_14default_configENS1_38merge_sort_block_merge_config_selectorIjN6thrust23THRUST_200600_302600_NS5tupleIffNS6_9null_typeES8_S8_S8_S8_S8_S8_S8_EEEEZZNS1_27merge_sort_block_merge_implIS3_NS6_6detail15normal_iteratorINS6_10device_ptrIjEEEENSD_INSE_IS9_EEEEjNS1_19radix_merge_compareILb0ELb0EjNS0_19identity_decomposerEEEEE10hipError_tT0_T1_T2_jT3_P12ihipStream_tbPNSt15iterator_traitsISN_E10value_typeEPNST_ISO_E10value_typeEPSP_NS1_7vsmem_tEENKUlT_SN_SO_SP_E_clISG_PjSI_PS9_EESM_S12_SN_SO_SP_EUlS12_E1_NS1_11comp_targetILNS1_3genE2ELNS1_11target_archE906ELNS1_3gpuE6ELNS1_3repE0EEENS1_36merge_oddeven_config_static_selectorELNS0_4arch9wavefront6targetE0EEEvSO_.uses_vcc, 0
	.set _ZN7rocprim17ROCPRIM_400000_NS6detail17trampoline_kernelINS0_14default_configENS1_38merge_sort_block_merge_config_selectorIjN6thrust23THRUST_200600_302600_NS5tupleIffNS6_9null_typeES8_S8_S8_S8_S8_S8_S8_EEEEZZNS1_27merge_sort_block_merge_implIS3_NS6_6detail15normal_iteratorINS6_10device_ptrIjEEEENSD_INSE_IS9_EEEEjNS1_19radix_merge_compareILb0ELb0EjNS0_19identity_decomposerEEEEE10hipError_tT0_T1_T2_jT3_P12ihipStream_tbPNSt15iterator_traitsISN_E10value_typeEPNST_ISO_E10value_typeEPSP_NS1_7vsmem_tEENKUlT_SN_SO_SP_E_clISG_PjSI_PS9_EESM_S12_SN_SO_SP_EUlS12_E1_NS1_11comp_targetILNS1_3genE2ELNS1_11target_archE906ELNS1_3gpuE6ELNS1_3repE0EEENS1_36merge_oddeven_config_static_selectorELNS0_4arch9wavefront6targetE0EEEvSO_.uses_flat_scratch, 0
	.set _ZN7rocprim17ROCPRIM_400000_NS6detail17trampoline_kernelINS0_14default_configENS1_38merge_sort_block_merge_config_selectorIjN6thrust23THRUST_200600_302600_NS5tupleIffNS6_9null_typeES8_S8_S8_S8_S8_S8_S8_EEEEZZNS1_27merge_sort_block_merge_implIS3_NS6_6detail15normal_iteratorINS6_10device_ptrIjEEEENSD_INSE_IS9_EEEEjNS1_19radix_merge_compareILb0ELb0EjNS0_19identity_decomposerEEEEE10hipError_tT0_T1_T2_jT3_P12ihipStream_tbPNSt15iterator_traitsISN_E10value_typeEPNST_ISO_E10value_typeEPSP_NS1_7vsmem_tEENKUlT_SN_SO_SP_E_clISG_PjSI_PS9_EESM_S12_SN_SO_SP_EUlS12_E1_NS1_11comp_targetILNS1_3genE2ELNS1_11target_archE906ELNS1_3gpuE6ELNS1_3repE0EEENS1_36merge_oddeven_config_static_selectorELNS0_4arch9wavefront6targetE0EEEvSO_.has_dyn_sized_stack, 0
	.set _ZN7rocprim17ROCPRIM_400000_NS6detail17trampoline_kernelINS0_14default_configENS1_38merge_sort_block_merge_config_selectorIjN6thrust23THRUST_200600_302600_NS5tupleIffNS6_9null_typeES8_S8_S8_S8_S8_S8_S8_EEEEZZNS1_27merge_sort_block_merge_implIS3_NS6_6detail15normal_iteratorINS6_10device_ptrIjEEEENSD_INSE_IS9_EEEEjNS1_19radix_merge_compareILb0ELb0EjNS0_19identity_decomposerEEEEE10hipError_tT0_T1_T2_jT3_P12ihipStream_tbPNSt15iterator_traitsISN_E10value_typeEPNST_ISO_E10value_typeEPSP_NS1_7vsmem_tEENKUlT_SN_SO_SP_E_clISG_PjSI_PS9_EESM_S12_SN_SO_SP_EUlS12_E1_NS1_11comp_targetILNS1_3genE2ELNS1_11target_archE906ELNS1_3gpuE6ELNS1_3repE0EEENS1_36merge_oddeven_config_static_selectorELNS0_4arch9wavefront6targetE0EEEvSO_.has_recursion, 0
	.set _ZN7rocprim17ROCPRIM_400000_NS6detail17trampoline_kernelINS0_14default_configENS1_38merge_sort_block_merge_config_selectorIjN6thrust23THRUST_200600_302600_NS5tupleIffNS6_9null_typeES8_S8_S8_S8_S8_S8_S8_EEEEZZNS1_27merge_sort_block_merge_implIS3_NS6_6detail15normal_iteratorINS6_10device_ptrIjEEEENSD_INSE_IS9_EEEEjNS1_19radix_merge_compareILb0ELb0EjNS0_19identity_decomposerEEEEE10hipError_tT0_T1_T2_jT3_P12ihipStream_tbPNSt15iterator_traitsISN_E10value_typeEPNST_ISO_E10value_typeEPSP_NS1_7vsmem_tEENKUlT_SN_SO_SP_E_clISG_PjSI_PS9_EESM_S12_SN_SO_SP_EUlS12_E1_NS1_11comp_targetILNS1_3genE2ELNS1_11target_archE906ELNS1_3gpuE6ELNS1_3repE0EEENS1_36merge_oddeven_config_static_selectorELNS0_4arch9wavefront6targetE0EEEvSO_.has_indirect_call, 0
	.section	.AMDGPU.csdata,"",@progbits
; Kernel info:
; codeLenInByte = 0
; TotalNumSgprs: 0
; NumVgprs: 0
; ScratchSize: 0
; MemoryBound: 0
; FloatMode: 240
; IeeeMode: 1
; LDSByteSize: 0 bytes/workgroup (compile time only)
; SGPRBlocks: 0
; VGPRBlocks: 0
; NumSGPRsForWavesPerEU: 1
; NumVGPRsForWavesPerEU: 1
; NamedBarCnt: 0
; Occupancy: 16
; WaveLimiterHint : 0
; COMPUTE_PGM_RSRC2:SCRATCH_EN: 0
; COMPUTE_PGM_RSRC2:USER_SGPR: 2
; COMPUTE_PGM_RSRC2:TRAP_HANDLER: 0
; COMPUTE_PGM_RSRC2:TGID_X_EN: 1
; COMPUTE_PGM_RSRC2:TGID_Y_EN: 0
; COMPUTE_PGM_RSRC2:TGID_Z_EN: 0
; COMPUTE_PGM_RSRC2:TIDIG_COMP_CNT: 0
	.section	.text._ZN7rocprim17ROCPRIM_400000_NS6detail17trampoline_kernelINS0_14default_configENS1_38merge_sort_block_merge_config_selectorIjN6thrust23THRUST_200600_302600_NS5tupleIffNS6_9null_typeES8_S8_S8_S8_S8_S8_S8_EEEEZZNS1_27merge_sort_block_merge_implIS3_NS6_6detail15normal_iteratorINS6_10device_ptrIjEEEENSD_INSE_IS9_EEEEjNS1_19radix_merge_compareILb0ELb0EjNS0_19identity_decomposerEEEEE10hipError_tT0_T1_T2_jT3_P12ihipStream_tbPNSt15iterator_traitsISN_E10value_typeEPNST_ISO_E10value_typeEPSP_NS1_7vsmem_tEENKUlT_SN_SO_SP_E_clISG_PjSI_PS9_EESM_S12_SN_SO_SP_EUlS12_E1_NS1_11comp_targetILNS1_3genE9ELNS1_11target_archE1100ELNS1_3gpuE3ELNS1_3repE0EEENS1_36merge_oddeven_config_static_selectorELNS0_4arch9wavefront6targetE0EEEvSO_,"axG",@progbits,_ZN7rocprim17ROCPRIM_400000_NS6detail17trampoline_kernelINS0_14default_configENS1_38merge_sort_block_merge_config_selectorIjN6thrust23THRUST_200600_302600_NS5tupleIffNS6_9null_typeES8_S8_S8_S8_S8_S8_S8_EEEEZZNS1_27merge_sort_block_merge_implIS3_NS6_6detail15normal_iteratorINS6_10device_ptrIjEEEENSD_INSE_IS9_EEEEjNS1_19radix_merge_compareILb0ELb0EjNS0_19identity_decomposerEEEEE10hipError_tT0_T1_T2_jT3_P12ihipStream_tbPNSt15iterator_traitsISN_E10value_typeEPNST_ISO_E10value_typeEPSP_NS1_7vsmem_tEENKUlT_SN_SO_SP_E_clISG_PjSI_PS9_EESM_S12_SN_SO_SP_EUlS12_E1_NS1_11comp_targetILNS1_3genE9ELNS1_11target_archE1100ELNS1_3gpuE3ELNS1_3repE0EEENS1_36merge_oddeven_config_static_selectorELNS0_4arch9wavefront6targetE0EEEvSO_,comdat
	.protected	_ZN7rocprim17ROCPRIM_400000_NS6detail17trampoline_kernelINS0_14default_configENS1_38merge_sort_block_merge_config_selectorIjN6thrust23THRUST_200600_302600_NS5tupleIffNS6_9null_typeES8_S8_S8_S8_S8_S8_S8_EEEEZZNS1_27merge_sort_block_merge_implIS3_NS6_6detail15normal_iteratorINS6_10device_ptrIjEEEENSD_INSE_IS9_EEEEjNS1_19radix_merge_compareILb0ELb0EjNS0_19identity_decomposerEEEEE10hipError_tT0_T1_T2_jT3_P12ihipStream_tbPNSt15iterator_traitsISN_E10value_typeEPNST_ISO_E10value_typeEPSP_NS1_7vsmem_tEENKUlT_SN_SO_SP_E_clISG_PjSI_PS9_EESM_S12_SN_SO_SP_EUlS12_E1_NS1_11comp_targetILNS1_3genE9ELNS1_11target_archE1100ELNS1_3gpuE3ELNS1_3repE0EEENS1_36merge_oddeven_config_static_selectorELNS0_4arch9wavefront6targetE0EEEvSO_ ; -- Begin function _ZN7rocprim17ROCPRIM_400000_NS6detail17trampoline_kernelINS0_14default_configENS1_38merge_sort_block_merge_config_selectorIjN6thrust23THRUST_200600_302600_NS5tupleIffNS6_9null_typeES8_S8_S8_S8_S8_S8_S8_EEEEZZNS1_27merge_sort_block_merge_implIS3_NS6_6detail15normal_iteratorINS6_10device_ptrIjEEEENSD_INSE_IS9_EEEEjNS1_19radix_merge_compareILb0ELb0EjNS0_19identity_decomposerEEEEE10hipError_tT0_T1_T2_jT3_P12ihipStream_tbPNSt15iterator_traitsISN_E10value_typeEPNST_ISO_E10value_typeEPSP_NS1_7vsmem_tEENKUlT_SN_SO_SP_E_clISG_PjSI_PS9_EESM_S12_SN_SO_SP_EUlS12_E1_NS1_11comp_targetILNS1_3genE9ELNS1_11target_archE1100ELNS1_3gpuE3ELNS1_3repE0EEENS1_36merge_oddeven_config_static_selectorELNS0_4arch9wavefront6targetE0EEEvSO_
	.globl	_ZN7rocprim17ROCPRIM_400000_NS6detail17trampoline_kernelINS0_14default_configENS1_38merge_sort_block_merge_config_selectorIjN6thrust23THRUST_200600_302600_NS5tupleIffNS6_9null_typeES8_S8_S8_S8_S8_S8_S8_EEEEZZNS1_27merge_sort_block_merge_implIS3_NS6_6detail15normal_iteratorINS6_10device_ptrIjEEEENSD_INSE_IS9_EEEEjNS1_19radix_merge_compareILb0ELb0EjNS0_19identity_decomposerEEEEE10hipError_tT0_T1_T2_jT3_P12ihipStream_tbPNSt15iterator_traitsISN_E10value_typeEPNST_ISO_E10value_typeEPSP_NS1_7vsmem_tEENKUlT_SN_SO_SP_E_clISG_PjSI_PS9_EESM_S12_SN_SO_SP_EUlS12_E1_NS1_11comp_targetILNS1_3genE9ELNS1_11target_archE1100ELNS1_3gpuE3ELNS1_3repE0EEENS1_36merge_oddeven_config_static_selectorELNS0_4arch9wavefront6targetE0EEEvSO_
	.p2align	8
	.type	_ZN7rocprim17ROCPRIM_400000_NS6detail17trampoline_kernelINS0_14default_configENS1_38merge_sort_block_merge_config_selectorIjN6thrust23THRUST_200600_302600_NS5tupleIffNS6_9null_typeES8_S8_S8_S8_S8_S8_S8_EEEEZZNS1_27merge_sort_block_merge_implIS3_NS6_6detail15normal_iteratorINS6_10device_ptrIjEEEENSD_INSE_IS9_EEEEjNS1_19radix_merge_compareILb0ELb0EjNS0_19identity_decomposerEEEEE10hipError_tT0_T1_T2_jT3_P12ihipStream_tbPNSt15iterator_traitsISN_E10value_typeEPNST_ISO_E10value_typeEPSP_NS1_7vsmem_tEENKUlT_SN_SO_SP_E_clISG_PjSI_PS9_EESM_S12_SN_SO_SP_EUlS12_E1_NS1_11comp_targetILNS1_3genE9ELNS1_11target_archE1100ELNS1_3gpuE3ELNS1_3repE0EEENS1_36merge_oddeven_config_static_selectorELNS0_4arch9wavefront6targetE0EEEvSO_,@function
_ZN7rocprim17ROCPRIM_400000_NS6detail17trampoline_kernelINS0_14default_configENS1_38merge_sort_block_merge_config_selectorIjN6thrust23THRUST_200600_302600_NS5tupleIffNS6_9null_typeES8_S8_S8_S8_S8_S8_S8_EEEEZZNS1_27merge_sort_block_merge_implIS3_NS6_6detail15normal_iteratorINS6_10device_ptrIjEEEENSD_INSE_IS9_EEEEjNS1_19radix_merge_compareILb0ELb0EjNS0_19identity_decomposerEEEEE10hipError_tT0_T1_T2_jT3_P12ihipStream_tbPNSt15iterator_traitsISN_E10value_typeEPNST_ISO_E10value_typeEPSP_NS1_7vsmem_tEENKUlT_SN_SO_SP_E_clISG_PjSI_PS9_EESM_S12_SN_SO_SP_EUlS12_E1_NS1_11comp_targetILNS1_3genE9ELNS1_11target_archE1100ELNS1_3gpuE3ELNS1_3repE0EEENS1_36merge_oddeven_config_static_selectorELNS0_4arch9wavefront6targetE0EEEvSO_: ; @_ZN7rocprim17ROCPRIM_400000_NS6detail17trampoline_kernelINS0_14default_configENS1_38merge_sort_block_merge_config_selectorIjN6thrust23THRUST_200600_302600_NS5tupleIffNS6_9null_typeES8_S8_S8_S8_S8_S8_S8_EEEEZZNS1_27merge_sort_block_merge_implIS3_NS6_6detail15normal_iteratorINS6_10device_ptrIjEEEENSD_INSE_IS9_EEEEjNS1_19radix_merge_compareILb0ELb0EjNS0_19identity_decomposerEEEEE10hipError_tT0_T1_T2_jT3_P12ihipStream_tbPNSt15iterator_traitsISN_E10value_typeEPNST_ISO_E10value_typeEPSP_NS1_7vsmem_tEENKUlT_SN_SO_SP_E_clISG_PjSI_PS9_EESM_S12_SN_SO_SP_EUlS12_E1_NS1_11comp_targetILNS1_3genE9ELNS1_11target_archE1100ELNS1_3gpuE3ELNS1_3repE0EEENS1_36merge_oddeven_config_static_selectorELNS0_4arch9wavefront6targetE0EEEvSO_
; %bb.0:
	.section	.rodata,"a",@progbits
	.p2align	6, 0x0
	.amdhsa_kernel _ZN7rocprim17ROCPRIM_400000_NS6detail17trampoline_kernelINS0_14default_configENS1_38merge_sort_block_merge_config_selectorIjN6thrust23THRUST_200600_302600_NS5tupleIffNS6_9null_typeES8_S8_S8_S8_S8_S8_S8_EEEEZZNS1_27merge_sort_block_merge_implIS3_NS6_6detail15normal_iteratorINS6_10device_ptrIjEEEENSD_INSE_IS9_EEEEjNS1_19radix_merge_compareILb0ELb0EjNS0_19identity_decomposerEEEEE10hipError_tT0_T1_T2_jT3_P12ihipStream_tbPNSt15iterator_traitsISN_E10value_typeEPNST_ISO_E10value_typeEPSP_NS1_7vsmem_tEENKUlT_SN_SO_SP_E_clISG_PjSI_PS9_EESM_S12_SN_SO_SP_EUlS12_E1_NS1_11comp_targetILNS1_3genE9ELNS1_11target_archE1100ELNS1_3gpuE3ELNS1_3repE0EEENS1_36merge_oddeven_config_static_selectorELNS0_4arch9wavefront6targetE0EEEvSO_
		.amdhsa_group_segment_fixed_size 0
		.amdhsa_private_segment_fixed_size 0
		.amdhsa_kernarg_size 48
		.amdhsa_user_sgpr_count 2
		.amdhsa_user_sgpr_dispatch_ptr 0
		.amdhsa_user_sgpr_queue_ptr 0
		.amdhsa_user_sgpr_kernarg_segment_ptr 1
		.amdhsa_user_sgpr_dispatch_id 0
		.amdhsa_user_sgpr_kernarg_preload_length 0
		.amdhsa_user_sgpr_kernarg_preload_offset 0
		.amdhsa_user_sgpr_private_segment_size 0
		.amdhsa_wavefront_size32 1
		.amdhsa_uses_dynamic_stack 0
		.amdhsa_enable_private_segment 0
		.amdhsa_system_sgpr_workgroup_id_x 1
		.amdhsa_system_sgpr_workgroup_id_y 0
		.amdhsa_system_sgpr_workgroup_id_z 0
		.amdhsa_system_sgpr_workgroup_info 0
		.amdhsa_system_vgpr_workitem_id 0
		.amdhsa_next_free_vgpr 1
		.amdhsa_next_free_sgpr 1
		.amdhsa_named_barrier_count 0
		.amdhsa_reserve_vcc 0
		.amdhsa_float_round_mode_32 0
		.amdhsa_float_round_mode_16_64 0
		.amdhsa_float_denorm_mode_32 3
		.amdhsa_float_denorm_mode_16_64 3
		.amdhsa_fp16_overflow 0
		.amdhsa_memory_ordered 1
		.amdhsa_forward_progress 1
		.amdhsa_inst_pref_size 0
		.amdhsa_round_robin_scheduling 0
		.amdhsa_exception_fp_ieee_invalid_op 0
		.amdhsa_exception_fp_denorm_src 0
		.amdhsa_exception_fp_ieee_div_zero 0
		.amdhsa_exception_fp_ieee_overflow 0
		.amdhsa_exception_fp_ieee_underflow 0
		.amdhsa_exception_fp_ieee_inexact 0
		.amdhsa_exception_int_div_zero 0
	.end_amdhsa_kernel
	.section	.text._ZN7rocprim17ROCPRIM_400000_NS6detail17trampoline_kernelINS0_14default_configENS1_38merge_sort_block_merge_config_selectorIjN6thrust23THRUST_200600_302600_NS5tupleIffNS6_9null_typeES8_S8_S8_S8_S8_S8_S8_EEEEZZNS1_27merge_sort_block_merge_implIS3_NS6_6detail15normal_iteratorINS6_10device_ptrIjEEEENSD_INSE_IS9_EEEEjNS1_19radix_merge_compareILb0ELb0EjNS0_19identity_decomposerEEEEE10hipError_tT0_T1_T2_jT3_P12ihipStream_tbPNSt15iterator_traitsISN_E10value_typeEPNST_ISO_E10value_typeEPSP_NS1_7vsmem_tEENKUlT_SN_SO_SP_E_clISG_PjSI_PS9_EESM_S12_SN_SO_SP_EUlS12_E1_NS1_11comp_targetILNS1_3genE9ELNS1_11target_archE1100ELNS1_3gpuE3ELNS1_3repE0EEENS1_36merge_oddeven_config_static_selectorELNS0_4arch9wavefront6targetE0EEEvSO_,"axG",@progbits,_ZN7rocprim17ROCPRIM_400000_NS6detail17trampoline_kernelINS0_14default_configENS1_38merge_sort_block_merge_config_selectorIjN6thrust23THRUST_200600_302600_NS5tupleIffNS6_9null_typeES8_S8_S8_S8_S8_S8_S8_EEEEZZNS1_27merge_sort_block_merge_implIS3_NS6_6detail15normal_iteratorINS6_10device_ptrIjEEEENSD_INSE_IS9_EEEEjNS1_19radix_merge_compareILb0ELb0EjNS0_19identity_decomposerEEEEE10hipError_tT0_T1_T2_jT3_P12ihipStream_tbPNSt15iterator_traitsISN_E10value_typeEPNST_ISO_E10value_typeEPSP_NS1_7vsmem_tEENKUlT_SN_SO_SP_E_clISG_PjSI_PS9_EESM_S12_SN_SO_SP_EUlS12_E1_NS1_11comp_targetILNS1_3genE9ELNS1_11target_archE1100ELNS1_3gpuE3ELNS1_3repE0EEENS1_36merge_oddeven_config_static_selectorELNS0_4arch9wavefront6targetE0EEEvSO_,comdat
.Lfunc_end71:
	.size	_ZN7rocprim17ROCPRIM_400000_NS6detail17trampoline_kernelINS0_14default_configENS1_38merge_sort_block_merge_config_selectorIjN6thrust23THRUST_200600_302600_NS5tupleIffNS6_9null_typeES8_S8_S8_S8_S8_S8_S8_EEEEZZNS1_27merge_sort_block_merge_implIS3_NS6_6detail15normal_iteratorINS6_10device_ptrIjEEEENSD_INSE_IS9_EEEEjNS1_19radix_merge_compareILb0ELb0EjNS0_19identity_decomposerEEEEE10hipError_tT0_T1_T2_jT3_P12ihipStream_tbPNSt15iterator_traitsISN_E10value_typeEPNST_ISO_E10value_typeEPSP_NS1_7vsmem_tEENKUlT_SN_SO_SP_E_clISG_PjSI_PS9_EESM_S12_SN_SO_SP_EUlS12_E1_NS1_11comp_targetILNS1_3genE9ELNS1_11target_archE1100ELNS1_3gpuE3ELNS1_3repE0EEENS1_36merge_oddeven_config_static_selectorELNS0_4arch9wavefront6targetE0EEEvSO_, .Lfunc_end71-_ZN7rocprim17ROCPRIM_400000_NS6detail17trampoline_kernelINS0_14default_configENS1_38merge_sort_block_merge_config_selectorIjN6thrust23THRUST_200600_302600_NS5tupleIffNS6_9null_typeES8_S8_S8_S8_S8_S8_S8_EEEEZZNS1_27merge_sort_block_merge_implIS3_NS6_6detail15normal_iteratorINS6_10device_ptrIjEEEENSD_INSE_IS9_EEEEjNS1_19radix_merge_compareILb0ELb0EjNS0_19identity_decomposerEEEEE10hipError_tT0_T1_T2_jT3_P12ihipStream_tbPNSt15iterator_traitsISN_E10value_typeEPNST_ISO_E10value_typeEPSP_NS1_7vsmem_tEENKUlT_SN_SO_SP_E_clISG_PjSI_PS9_EESM_S12_SN_SO_SP_EUlS12_E1_NS1_11comp_targetILNS1_3genE9ELNS1_11target_archE1100ELNS1_3gpuE3ELNS1_3repE0EEENS1_36merge_oddeven_config_static_selectorELNS0_4arch9wavefront6targetE0EEEvSO_
                                        ; -- End function
	.set _ZN7rocprim17ROCPRIM_400000_NS6detail17trampoline_kernelINS0_14default_configENS1_38merge_sort_block_merge_config_selectorIjN6thrust23THRUST_200600_302600_NS5tupleIffNS6_9null_typeES8_S8_S8_S8_S8_S8_S8_EEEEZZNS1_27merge_sort_block_merge_implIS3_NS6_6detail15normal_iteratorINS6_10device_ptrIjEEEENSD_INSE_IS9_EEEEjNS1_19radix_merge_compareILb0ELb0EjNS0_19identity_decomposerEEEEE10hipError_tT0_T1_T2_jT3_P12ihipStream_tbPNSt15iterator_traitsISN_E10value_typeEPNST_ISO_E10value_typeEPSP_NS1_7vsmem_tEENKUlT_SN_SO_SP_E_clISG_PjSI_PS9_EESM_S12_SN_SO_SP_EUlS12_E1_NS1_11comp_targetILNS1_3genE9ELNS1_11target_archE1100ELNS1_3gpuE3ELNS1_3repE0EEENS1_36merge_oddeven_config_static_selectorELNS0_4arch9wavefront6targetE0EEEvSO_.num_vgpr, 0
	.set _ZN7rocprim17ROCPRIM_400000_NS6detail17trampoline_kernelINS0_14default_configENS1_38merge_sort_block_merge_config_selectorIjN6thrust23THRUST_200600_302600_NS5tupleIffNS6_9null_typeES8_S8_S8_S8_S8_S8_S8_EEEEZZNS1_27merge_sort_block_merge_implIS3_NS6_6detail15normal_iteratorINS6_10device_ptrIjEEEENSD_INSE_IS9_EEEEjNS1_19radix_merge_compareILb0ELb0EjNS0_19identity_decomposerEEEEE10hipError_tT0_T1_T2_jT3_P12ihipStream_tbPNSt15iterator_traitsISN_E10value_typeEPNST_ISO_E10value_typeEPSP_NS1_7vsmem_tEENKUlT_SN_SO_SP_E_clISG_PjSI_PS9_EESM_S12_SN_SO_SP_EUlS12_E1_NS1_11comp_targetILNS1_3genE9ELNS1_11target_archE1100ELNS1_3gpuE3ELNS1_3repE0EEENS1_36merge_oddeven_config_static_selectorELNS0_4arch9wavefront6targetE0EEEvSO_.num_agpr, 0
	.set _ZN7rocprim17ROCPRIM_400000_NS6detail17trampoline_kernelINS0_14default_configENS1_38merge_sort_block_merge_config_selectorIjN6thrust23THRUST_200600_302600_NS5tupleIffNS6_9null_typeES8_S8_S8_S8_S8_S8_S8_EEEEZZNS1_27merge_sort_block_merge_implIS3_NS6_6detail15normal_iteratorINS6_10device_ptrIjEEEENSD_INSE_IS9_EEEEjNS1_19radix_merge_compareILb0ELb0EjNS0_19identity_decomposerEEEEE10hipError_tT0_T1_T2_jT3_P12ihipStream_tbPNSt15iterator_traitsISN_E10value_typeEPNST_ISO_E10value_typeEPSP_NS1_7vsmem_tEENKUlT_SN_SO_SP_E_clISG_PjSI_PS9_EESM_S12_SN_SO_SP_EUlS12_E1_NS1_11comp_targetILNS1_3genE9ELNS1_11target_archE1100ELNS1_3gpuE3ELNS1_3repE0EEENS1_36merge_oddeven_config_static_selectorELNS0_4arch9wavefront6targetE0EEEvSO_.numbered_sgpr, 0
	.set _ZN7rocprim17ROCPRIM_400000_NS6detail17trampoline_kernelINS0_14default_configENS1_38merge_sort_block_merge_config_selectorIjN6thrust23THRUST_200600_302600_NS5tupleIffNS6_9null_typeES8_S8_S8_S8_S8_S8_S8_EEEEZZNS1_27merge_sort_block_merge_implIS3_NS6_6detail15normal_iteratorINS6_10device_ptrIjEEEENSD_INSE_IS9_EEEEjNS1_19radix_merge_compareILb0ELb0EjNS0_19identity_decomposerEEEEE10hipError_tT0_T1_T2_jT3_P12ihipStream_tbPNSt15iterator_traitsISN_E10value_typeEPNST_ISO_E10value_typeEPSP_NS1_7vsmem_tEENKUlT_SN_SO_SP_E_clISG_PjSI_PS9_EESM_S12_SN_SO_SP_EUlS12_E1_NS1_11comp_targetILNS1_3genE9ELNS1_11target_archE1100ELNS1_3gpuE3ELNS1_3repE0EEENS1_36merge_oddeven_config_static_selectorELNS0_4arch9wavefront6targetE0EEEvSO_.num_named_barrier, 0
	.set _ZN7rocprim17ROCPRIM_400000_NS6detail17trampoline_kernelINS0_14default_configENS1_38merge_sort_block_merge_config_selectorIjN6thrust23THRUST_200600_302600_NS5tupleIffNS6_9null_typeES8_S8_S8_S8_S8_S8_S8_EEEEZZNS1_27merge_sort_block_merge_implIS3_NS6_6detail15normal_iteratorINS6_10device_ptrIjEEEENSD_INSE_IS9_EEEEjNS1_19radix_merge_compareILb0ELb0EjNS0_19identity_decomposerEEEEE10hipError_tT0_T1_T2_jT3_P12ihipStream_tbPNSt15iterator_traitsISN_E10value_typeEPNST_ISO_E10value_typeEPSP_NS1_7vsmem_tEENKUlT_SN_SO_SP_E_clISG_PjSI_PS9_EESM_S12_SN_SO_SP_EUlS12_E1_NS1_11comp_targetILNS1_3genE9ELNS1_11target_archE1100ELNS1_3gpuE3ELNS1_3repE0EEENS1_36merge_oddeven_config_static_selectorELNS0_4arch9wavefront6targetE0EEEvSO_.private_seg_size, 0
	.set _ZN7rocprim17ROCPRIM_400000_NS6detail17trampoline_kernelINS0_14default_configENS1_38merge_sort_block_merge_config_selectorIjN6thrust23THRUST_200600_302600_NS5tupleIffNS6_9null_typeES8_S8_S8_S8_S8_S8_S8_EEEEZZNS1_27merge_sort_block_merge_implIS3_NS6_6detail15normal_iteratorINS6_10device_ptrIjEEEENSD_INSE_IS9_EEEEjNS1_19radix_merge_compareILb0ELb0EjNS0_19identity_decomposerEEEEE10hipError_tT0_T1_T2_jT3_P12ihipStream_tbPNSt15iterator_traitsISN_E10value_typeEPNST_ISO_E10value_typeEPSP_NS1_7vsmem_tEENKUlT_SN_SO_SP_E_clISG_PjSI_PS9_EESM_S12_SN_SO_SP_EUlS12_E1_NS1_11comp_targetILNS1_3genE9ELNS1_11target_archE1100ELNS1_3gpuE3ELNS1_3repE0EEENS1_36merge_oddeven_config_static_selectorELNS0_4arch9wavefront6targetE0EEEvSO_.uses_vcc, 0
	.set _ZN7rocprim17ROCPRIM_400000_NS6detail17trampoline_kernelINS0_14default_configENS1_38merge_sort_block_merge_config_selectorIjN6thrust23THRUST_200600_302600_NS5tupleIffNS6_9null_typeES8_S8_S8_S8_S8_S8_S8_EEEEZZNS1_27merge_sort_block_merge_implIS3_NS6_6detail15normal_iteratorINS6_10device_ptrIjEEEENSD_INSE_IS9_EEEEjNS1_19radix_merge_compareILb0ELb0EjNS0_19identity_decomposerEEEEE10hipError_tT0_T1_T2_jT3_P12ihipStream_tbPNSt15iterator_traitsISN_E10value_typeEPNST_ISO_E10value_typeEPSP_NS1_7vsmem_tEENKUlT_SN_SO_SP_E_clISG_PjSI_PS9_EESM_S12_SN_SO_SP_EUlS12_E1_NS1_11comp_targetILNS1_3genE9ELNS1_11target_archE1100ELNS1_3gpuE3ELNS1_3repE0EEENS1_36merge_oddeven_config_static_selectorELNS0_4arch9wavefront6targetE0EEEvSO_.uses_flat_scratch, 0
	.set _ZN7rocprim17ROCPRIM_400000_NS6detail17trampoline_kernelINS0_14default_configENS1_38merge_sort_block_merge_config_selectorIjN6thrust23THRUST_200600_302600_NS5tupleIffNS6_9null_typeES8_S8_S8_S8_S8_S8_S8_EEEEZZNS1_27merge_sort_block_merge_implIS3_NS6_6detail15normal_iteratorINS6_10device_ptrIjEEEENSD_INSE_IS9_EEEEjNS1_19radix_merge_compareILb0ELb0EjNS0_19identity_decomposerEEEEE10hipError_tT0_T1_T2_jT3_P12ihipStream_tbPNSt15iterator_traitsISN_E10value_typeEPNST_ISO_E10value_typeEPSP_NS1_7vsmem_tEENKUlT_SN_SO_SP_E_clISG_PjSI_PS9_EESM_S12_SN_SO_SP_EUlS12_E1_NS1_11comp_targetILNS1_3genE9ELNS1_11target_archE1100ELNS1_3gpuE3ELNS1_3repE0EEENS1_36merge_oddeven_config_static_selectorELNS0_4arch9wavefront6targetE0EEEvSO_.has_dyn_sized_stack, 0
	.set _ZN7rocprim17ROCPRIM_400000_NS6detail17trampoline_kernelINS0_14default_configENS1_38merge_sort_block_merge_config_selectorIjN6thrust23THRUST_200600_302600_NS5tupleIffNS6_9null_typeES8_S8_S8_S8_S8_S8_S8_EEEEZZNS1_27merge_sort_block_merge_implIS3_NS6_6detail15normal_iteratorINS6_10device_ptrIjEEEENSD_INSE_IS9_EEEEjNS1_19radix_merge_compareILb0ELb0EjNS0_19identity_decomposerEEEEE10hipError_tT0_T1_T2_jT3_P12ihipStream_tbPNSt15iterator_traitsISN_E10value_typeEPNST_ISO_E10value_typeEPSP_NS1_7vsmem_tEENKUlT_SN_SO_SP_E_clISG_PjSI_PS9_EESM_S12_SN_SO_SP_EUlS12_E1_NS1_11comp_targetILNS1_3genE9ELNS1_11target_archE1100ELNS1_3gpuE3ELNS1_3repE0EEENS1_36merge_oddeven_config_static_selectorELNS0_4arch9wavefront6targetE0EEEvSO_.has_recursion, 0
	.set _ZN7rocprim17ROCPRIM_400000_NS6detail17trampoline_kernelINS0_14default_configENS1_38merge_sort_block_merge_config_selectorIjN6thrust23THRUST_200600_302600_NS5tupleIffNS6_9null_typeES8_S8_S8_S8_S8_S8_S8_EEEEZZNS1_27merge_sort_block_merge_implIS3_NS6_6detail15normal_iteratorINS6_10device_ptrIjEEEENSD_INSE_IS9_EEEEjNS1_19radix_merge_compareILb0ELb0EjNS0_19identity_decomposerEEEEE10hipError_tT0_T1_T2_jT3_P12ihipStream_tbPNSt15iterator_traitsISN_E10value_typeEPNST_ISO_E10value_typeEPSP_NS1_7vsmem_tEENKUlT_SN_SO_SP_E_clISG_PjSI_PS9_EESM_S12_SN_SO_SP_EUlS12_E1_NS1_11comp_targetILNS1_3genE9ELNS1_11target_archE1100ELNS1_3gpuE3ELNS1_3repE0EEENS1_36merge_oddeven_config_static_selectorELNS0_4arch9wavefront6targetE0EEEvSO_.has_indirect_call, 0
	.section	.AMDGPU.csdata,"",@progbits
; Kernel info:
; codeLenInByte = 0
; TotalNumSgprs: 0
; NumVgprs: 0
; ScratchSize: 0
; MemoryBound: 0
; FloatMode: 240
; IeeeMode: 1
; LDSByteSize: 0 bytes/workgroup (compile time only)
; SGPRBlocks: 0
; VGPRBlocks: 0
; NumSGPRsForWavesPerEU: 1
; NumVGPRsForWavesPerEU: 1
; NamedBarCnt: 0
; Occupancy: 16
; WaveLimiterHint : 0
; COMPUTE_PGM_RSRC2:SCRATCH_EN: 0
; COMPUTE_PGM_RSRC2:USER_SGPR: 2
; COMPUTE_PGM_RSRC2:TRAP_HANDLER: 0
; COMPUTE_PGM_RSRC2:TGID_X_EN: 1
; COMPUTE_PGM_RSRC2:TGID_Y_EN: 0
; COMPUTE_PGM_RSRC2:TGID_Z_EN: 0
; COMPUTE_PGM_RSRC2:TIDIG_COMP_CNT: 0
	.section	.text._ZN7rocprim17ROCPRIM_400000_NS6detail17trampoline_kernelINS0_14default_configENS1_38merge_sort_block_merge_config_selectorIjN6thrust23THRUST_200600_302600_NS5tupleIffNS6_9null_typeES8_S8_S8_S8_S8_S8_S8_EEEEZZNS1_27merge_sort_block_merge_implIS3_NS6_6detail15normal_iteratorINS6_10device_ptrIjEEEENSD_INSE_IS9_EEEEjNS1_19radix_merge_compareILb0ELb0EjNS0_19identity_decomposerEEEEE10hipError_tT0_T1_T2_jT3_P12ihipStream_tbPNSt15iterator_traitsISN_E10value_typeEPNST_ISO_E10value_typeEPSP_NS1_7vsmem_tEENKUlT_SN_SO_SP_E_clISG_PjSI_PS9_EESM_S12_SN_SO_SP_EUlS12_E1_NS1_11comp_targetILNS1_3genE8ELNS1_11target_archE1030ELNS1_3gpuE2ELNS1_3repE0EEENS1_36merge_oddeven_config_static_selectorELNS0_4arch9wavefront6targetE0EEEvSO_,"axG",@progbits,_ZN7rocprim17ROCPRIM_400000_NS6detail17trampoline_kernelINS0_14default_configENS1_38merge_sort_block_merge_config_selectorIjN6thrust23THRUST_200600_302600_NS5tupleIffNS6_9null_typeES8_S8_S8_S8_S8_S8_S8_EEEEZZNS1_27merge_sort_block_merge_implIS3_NS6_6detail15normal_iteratorINS6_10device_ptrIjEEEENSD_INSE_IS9_EEEEjNS1_19radix_merge_compareILb0ELb0EjNS0_19identity_decomposerEEEEE10hipError_tT0_T1_T2_jT3_P12ihipStream_tbPNSt15iterator_traitsISN_E10value_typeEPNST_ISO_E10value_typeEPSP_NS1_7vsmem_tEENKUlT_SN_SO_SP_E_clISG_PjSI_PS9_EESM_S12_SN_SO_SP_EUlS12_E1_NS1_11comp_targetILNS1_3genE8ELNS1_11target_archE1030ELNS1_3gpuE2ELNS1_3repE0EEENS1_36merge_oddeven_config_static_selectorELNS0_4arch9wavefront6targetE0EEEvSO_,comdat
	.protected	_ZN7rocprim17ROCPRIM_400000_NS6detail17trampoline_kernelINS0_14default_configENS1_38merge_sort_block_merge_config_selectorIjN6thrust23THRUST_200600_302600_NS5tupleIffNS6_9null_typeES8_S8_S8_S8_S8_S8_S8_EEEEZZNS1_27merge_sort_block_merge_implIS3_NS6_6detail15normal_iteratorINS6_10device_ptrIjEEEENSD_INSE_IS9_EEEEjNS1_19radix_merge_compareILb0ELb0EjNS0_19identity_decomposerEEEEE10hipError_tT0_T1_T2_jT3_P12ihipStream_tbPNSt15iterator_traitsISN_E10value_typeEPNST_ISO_E10value_typeEPSP_NS1_7vsmem_tEENKUlT_SN_SO_SP_E_clISG_PjSI_PS9_EESM_S12_SN_SO_SP_EUlS12_E1_NS1_11comp_targetILNS1_3genE8ELNS1_11target_archE1030ELNS1_3gpuE2ELNS1_3repE0EEENS1_36merge_oddeven_config_static_selectorELNS0_4arch9wavefront6targetE0EEEvSO_ ; -- Begin function _ZN7rocprim17ROCPRIM_400000_NS6detail17trampoline_kernelINS0_14default_configENS1_38merge_sort_block_merge_config_selectorIjN6thrust23THRUST_200600_302600_NS5tupleIffNS6_9null_typeES8_S8_S8_S8_S8_S8_S8_EEEEZZNS1_27merge_sort_block_merge_implIS3_NS6_6detail15normal_iteratorINS6_10device_ptrIjEEEENSD_INSE_IS9_EEEEjNS1_19radix_merge_compareILb0ELb0EjNS0_19identity_decomposerEEEEE10hipError_tT0_T1_T2_jT3_P12ihipStream_tbPNSt15iterator_traitsISN_E10value_typeEPNST_ISO_E10value_typeEPSP_NS1_7vsmem_tEENKUlT_SN_SO_SP_E_clISG_PjSI_PS9_EESM_S12_SN_SO_SP_EUlS12_E1_NS1_11comp_targetILNS1_3genE8ELNS1_11target_archE1030ELNS1_3gpuE2ELNS1_3repE0EEENS1_36merge_oddeven_config_static_selectorELNS0_4arch9wavefront6targetE0EEEvSO_
	.globl	_ZN7rocprim17ROCPRIM_400000_NS6detail17trampoline_kernelINS0_14default_configENS1_38merge_sort_block_merge_config_selectorIjN6thrust23THRUST_200600_302600_NS5tupleIffNS6_9null_typeES8_S8_S8_S8_S8_S8_S8_EEEEZZNS1_27merge_sort_block_merge_implIS3_NS6_6detail15normal_iteratorINS6_10device_ptrIjEEEENSD_INSE_IS9_EEEEjNS1_19radix_merge_compareILb0ELb0EjNS0_19identity_decomposerEEEEE10hipError_tT0_T1_T2_jT3_P12ihipStream_tbPNSt15iterator_traitsISN_E10value_typeEPNST_ISO_E10value_typeEPSP_NS1_7vsmem_tEENKUlT_SN_SO_SP_E_clISG_PjSI_PS9_EESM_S12_SN_SO_SP_EUlS12_E1_NS1_11comp_targetILNS1_3genE8ELNS1_11target_archE1030ELNS1_3gpuE2ELNS1_3repE0EEENS1_36merge_oddeven_config_static_selectorELNS0_4arch9wavefront6targetE0EEEvSO_
	.p2align	8
	.type	_ZN7rocprim17ROCPRIM_400000_NS6detail17trampoline_kernelINS0_14default_configENS1_38merge_sort_block_merge_config_selectorIjN6thrust23THRUST_200600_302600_NS5tupleIffNS6_9null_typeES8_S8_S8_S8_S8_S8_S8_EEEEZZNS1_27merge_sort_block_merge_implIS3_NS6_6detail15normal_iteratorINS6_10device_ptrIjEEEENSD_INSE_IS9_EEEEjNS1_19radix_merge_compareILb0ELb0EjNS0_19identity_decomposerEEEEE10hipError_tT0_T1_T2_jT3_P12ihipStream_tbPNSt15iterator_traitsISN_E10value_typeEPNST_ISO_E10value_typeEPSP_NS1_7vsmem_tEENKUlT_SN_SO_SP_E_clISG_PjSI_PS9_EESM_S12_SN_SO_SP_EUlS12_E1_NS1_11comp_targetILNS1_3genE8ELNS1_11target_archE1030ELNS1_3gpuE2ELNS1_3repE0EEENS1_36merge_oddeven_config_static_selectorELNS0_4arch9wavefront6targetE0EEEvSO_,@function
_ZN7rocprim17ROCPRIM_400000_NS6detail17trampoline_kernelINS0_14default_configENS1_38merge_sort_block_merge_config_selectorIjN6thrust23THRUST_200600_302600_NS5tupleIffNS6_9null_typeES8_S8_S8_S8_S8_S8_S8_EEEEZZNS1_27merge_sort_block_merge_implIS3_NS6_6detail15normal_iteratorINS6_10device_ptrIjEEEENSD_INSE_IS9_EEEEjNS1_19radix_merge_compareILb0ELb0EjNS0_19identity_decomposerEEEEE10hipError_tT0_T1_T2_jT3_P12ihipStream_tbPNSt15iterator_traitsISN_E10value_typeEPNST_ISO_E10value_typeEPSP_NS1_7vsmem_tEENKUlT_SN_SO_SP_E_clISG_PjSI_PS9_EESM_S12_SN_SO_SP_EUlS12_E1_NS1_11comp_targetILNS1_3genE8ELNS1_11target_archE1030ELNS1_3gpuE2ELNS1_3repE0EEENS1_36merge_oddeven_config_static_selectorELNS0_4arch9wavefront6targetE0EEEvSO_: ; @_ZN7rocprim17ROCPRIM_400000_NS6detail17trampoline_kernelINS0_14default_configENS1_38merge_sort_block_merge_config_selectorIjN6thrust23THRUST_200600_302600_NS5tupleIffNS6_9null_typeES8_S8_S8_S8_S8_S8_S8_EEEEZZNS1_27merge_sort_block_merge_implIS3_NS6_6detail15normal_iteratorINS6_10device_ptrIjEEEENSD_INSE_IS9_EEEEjNS1_19radix_merge_compareILb0ELb0EjNS0_19identity_decomposerEEEEE10hipError_tT0_T1_T2_jT3_P12ihipStream_tbPNSt15iterator_traitsISN_E10value_typeEPNST_ISO_E10value_typeEPSP_NS1_7vsmem_tEENKUlT_SN_SO_SP_E_clISG_PjSI_PS9_EESM_S12_SN_SO_SP_EUlS12_E1_NS1_11comp_targetILNS1_3genE8ELNS1_11target_archE1030ELNS1_3gpuE2ELNS1_3repE0EEENS1_36merge_oddeven_config_static_selectorELNS0_4arch9wavefront6targetE0EEEvSO_
; %bb.0:
	.section	.rodata,"a",@progbits
	.p2align	6, 0x0
	.amdhsa_kernel _ZN7rocprim17ROCPRIM_400000_NS6detail17trampoline_kernelINS0_14default_configENS1_38merge_sort_block_merge_config_selectorIjN6thrust23THRUST_200600_302600_NS5tupleIffNS6_9null_typeES8_S8_S8_S8_S8_S8_S8_EEEEZZNS1_27merge_sort_block_merge_implIS3_NS6_6detail15normal_iteratorINS6_10device_ptrIjEEEENSD_INSE_IS9_EEEEjNS1_19radix_merge_compareILb0ELb0EjNS0_19identity_decomposerEEEEE10hipError_tT0_T1_T2_jT3_P12ihipStream_tbPNSt15iterator_traitsISN_E10value_typeEPNST_ISO_E10value_typeEPSP_NS1_7vsmem_tEENKUlT_SN_SO_SP_E_clISG_PjSI_PS9_EESM_S12_SN_SO_SP_EUlS12_E1_NS1_11comp_targetILNS1_3genE8ELNS1_11target_archE1030ELNS1_3gpuE2ELNS1_3repE0EEENS1_36merge_oddeven_config_static_selectorELNS0_4arch9wavefront6targetE0EEEvSO_
		.amdhsa_group_segment_fixed_size 0
		.amdhsa_private_segment_fixed_size 0
		.amdhsa_kernarg_size 48
		.amdhsa_user_sgpr_count 2
		.amdhsa_user_sgpr_dispatch_ptr 0
		.amdhsa_user_sgpr_queue_ptr 0
		.amdhsa_user_sgpr_kernarg_segment_ptr 1
		.amdhsa_user_sgpr_dispatch_id 0
		.amdhsa_user_sgpr_kernarg_preload_length 0
		.amdhsa_user_sgpr_kernarg_preload_offset 0
		.amdhsa_user_sgpr_private_segment_size 0
		.amdhsa_wavefront_size32 1
		.amdhsa_uses_dynamic_stack 0
		.amdhsa_enable_private_segment 0
		.amdhsa_system_sgpr_workgroup_id_x 1
		.amdhsa_system_sgpr_workgroup_id_y 0
		.amdhsa_system_sgpr_workgroup_id_z 0
		.amdhsa_system_sgpr_workgroup_info 0
		.amdhsa_system_vgpr_workitem_id 0
		.amdhsa_next_free_vgpr 1
		.amdhsa_next_free_sgpr 1
		.amdhsa_named_barrier_count 0
		.amdhsa_reserve_vcc 0
		.amdhsa_float_round_mode_32 0
		.amdhsa_float_round_mode_16_64 0
		.amdhsa_float_denorm_mode_32 3
		.amdhsa_float_denorm_mode_16_64 3
		.amdhsa_fp16_overflow 0
		.amdhsa_memory_ordered 1
		.amdhsa_forward_progress 1
		.amdhsa_inst_pref_size 0
		.amdhsa_round_robin_scheduling 0
		.amdhsa_exception_fp_ieee_invalid_op 0
		.amdhsa_exception_fp_denorm_src 0
		.amdhsa_exception_fp_ieee_div_zero 0
		.amdhsa_exception_fp_ieee_overflow 0
		.amdhsa_exception_fp_ieee_underflow 0
		.amdhsa_exception_fp_ieee_inexact 0
		.amdhsa_exception_int_div_zero 0
	.end_amdhsa_kernel
	.section	.text._ZN7rocprim17ROCPRIM_400000_NS6detail17trampoline_kernelINS0_14default_configENS1_38merge_sort_block_merge_config_selectorIjN6thrust23THRUST_200600_302600_NS5tupleIffNS6_9null_typeES8_S8_S8_S8_S8_S8_S8_EEEEZZNS1_27merge_sort_block_merge_implIS3_NS6_6detail15normal_iteratorINS6_10device_ptrIjEEEENSD_INSE_IS9_EEEEjNS1_19radix_merge_compareILb0ELb0EjNS0_19identity_decomposerEEEEE10hipError_tT0_T1_T2_jT3_P12ihipStream_tbPNSt15iterator_traitsISN_E10value_typeEPNST_ISO_E10value_typeEPSP_NS1_7vsmem_tEENKUlT_SN_SO_SP_E_clISG_PjSI_PS9_EESM_S12_SN_SO_SP_EUlS12_E1_NS1_11comp_targetILNS1_3genE8ELNS1_11target_archE1030ELNS1_3gpuE2ELNS1_3repE0EEENS1_36merge_oddeven_config_static_selectorELNS0_4arch9wavefront6targetE0EEEvSO_,"axG",@progbits,_ZN7rocprim17ROCPRIM_400000_NS6detail17trampoline_kernelINS0_14default_configENS1_38merge_sort_block_merge_config_selectorIjN6thrust23THRUST_200600_302600_NS5tupleIffNS6_9null_typeES8_S8_S8_S8_S8_S8_S8_EEEEZZNS1_27merge_sort_block_merge_implIS3_NS6_6detail15normal_iteratorINS6_10device_ptrIjEEEENSD_INSE_IS9_EEEEjNS1_19radix_merge_compareILb0ELb0EjNS0_19identity_decomposerEEEEE10hipError_tT0_T1_T2_jT3_P12ihipStream_tbPNSt15iterator_traitsISN_E10value_typeEPNST_ISO_E10value_typeEPSP_NS1_7vsmem_tEENKUlT_SN_SO_SP_E_clISG_PjSI_PS9_EESM_S12_SN_SO_SP_EUlS12_E1_NS1_11comp_targetILNS1_3genE8ELNS1_11target_archE1030ELNS1_3gpuE2ELNS1_3repE0EEENS1_36merge_oddeven_config_static_selectorELNS0_4arch9wavefront6targetE0EEEvSO_,comdat
.Lfunc_end72:
	.size	_ZN7rocprim17ROCPRIM_400000_NS6detail17trampoline_kernelINS0_14default_configENS1_38merge_sort_block_merge_config_selectorIjN6thrust23THRUST_200600_302600_NS5tupleIffNS6_9null_typeES8_S8_S8_S8_S8_S8_S8_EEEEZZNS1_27merge_sort_block_merge_implIS3_NS6_6detail15normal_iteratorINS6_10device_ptrIjEEEENSD_INSE_IS9_EEEEjNS1_19radix_merge_compareILb0ELb0EjNS0_19identity_decomposerEEEEE10hipError_tT0_T1_T2_jT3_P12ihipStream_tbPNSt15iterator_traitsISN_E10value_typeEPNST_ISO_E10value_typeEPSP_NS1_7vsmem_tEENKUlT_SN_SO_SP_E_clISG_PjSI_PS9_EESM_S12_SN_SO_SP_EUlS12_E1_NS1_11comp_targetILNS1_3genE8ELNS1_11target_archE1030ELNS1_3gpuE2ELNS1_3repE0EEENS1_36merge_oddeven_config_static_selectorELNS0_4arch9wavefront6targetE0EEEvSO_, .Lfunc_end72-_ZN7rocprim17ROCPRIM_400000_NS6detail17trampoline_kernelINS0_14default_configENS1_38merge_sort_block_merge_config_selectorIjN6thrust23THRUST_200600_302600_NS5tupleIffNS6_9null_typeES8_S8_S8_S8_S8_S8_S8_EEEEZZNS1_27merge_sort_block_merge_implIS3_NS6_6detail15normal_iteratorINS6_10device_ptrIjEEEENSD_INSE_IS9_EEEEjNS1_19radix_merge_compareILb0ELb0EjNS0_19identity_decomposerEEEEE10hipError_tT0_T1_T2_jT3_P12ihipStream_tbPNSt15iterator_traitsISN_E10value_typeEPNST_ISO_E10value_typeEPSP_NS1_7vsmem_tEENKUlT_SN_SO_SP_E_clISG_PjSI_PS9_EESM_S12_SN_SO_SP_EUlS12_E1_NS1_11comp_targetILNS1_3genE8ELNS1_11target_archE1030ELNS1_3gpuE2ELNS1_3repE0EEENS1_36merge_oddeven_config_static_selectorELNS0_4arch9wavefront6targetE0EEEvSO_
                                        ; -- End function
	.set _ZN7rocprim17ROCPRIM_400000_NS6detail17trampoline_kernelINS0_14default_configENS1_38merge_sort_block_merge_config_selectorIjN6thrust23THRUST_200600_302600_NS5tupleIffNS6_9null_typeES8_S8_S8_S8_S8_S8_S8_EEEEZZNS1_27merge_sort_block_merge_implIS3_NS6_6detail15normal_iteratorINS6_10device_ptrIjEEEENSD_INSE_IS9_EEEEjNS1_19radix_merge_compareILb0ELb0EjNS0_19identity_decomposerEEEEE10hipError_tT0_T1_T2_jT3_P12ihipStream_tbPNSt15iterator_traitsISN_E10value_typeEPNST_ISO_E10value_typeEPSP_NS1_7vsmem_tEENKUlT_SN_SO_SP_E_clISG_PjSI_PS9_EESM_S12_SN_SO_SP_EUlS12_E1_NS1_11comp_targetILNS1_3genE8ELNS1_11target_archE1030ELNS1_3gpuE2ELNS1_3repE0EEENS1_36merge_oddeven_config_static_selectorELNS0_4arch9wavefront6targetE0EEEvSO_.num_vgpr, 0
	.set _ZN7rocprim17ROCPRIM_400000_NS6detail17trampoline_kernelINS0_14default_configENS1_38merge_sort_block_merge_config_selectorIjN6thrust23THRUST_200600_302600_NS5tupleIffNS6_9null_typeES8_S8_S8_S8_S8_S8_S8_EEEEZZNS1_27merge_sort_block_merge_implIS3_NS6_6detail15normal_iteratorINS6_10device_ptrIjEEEENSD_INSE_IS9_EEEEjNS1_19radix_merge_compareILb0ELb0EjNS0_19identity_decomposerEEEEE10hipError_tT0_T1_T2_jT3_P12ihipStream_tbPNSt15iterator_traitsISN_E10value_typeEPNST_ISO_E10value_typeEPSP_NS1_7vsmem_tEENKUlT_SN_SO_SP_E_clISG_PjSI_PS9_EESM_S12_SN_SO_SP_EUlS12_E1_NS1_11comp_targetILNS1_3genE8ELNS1_11target_archE1030ELNS1_3gpuE2ELNS1_3repE0EEENS1_36merge_oddeven_config_static_selectorELNS0_4arch9wavefront6targetE0EEEvSO_.num_agpr, 0
	.set _ZN7rocprim17ROCPRIM_400000_NS6detail17trampoline_kernelINS0_14default_configENS1_38merge_sort_block_merge_config_selectorIjN6thrust23THRUST_200600_302600_NS5tupleIffNS6_9null_typeES8_S8_S8_S8_S8_S8_S8_EEEEZZNS1_27merge_sort_block_merge_implIS3_NS6_6detail15normal_iteratorINS6_10device_ptrIjEEEENSD_INSE_IS9_EEEEjNS1_19radix_merge_compareILb0ELb0EjNS0_19identity_decomposerEEEEE10hipError_tT0_T1_T2_jT3_P12ihipStream_tbPNSt15iterator_traitsISN_E10value_typeEPNST_ISO_E10value_typeEPSP_NS1_7vsmem_tEENKUlT_SN_SO_SP_E_clISG_PjSI_PS9_EESM_S12_SN_SO_SP_EUlS12_E1_NS1_11comp_targetILNS1_3genE8ELNS1_11target_archE1030ELNS1_3gpuE2ELNS1_3repE0EEENS1_36merge_oddeven_config_static_selectorELNS0_4arch9wavefront6targetE0EEEvSO_.numbered_sgpr, 0
	.set _ZN7rocprim17ROCPRIM_400000_NS6detail17trampoline_kernelINS0_14default_configENS1_38merge_sort_block_merge_config_selectorIjN6thrust23THRUST_200600_302600_NS5tupleIffNS6_9null_typeES8_S8_S8_S8_S8_S8_S8_EEEEZZNS1_27merge_sort_block_merge_implIS3_NS6_6detail15normal_iteratorINS6_10device_ptrIjEEEENSD_INSE_IS9_EEEEjNS1_19radix_merge_compareILb0ELb0EjNS0_19identity_decomposerEEEEE10hipError_tT0_T1_T2_jT3_P12ihipStream_tbPNSt15iterator_traitsISN_E10value_typeEPNST_ISO_E10value_typeEPSP_NS1_7vsmem_tEENKUlT_SN_SO_SP_E_clISG_PjSI_PS9_EESM_S12_SN_SO_SP_EUlS12_E1_NS1_11comp_targetILNS1_3genE8ELNS1_11target_archE1030ELNS1_3gpuE2ELNS1_3repE0EEENS1_36merge_oddeven_config_static_selectorELNS0_4arch9wavefront6targetE0EEEvSO_.num_named_barrier, 0
	.set _ZN7rocprim17ROCPRIM_400000_NS6detail17trampoline_kernelINS0_14default_configENS1_38merge_sort_block_merge_config_selectorIjN6thrust23THRUST_200600_302600_NS5tupleIffNS6_9null_typeES8_S8_S8_S8_S8_S8_S8_EEEEZZNS1_27merge_sort_block_merge_implIS3_NS6_6detail15normal_iteratorINS6_10device_ptrIjEEEENSD_INSE_IS9_EEEEjNS1_19radix_merge_compareILb0ELb0EjNS0_19identity_decomposerEEEEE10hipError_tT0_T1_T2_jT3_P12ihipStream_tbPNSt15iterator_traitsISN_E10value_typeEPNST_ISO_E10value_typeEPSP_NS1_7vsmem_tEENKUlT_SN_SO_SP_E_clISG_PjSI_PS9_EESM_S12_SN_SO_SP_EUlS12_E1_NS1_11comp_targetILNS1_3genE8ELNS1_11target_archE1030ELNS1_3gpuE2ELNS1_3repE0EEENS1_36merge_oddeven_config_static_selectorELNS0_4arch9wavefront6targetE0EEEvSO_.private_seg_size, 0
	.set _ZN7rocprim17ROCPRIM_400000_NS6detail17trampoline_kernelINS0_14default_configENS1_38merge_sort_block_merge_config_selectorIjN6thrust23THRUST_200600_302600_NS5tupleIffNS6_9null_typeES8_S8_S8_S8_S8_S8_S8_EEEEZZNS1_27merge_sort_block_merge_implIS3_NS6_6detail15normal_iteratorINS6_10device_ptrIjEEEENSD_INSE_IS9_EEEEjNS1_19radix_merge_compareILb0ELb0EjNS0_19identity_decomposerEEEEE10hipError_tT0_T1_T2_jT3_P12ihipStream_tbPNSt15iterator_traitsISN_E10value_typeEPNST_ISO_E10value_typeEPSP_NS1_7vsmem_tEENKUlT_SN_SO_SP_E_clISG_PjSI_PS9_EESM_S12_SN_SO_SP_EUlS12_E1_NS1_11comp_targetILNS1_3genE8ELNS1_11target_archE1030ELNS1_3gpuE2ELNS1_3repE0EEENS1_36merge_oddeven_config_static_selectorELNS0_4arch9wavefront6targetE0EEEvSO_.uses_vcc, 0
	.set _ZN7rocprim17ROCPRIM_400000_NS6detail17trampoline_kernelINS0_14default_configENS1_38merge_sort_block_merge_config_selectorIjN6thrust23THRUST_200600_302600_NS5tupleIffNS6_9null_typeES8_S8_S8_S8_S8_S8_S8_EEEEZZNS1_27merge_sort_block_merge_implIS3_NS6_6detail15normal_iteratorINS6_10device_ptrIjEEEENSD_INSE_IS9_EEEEjNS1_19radix_merge_compareILb0ELb0EjNS0_19identity_decomposerEEEEE10hipError_tT0_T1_T2_jT3_P12ihipStream_tbPNSt15iterator_traitsISN_E10value_typeEPNST_ISO_E10value_typeEPSP_NS1_7vsmem_tEENKUlT_SN_SO_SP_E_clISG_PjSI_PS9_EESM_S12_SN_SO_SP_EUlS12_E1_NS1_11comp_targetILNS1_3genE8ELNS1_11target_archE1030ELNS1_3gpuE2ELNS1_3repE0EEENS1_36merge_oddeven_config_static_selectorELNS0_4arch9wavefront6targetE0EEEvSO_.uses_flat_scratch, 0
	.set _ZN7rocprim17ROCPRIM_400000_NS6detail17trampoline_kernelINS0_14default_configENS1_38merge_sort_block_merge_config_selectorIjN6thrust23THRUST_200600_302600_NS5tupleIffNS6_9null_typeES8_S8_S8_S8_S8_S8_S8_EEEEZZNS1_27merge_sort_block_merge_implIS3_NS6_6detail15normal_iteratorINS6_10device_ptrIjEEEENSD_INSE_IS9_EEEEjNS1_19radix_merge_compareILb0ELb0EjNS0_19identity_decomposerEEEEE10hipError_tT0_T1_T2_jT3_P12ihipStream_tbPNSt15iterator_traitsISN_E10value_typeEPNST_ISO_E10value_typeEPSP_NS1_7vsmem_tEENKUlT_SN_SO_SP_E_clISG_PjSI_PS9_EESM_S12_SN_SO_SP_EUlS12_E1_NS1_11comp_targetILNS1_3genE8ELNS1_11target_archE1030ELNS1_3gpuE2ELNS1_3repE0EEENS1_36merge_oddeven_config_static_selectorELNS0_4arch9wavefront6targetE0EEEvSO_.has_dyn_sized_stack, 0
	.set _ZN7rocprim17ROCPRIM_400000_NS6detail17trampoline_kernelINS0_14default_configENS1_38merge_sort_block_merge_config_selectorIjN6thrust23THRUST_200600_302600_NS5tupleIffNS6_9null_typeES8_S8_S8_S8_S8_S8_S8_EEEEZZNS1_27merge_sort_block_merge_implIS3_NS6_6detail15normal_iteratorINS6_10device_ptrIjEEEENSD_INSE_IS9_EEEEjNS1_19radix_merge_compareILb0ELb0EjNS0_19identity_decomposerEEEEE10hipError_tT0_T1_T2_jT3_P12ihipStream_tbPNSt15iterator_traitsISN_E10value_typeEPNST_ISO_E10value_typeEPSP_NS1_7vsmem_tEENKUlT_SN_SO_SP_E_clISG_PjSI_PS9_EESM_S12_SN_SO_SP_EUlS12_E1_NS1_11comp_targetILNS1_3genE8ELNS1_11target_archE1030ELNS1_3gpuE2ELNS1_3repE0EEENS1_36merge_oddeven_config_static_selectorELNS0_4arch9wavefront6targetE0EEEvSO_.has_recursion, 0
	.set _ZN7rocprim17ROCPRIM_400000_NS6detail17trampoline_kernelINS0_14default_configENS1_38merge_sort_block_merge_config_selectorIjN6thrust23THRUST_200600_302600_NS5tupleIffNS6_9null_typeES8_S8_S8_S8_S8_S8_S8_EEEEZZNS1_27merge_sort_block_merge_implIS3_NS6_6detail15normal_iteratorINS6_10device_ptrIjEEEENSD_INSE_IS9_EEEEjNS1_19radix_merge_compareILb0ELb0EjNS0_19identity_decomposerEEEEE10hipError_tT0_T1_T2_jT3_P12ihipStream_tbPNSt15iterator_traitsISN_E10value_typeEPNST_ISO_E10value_typeEPSP_NS1_7vsmem_tEENKUlT_SN_SO_SP_E_clISG_PjSI_PS9_EESM_S12_SN_SO_SP_EUlS12_E1_NS1_11comp_targetILNS1_3genE8ELNS1_11target_archE1030ELNS1_3gpuE2ELNS1_3repE0EEENS1_36merge_oddeven_config_static_selectorELNS0_4arch9wavefront6targetE0EEEvSO_.has_indirect_call, 0
	.section	.AMDGPU.csdata,"",@progbits
; Kernel info:
; codeLenInByte = 0
; TotalNumSgprs: 0
; NumVgprs: 0
; ScratchSize: 0
; MemoryBound: 0
; FloatMode: 240
; IeeeMode: 1
; LDSByteSize: 0 bytes/workgroup (compile time only)
; SGPRBlocks: 0
; VGPRBlocks: 0
; NumSGPRsForWavesPerEU: 1
; NumVGPRsForWavesPerEU: 1
; NamedBarCnt: 0
; Occupancy: 16
; WaveLimiterHint : 0
; COMPUTE_PGM_RSRC2:SCRATCH_EN: 0
; COMPUTE_PGM_RSRC2:USER_SGPR: 2
; COMPUTE_PGM_RSRC2:TRAP_HANDLER: 0
; COMPUTE_PGM_RSRC2:TGID_X_EN: 1
; COMPUTE_PGM_RSRC2:TGID_Y_EN: 0
; COMPUTE_PGM_RSRC2:TGID_Z_EN: 0
; COMPUTE_PGM_RSRC2:TIDIG_COMP_CNT: 0
	.section	.text._ZN7rocprim17ROCPRIM_400000_NS6detail17trampoline_kernelINS0_14default_configENS1_25transform_config_selectorIjLb0EEEZNS1_14transform_implILb0ES3_S5_PjN6thrust23THRUST_200600_302600_NS6detail15normal_iteratorINS9_10device_ptrIjEEEENS0_8identityIjEEEE10hipError_tT2_T3_mT4_P12ihipStream_tbEUlT_E_NS1_11comp_targetILNS1_3genE0ELNS1_11target_archE4294967295ELNS1_3gpuE0ELNS1_3repE0EEENS1_30default_config_static_selectorELNS0_4arch9wavefront6targetE0EEEvT1_,"axG",@progbits,_ZN7rocprim17ROCPRIM_400000_NS6detail17trampoline_kernelINS0_14default_configENS1_25transform_config_selectorIjLb0EEEZNS1_14transform_implILb0ES3_S5_PjN6thrust23THRUST_200600_302600_NS6detail15normal_iteratorINS9_10device_ptrIjEEEENS0_8identityIjEEEE10hipError_tT2_T3_mT4_P12ihipStream_tbEUlT_E_NS1_11comp_targetILNS1_3genE0ELNS1_11target_archE4294967295ELNS1_3gpuE0ELNS1_3repE0EEENS1_30default_config_static_selectorELNS0_4arch9wavefront6targetE0EEEvT1_,comdat
	.protected	_ZN7rocprim17ROCPRIM_400000_NS6detail17trampoline_kernelINS0_14default_configENS1_25transform_config_selectorIjLb0EEEZNS1_14transform_implILb0ES3_S5_PjN6thrust23THRUST_200600_302600_NS6detail15normal_iteratorINS9_10device_ptrIjEEEENS0_8identityIjEEEE10hipError_tT2_T3_mT4_P12ihipStream_tbEUlT_E_NS1_11comp_targetILNS1_3genE0ELNS1_11target_archE4294967295ELNS1_3gpuE0ELNS1_3repE0EEENS1_30default_config_static_selectorELNS0_4arch9wavefront6targetE0EEEvT1_ ; -- Begin function _ZN7rocprim17ROCPRIM_400000_NS6detail17trampoline_kernelINS0_14default_configENS1_25transform_config_selectorIjLb0EEEZNS1_14transform_implILb0ES3_S5_PjN6thrust23THRUST_200600_302600_NS6detail15normal_iteratorINS9_10device_ptrIjEEEENS0_8identityIjEEEE10hipError_tT2_T3_mT4_P12ihipStream_tbEUlT_E_NS1_11comp_targetILNS1_3genE0ELNS1_11target_archE4294967295ELNS1_3gpuE0ELNS1_3repE0EEENS1_30default_config_static_selectorELNS0_4arch9wavefront6targetE0EEEvT1_
	.globl	_ZN7rocprim17ROCPRIM_400000_NS6detail17trampoline_kernelINS0_14default_configENS1_25transform_config_selectorIjLb0EEEZNS1_14transform_implILb0ES3_S5_PjN6thrust23THRUST_200600_302600_NS6detail15normal_iteratorINS9_10device_ptrIjEEEENS0_8identityIjEEEE10hipError_tT2_T3_mT4_P12ihipStream_tbEUlT_E_NS1_11comp_targetILNS1_3genE0ELNS1_11target_archE4294967295ELNS1_3gpuE0ELNS1_3repE0EEENS1_30default_config_static_selectorELNS0_4arch9wavefront6targetE0EEEvT1_
	.p2align	8
	.type	_ZN7rocprim17ROCPRIM_400000_NS6detail17trampoline_kernelINS0_14default_configENS1_25transform_config_selectorIjLb0EEEZNS1_14transform_implILb0ES3_S5_PjN6thrust23THRUST_200600_302600_NS6detail15normal_iteratorINS9_10device_ptrIjEEEENS0_8identityIjEEEE10hipError_tT2_T3_mT4_P12ihipStream_tbEUlT_E_NS1_11comp_targetILNS1_3genE0ELNS1_11target_archE4294967295ELNS1_3gpuE0ELNS1_3repE0EEENS1_30default_config_static_selectorELNS0_4arch9wavefront6targetE0EEEvT1_,@function
_ZN7rocprim17ROCPRIM_400000_NS6detail17trampoline_kernelINS0_14default_configENS1_25transform_config_selectorIjLb0EEEZNS1_14transform_implILb0ES3_S5_PjN6thrust23THRUST_200600_302600_NS6detail15normal_iteratorINS9_10device_ptrIjEEEENS0_8identityIjEEEE10hipError_tT2_T3_mT4_P12ihipStream_tbEUlT_E_NS1_11comp_targetILNS1_3genE0ELNS1_11target_archE4294967295ELNS1_3gpuE0ELNS1_3repE0EEENS1_30default_config_static_selectorELNS0_4arch9wavefront6targetE0EEEvT1_: ; @_ZN7rocprim17ROCPRIM_400000_NS6detail17trampoline_kernelINS0_14default_configENS1_25transform_config_selectorIjLb0EEEZNS1_14transform_implILb0ES3_S5_PjN6thrust23THRUST_200600_302600_NS6detail15normal_iteratorINS9_10device_ptrIjEEEENS0_8identityIjEEEE10hipError_tT2_T3_mT4_P12ihipStream_tbEUlT_E_NS1_11comp_targetILNS1_3genE0ELNS1_11target_archE4294967295ELNS1_3gpuE0ELNS1_3repE0EEENS1_30default_config_static_selectorELNS0_4arch9wavefront6targetE0EEEvT1_
; %bb.0:
	s_load_b256 s[4:11], s[0:1], 0x0
	s_wait_kmcnt 0x0
	s_load_b32 s9, s[0:1], 0x28
                                        ; kill: killed $sgpr0_sgpr1
	s_wait_xcnt 0x0
	s_bfe_u32 s0, ttmp6, 0x4000c
	s_and_b32 s1, ttmp6, 15
	s_add_co_i32 s0, s0, 1
	s_getreg_b32 s2, hwreg(HW_REG_IB_STS2, 6, 4)
	s_mul_i32 s0, ttmp9, s0
	s_mov_b32 s3, 0
	s_add_co_i32 s14, s1, s0
	s_lshl_b64 s[0:1], s[6:7], 2
	s_cmp_eq_u32 s2, 0
	s_add_nc_u64 s[12:13], s[4:5], s[0:1]
	s_cselect_b32 s14, ttmp9, s14
	s_wait_kmcnt 0x0
	s_add_co_i32 s9, s9, -1
	s_lshl_b32 s2, s14, 8
	s_add_nc_u64 s[4:5], s[10:11], s[0:1]
	s_lshl_b64 s[6:7], s[2:3], 2
	s_mov_b32 s0, -1
	s_cmp_lg_u32 s14, s9
	s_add_nc_u64 s[10:11], s[12:13], s[6:7]
	s_cbranch_scc0 .LBB73_2
; %bb.1:
	s_clause 0x1
	global_load_b32 v6, v0, s[10:11] scale_offset
	global_load_b32 v1, v0, s[10:11] offset:512 scale_offset
	v_dual_mov_b32 v3, 0 :: v_dual_lshlrev_b32 v2, 2, v0
	s_add_nc_u64 s[12:13], s[4:5], s[6:7]
	s_mov_b32 s3, -1
	s_delay_alu instid0(VALU_DEP_1)
	v_add_nc_u64_e32 v[4:5], s[12:13], v[2:3]
	s_wait_loadcnt 0x1
	flat_store_b32 v0, v6, s[12:13] scale_offset
	s_cbranch_execz .LBB73_3
	s_branch .LBB73_12
.LBB73_2:
                                        ; implicit-def: $vgpr1
                                        ; implicit-def: $vgpr4_vgpr5
	s_and_not1_b32 vcc_lo, exec_lo, s0
	s_cbranch_vccnz .LBB73_12
.LBB73_3:
	s_sub_co_i32 s1, s8, s2
	v_mov_b64_e32 v[2:3], 0
	v_cmp_gt_u32_e32 vcc_lo, s1, v0
	s_wait_xcnt 0x0
	s_and_saveexec_b32 s0, vcc_lo
	s_cbranch_execz .LBB73_5
; %bb.4:
	global_load_b32 v2, v0, s[10:11] scale_offset
	v_mov_b32_e32 v3, 0
.LBB73_5:
	s_wait_xcnt 0x0
	s_or_b32 exec_lo, exec_lo, s0
	s_wait_loadcnt 0x0
	v_or_b32_e32 v1, 0x80, v0
	s_delay_alu instid0(VALU_DEP_1) | instskip(SKIP_2) | instid1(SALU_CYCLE_1)
	v_cmp_gt_u32_e64 s0, s1, v1
	v_cmp_le_u32_e64 s1, s1, v1
	s_and_saveexec_b32 s2, s1
	s_xor_b32 s1, exec_lo, s2
	s_delay_alu instid0(SALU_CYCLE_1)
	s_and_not1_saveexec_b32 s1, s1
	s_cbranch_execz .LBB73_7
; %bb.6:
	global_load_b32 v3, v0, s[10:11] offset:512 scale_offset
.LBB73_7:
	s_wait_xcnt 0x0
	s_or_b32 exec_lo, exec_lo, s1
	v_dual_mov_b32 v1, 0 :: v_dual_lshlrev_b32 v0, 2, v0
	s_add_nc_u64 s[4:5], s[4:5], s[6:7]
	s_delay_alu instid0(VALU_DEP_1) | instid1(SALU_CYCLE_1)
	v_add_nc_u64_e32 v[4:5], s[4:5], v[0:1]
	v_cndmask_b32_e32 v0, 0, v2, vcc_lo
	s_and_saveexec_b32 s1, vcc_lo
	s_cbranch_execz .LBB73_9
; %bb.8:
	flat_store_b32 v[4:5], v0
.LBB73_9:
	s_wait_xcnt 0x0
	s_or_b32 exec_lo, exec_lo, s1
                                        ; implicit-def: $vgpr1
	s_and_saveexec_b32 s1, s0
	s_cbranch_execz .LBB73_11
; %bb.10:
	s_wait_loadcnt 0x0
	v_cndmask_b32_e64 v1, 0, v3, s0
	s_or_b32 s3, s3, exec_lo
.LBB73_11:
	s_or_b32 exec_lo, exec_lo, s1
.LBB73_12:
	s_wait_xcnt 0x0
	s_and_saveexec_b32 s0, s3
	s_cbranch_execnz .LBB73_14
; %bb.13:
	s_endpgm
.LBB73_14:
	s_wait_loadcnt 0x0
	flat_store_b32 v[4:5], v1 offset:512
	s_endpgm
	.section	.rodata,"a",@progbits
	.p2align	6, 0x0
	.amdhsa_kernel _ZN7rocprim17ROCPRIM_400000_NS6detail17trampoline_kernelINS0_14default_configENS1_25transform_config_selectorIjLb0EEEZNS1_14transform_implILb0ES3_S5_PjN6thrust23THRUST_200600_302600_NS6detail15normal_iteratorINS9_10device_ptrIjEEEENS0_8identityIjEEEE10hipError_tT2_T3_mT4_P12ihipStream_tbEUlT_E_NS1_11comp_targetILNS1_3genE0ELNS1_11target_archE4294967295ELNS1_3gpuE0ELNS1_3repE0EEENS1_30default_config_static_selectorELNS0_4arch9wavefront6targetE0EEEvT1_
		.amdhsa_group_segment_fixed_size 0
		.amdhsa_private_segment_fixed_size 0
		.amdhsa_kernarg_size 296
		.amdhsa_user_sgpr_count 2
		.amdhsa_user_sgpr_dispatch_ptr 0
		.amdhsa_user_sgpr_queue_ptr 0
		.amdhsa_user_sgpr_kernarg_segment_ptr 1
		.amdhsa_user_sgpr_dispatch_id 0
		.amdhsa_user_sgpr_kernarg_preload_length 0
		.amdhsa_user_sgpr_kernarg_preload_offset 0
		.amdhsa_user_sgpr_private_segment_size 0
		.amdhsa_wavefront_size32 1
		.amdhsa_uses_dynamic_stack 0
		.amdhsa_enable_private_segment 0
		.amdhsa_system_sgpr_workgroup_id_x 1
		.amdhsa_system_sgpr_workgroup_id_y 0
		.amdhsa_system_sgpr_workgroup_id_z 0
		.amdhsa_system_sgpr_workgroup_info 0
		.amdhsa_system_vgpr_workitem_id 0
		.amdhsa_next_free_vgpr 7
		.amdhsa_next_free_sgpr 15
		.amdhsa_named_barrier_count 0
		.amdhsa_reserve_vcc 1
		.amdhsa_float_round_mode_32 0
		.amdhsa_float_round_mode_16_64 0
		.amdhsa_float_denorm_mode_32 3
		.amdhsa_float_denorm_mode_16_64 3
		.amdhsa_fp16_overflow 0
		.amdhsa_memory_ordered 1
		.amdhsa_forward_progress 1
		.amdhsa_inst_pref_size 4
		.amdhsa_round_robin_scheduling 0
		.amdhsa_exception_fp_ieee_invalid_op 0
		.amdhsa_exception_fp_denorm_src 0
		.amdhsa_exception_fp_ieee_div_zero 0
		.amdhsa_exception_fp_ieee_overflow 0
		.amdhsa_exception_fp_ieee_underflow 0
		.amdhsa_exception_fp_ieee_inexact 0
		.amdhsa_exception_int_div_zero 0
	.end_amdhsa_kernel
	.section	.text._ZN7rocprim17ROCPRIM_400000_NS6detail17trampoline_kernelINS0_14default_configENS1_25transform_config_selectorIjLb0EEEZNS1_14transform_implILb0ES3_S5_PjN6thrust23THRUST_200600_302600_NS6detail15normal_iteratorINS9_10device_ptrIjEEEENS0_8identityIjEEEE10hipError_tT2_T3_mT4_P12ihipStream_tbEUlT_E_NS1_11comp_targetILNS1_3genE0ELNS1_11target_archE4294967295ELNS1_3gpuE0ELNS1_3repE0EEENS1_30default_config_static_selectorELNS0_4arch9wavefront6targetE0EEEvT1_,"axG",@progbits,_ZN7rocprim17ROCPRIM_400000_NS6detail17trampoline_kernelINS0_14default_configENS1_25transform_config_selectorIjLb0EEEZNS1_14transform_implILb0ES3_S5_PjN6thrust23THRUST_200600_302600_NS6detail15normal_iteratorINS9_10device_ptrIjEEEENS0_8identityIjEEEE10hipError_tT2_T3_mT4_P12ihipStream_tbEUlT_E_NS1_11comp_targetILNS1_3genE0ELNS1_11target_archE4294967295ELNS1_3gpuE0ELNS1_3repE0EEENS1_30default_config_static_selectorELNS0_4arch9wavefront6targetE0EEEvT1_,comdat
.Lfunc_end73:
	.size	_ZN7rocprim17ROCPRIM_400000_NS6detail17trampoline_kernelINS0_14default_configENS1_25transform_config_selectorIjLb0EEEZNS1_14transform_implILb0ES3_S5_PjN6thrust23THRUST_200600_302600_NS6detail15normal_iteratorINS9_10device_ptrIjEEEENS0_8identityIjEEEE10hipError_tT2_T3_mT4_P12ihipStream_tbEUlT_E_NS1_11comp_targetILNS1_3genE0ELNS1_11target_archE4294967295ELNS1_3gpuE0ELNS1_3repE0EEENS1_30default_config_static_selectorELNS0_4arch9wavefront6targetE0EEEvT1_, .Lfunc_end73-_ZN7rocprim17ROCPRIM_400000_NS6detail17trampoline_kernelINS0_14default_configENS1_25transform_config_selectorIjLb0EEEZNS1_14transform_implILb0ES3_S5_PjN6thrust23THRUST_200600_302600_NS6detail15normal_iteratorINS9_10device_ptrIjEEEENS0_8identityIjEEEE10hipError_tT2_T3_mT4_P12ihipStream_tbEUlT_E_NS1_11comp_targetILNS1_3genE0ELNS1_11target_archE4294967295ELNS1_3gpuE0ELNS1_3repE0EEENS1_30default_config_static_selectorELNS0_4arch9wavefront6targetE0EEEvT1_
                                        ; -- End function
	.set _ZN7rocprim17ROCPRIM_400000_NS6detail17trampoline_kernelINS0_14default_configENS1_25transform_config_selectorIjLb0EEEZNS1_14transform_implILb0ES3_S5_PjN6thrust23THRUST_200600_302600_NS6detail15normal_iteratorINS9_10device_ptrIjEEEENS0_8identityIjEEEE10hipError_tT2_T3_mT4_P12ihipStream_tbEUlT_E_NS1_11comp_targetILNS1_3genE0ELNS1_11target_archE4294967295ELNS1_3gpuE0ELNS1_3repE0EEENS1_30default_config_static_selectorELNS0_4arch9wavefront6targetE0EEEvT1_.num_vgpr, 7
	.set _ZN7rocprim17ROCPRIM_400000_NS6detail17trampoline_kernelINS0_14default_configENS1_25transform_config_selectorIjLb0EEEZNS1_14transform_implILb0ES3_S5_PjN6thrust23THRUST_200600_302600_NS6detail15normal_iteratorINS9_10device_ptrIjEEEENS0_8identityIjEEEE10hipError_tT2_T3_mT4_P12ihipStream_tbEUlT_E_NS1_11comp_targetILNS1_3genE0ELNS1_11target_archE4294967295ELNS1_3gpuE0ELNS1_3repE0EEENS1_30default_config_static_selectorELNS0_4arch9wavefront6targetE0EEEvT1_.num_agpr, 0
	.set _ZN7rocprim17ROCPRIM_400000_NS6detail17trampoline_kernelINS0_14default_configENS1_25transform_config_selectorIjLb0EEEZNS1_14transform_implILb0ES3_S5_PjN6thrust23THRUST_200600_302600_NS6detail15normal_iteratorINS9_10device_ptrIjEEEENS0_8identityIjEEEE10hipError_tT2_T3_mT4_P12ihipStream_tbEUlT_E_NS1_11comp_targetILNS1_3genE0ELNS1_11target_archE4294967295ELNS1_3gpuE0ELNS1_3repE0EEENS1_30default_config_static_selectorELNS0_4arch9wavefront6targetE0EEEvT1_.numbered_sgpr, 15
	.set _ZN7rocprim17ROCPRIM_400000_NS6detail17trampoline_kernelINS0_14default_configENS1_25transform_config_selectorIjLb0EEEZNS1_14transform_implILb0ES3_S5_PjN6thrust23THRUST_200600_302600_NS6detail15normal_iteratorINS9_10device_ptrIjEEEENS0_8identityIjEEEE10hipError_tT2_T3_mT4_P12ihipStream_tbEUlT_E_NS1_11comp_targetILNS1_3genE0ELNS1_11target_archE4294967295ELNS1_3gpuE0ELNS1_3repE0EEENS1_30default_config_static_selectorELNS0_4arch9wavefront6targetE0EEEvT1_.num_named_barrier, 0
	.set _ZN7rocprim17ROCPRIM_400000_NS6detail17trampoline_kernelINS0_14default_configENS1_25transform_config_selectorIjLb0EEEZNS1_14transform_implILb0ES3_S5_PjN6thrust23THRUST_200600_302600_NS6detail15normal_iteratorINS9_10device_ptrIjEEEENS0_8identityIjEEEE10hipError_tT2_T3_mT4_P12ihipStream_tbEUlT_E_NS1_11comp_targetILNS1_3genE0ELNS1_11target_archE4294967295ELNS1_3gpuE0ELNS1_3repE0EEENS1_30default_config_static_selectorELNS0_4arch9wavefront6targetE0EEEvT1_.private_seg_size, 0
	.set _ZN7rocprim17ROCPRIM_400000_NS6detail17trampoline_kernelINS0_14default_configENS1_25transform_config_selectorIjLb0EEEZNS1_14transform_implILb0ES3_S5_PjN6thrust23THRUST_200600_302600_NS6detail15normal_iteratorINS9_10device_ptrIjEEEENS0_8identityIjEEEE10hipError_tT2_T3_mT4_P12ihipStream_tbEUlT_E_NS1_11comp_targetILNS1_3genE0ELNS1_11target_archE4294967295ELNS1_3gpuE0ELNS1_3repE0EEENS1_30default_config_static_selectorELNS0_4arch9wavefront6targetE0EEEvT1_.uses_vcc, 1
	.set _ZN7rocprim17ROCPRIM_400000_NS6detail17trampoline_kernelINS0_14default_configENS1_25transform_config_selectorIjLb0EEEZNS1_14transform_implILb0ES3_S5_PjN6thrust23THRUST_200600_302600_NS6detail15normal_iteratorINS9_10device_ptrIjEEEENS0_8identityIjEEEE10hipError_tT2_T3_mT4_P12ihipStream_tbEUlT_E_NS1_11comp_targetILNS1_3genE0ELNS1_11target_archE4294967295ELNS1_3gpuE0ELNS1_3repE0EEENS1_30default_config_static_selectorELNS0_4arch9wavefront6targetE0EEEvT1_.uses_flat_scratch, 0
	.set _ZN7rocprim17ROCPRIM_400000_NS6detail17trampoline_kernelINS0_14default_configENS1_25transform_config_selectorIjLb0EEEZNS1_14transform_implILb0ES3_S5_PjN6thrust23THRUST_200600_302600_NS6detail15normal_iteratorINS9_10device_ptrIjEEEENS0_8identityIjEEEE10hipError_tT2_T3_mT4_P12ihipStream_tbEUlT_E_NS1_11comp_targetILNS1_3genE0ELNS1_11target_archE4294967295ELNS1_3gpuE0ELNS1_3repE0EEENS1_30default_config_static_selectorELNS0_4arch9wavefront6targetE0EEEvT1_.has_dyn_sized_stack, 0
	.set _ZN7rocprim17ROCPRIM_400000_NS6detail17trampoline_kernelINS0_14default_configENS1_25transform_config_selectorIjLb0EEEZNS1_14transform_implILb0ES3_S5_PjN6thrust23THRUST_200600_302600_NS6detail15normal_iteratorINS9_10device_ptrIjEEEENS0_8identityIjEEEE10hipError_tT2_T3_mT4_P12ihipStream_tbEUlT_E_NS1_11comp_targetILNS1_3genE0ELNS1_11target_archE4294967295ELNS1_3gpuE0ELNS1_3repE0EEENS1_30default_config_static_selectorELNS0_4arch9wavefront6targetE0EEEvT1_.has_recursion, 0
	.set _ZN7rocprim17ROCPRIM_400000_NS6detail17trampoline_kernelINS0_14default_configENS1_25transform_config_selectorIjLb0EEEZNS1_14transform_implILb0ES3_S5_PjN6thrust23THRUST_200600_302600_NS6detail15normal_iteratorINS9_10device_ptrIjEEEENS0_8identityIjEEEE10hipError_tT2_T3_mT4_P12ihipStream_tbEUlT_E_NS1_11comp_targetILNS1_3genE0ELNS1_11target_archE4294967295ELNS1_3gpuE0ELNS1_3repE0EEENS1_30default_config_static_selectorELNS0_4arch9wavefront6targetE0EEEvT1_.has_indirect_call, 0
	.section	.AMDGPU.csdata,"",@progbits
; Kernel info:
; codeLenInByte = 428
; TotalNumSgprs: 17
; NumVgprs: 7
; ScratchSize: 0
; MemoryBound: 0
; FloatMode: 240
; IeeeMode: 1
; LDSByteSize: 0 bytes/workgroup (compile time only)
; SGPRBlocks: 0
; VGPRBlocks: 0
; NumSGPRsForWavesPerEU: 17
; NumVGPRsForWavesPerEU: 7
; NamedBarCnt: 0
; Occupancy: 16
; WaveLimiterHint : 1
; COMPUTE_PGM_RSRC2:SCRATCH_EN: 0
; COMPUTE_PGM_RSRC2:USER_SGPR: 2
; COMPUTE_PGM_RSRC2:TRAP_HANDLER: 0
; COMPUTE_PGM_RSRC2:TGID_X_EN: 1
; COMPUTE_PGM_RSRC2:TGID_Y_EN: 0
; COMPUTE_PGM_RSRC2:TGID_Z_EN: 0
; COMPUTE_PGM_RSRC2:TIDIG_COMP_CNT: 0
	.section	.text._ZN7rocprim17ROCPRIM_400000_NS6detail17trampoline_kernelINS0_14default_configENS1_25transform_config_selectorIjLb0EEEZNS1_14transform_implILb0ES3_S5_PjN6thrust23THRUST_200600_302600_NS6detail15normal_iteratorINS9_10device_ptrIjEEEENS0_8identityIjEEEE10hipError_tT2_T3_mT4_P12ihipStream_tbEUlT_E_NS1_11comp_targetILNS1_3genE5ELNS1_11target_archE942ELNS1_3gpuE9ELNS1_3repE0EEENS1_30default_config_static_selectorELNS0_4arch9wavefront6targetE0EEEvT1_,"axG",@progbits,_ZN7rocprim17ROCPRIM_400000_NS6detail17trampoline_kernelINS0_14default_configENS1_25transform_config_selectorIjLb0EEEZNS1_14transform_implILb0ES3_S5_PjN6thrust23THRUST_200600_302600_NS6detail15normal_iteratorINS9_10device_ptrIjEEEENS0_8identityIjEEEE10hipError_tT2_T3_mT4_P12ihipStream_tbEUlT_E_NS1_11comp_targetILNS1_3genE5ELNS1_11target_archE942ELNS1_3gpuE9ELNS1_3repE0EEENS1_30default_config_static_selectorELNS0_4arch9wavefront6targetE0EEEvT1_,comdat
	.protected	_ZN7rocprim17ROCPRIM_400000_NS6detail17trampoline_kernelINS0_14default_configENS1_25transform_config_selectorIjLb0EEEZNS1_14transform_implILb0ES3_S5_PjN6thrust23THRUST_200600_302600_NS6detail15normal_iteratorINS9_10device_ptrIjEEEENS0_8identityIjEEEE10hipError_tT2_T3_mT4_P12ihipStream_tbEUlT_E_NS1_11comp_targetILNS1_3genE5ELNS1_11target_archE942ELNS1_3gpuE9ELNS1_3repE0EEENS1_30default_config_static_selectorELNS0_4arch9wavefront6targetE0EEEvT1_ ; -- Begin function _ZN7rocprim17ROCPRIM_400000_NS6detail17trampoline_kernelINS0_14default_configENS1_25transform_config_selectorIjLb0EEEZNS1_14transform_implILb0ES3_S5_PjN6thrust23THRUST_200600_302600_NS6detail15normal_iteratorINS9_10device_ptrIjEEEENS0_8identityIjEEEE10hipError_tT2_T3_mT4_P12ihipStream_tbEUlT_E_NS1_11comp_targetILNS1_3genE5ELNS1_11target_archE942ELNS1_3gpuE9ELNS1_3repE0EEENS1_30default_config_static_selectorELNS0_4arch9wavefront6targetE0EEEvT1_
	.globl	_ZN7rocprim17ROCPRIM_400000_NS6detail17trampoline_kernelINS0_14default_configENS1_25transform_config_selectorIjLb0EEEZNS1_14transform_implILb0ES3_S5_PjN6thrust23THRUST_200600_302600_NS6detail15normal_iteratorINS9_10device_ptrIjEEEENS0_8identityIjEEEE10hipError_tT2_T3_mT4_P12ihipStream_tbEUlT_E_NS1_11comp_targetILNS1_3genE5ELNS1_11target_archE942ELNS1_3gpuE9ELNS1_3repE0EEENS1_30default_config_static_selectorELNS0_4arch9wavefront6targetE0EEEvT1_
	.p2align	8
	.type	_ZN7rocprim17ROCPRIM_400000_NS6detail17trampoline_kernelINS0_14default_configENS1_25transform_config_selectorIjLb0EEEZNS1_14transform_implILb0ES3_S5_PjN6thrust23THRUST_200600_302600_NS6detail15normal_iteratorINS9_10device_ptrIjEEEENS0_8identityIjEEEE10hipError_tT2_T3_mT4_P12ihipStream_tbEUlT_E_NS1_11comp_targetILNS1_3genE5ELNS1_11target_archE942ELNS1_3gpuE9ELNS1_3repE0EEENS1_30default_config_static_selectorELNS0_4arch9wavefront6targetE0EEEvT1_,@function
_ZN7rocprim17ROCPRIM_400000_NS6detail17trampoline_kernelINS0_14default_configENS1_25transform_config_selectorIjLb0EEEZNS1_14transform_implILb0ES3_S5_PjN6thrust23THRUST_200600_302600_NS6detail15normal_iteratorINS9_10device_ptrIjEEEENS0_8identityIjEEEE10hipError_tT2_T3_mT4_P12ihipStream_tbEUlT_E_NS1_11comp_targetILNS1_3genE5ELNS1_11target_archE942ELNS1_3gpuE9ELNS1_3repE0EEENS1_30default_config_static_selectorELNS0_4arch9wavefront6targetE0EEEvT1_: ; @_ZN7rocprim17ROCPRIM_400000_NS6detail17trampoline_kernelINS0_14default_configENS1_25transform_config_selectorIjLb0EEEZNS1_14transform_implILb0ES3_S5_PjN6thrust23THRUST_200600_302600_NS6detail15normal_iteratorINS9_10device_ptrIjEEEENS0_8identityIjEEEE10hipError_tT2_T3_mT4_P12ihipStream_tbEUlT_E_NS1_11comp_targetILNS1_3genE5ELNS1_11target_archE942ELNS1_3gpuE9ELNS1_3repE0EEENS1_30default_config_static_selectorELNS0_4arch9wavefront6targetE0EEEvT1_
; %bb.0:
	.section	.rodata,"a",@progbits
	.p2align	6, 0x0
	.amdhsa_kernel _ZN7rocprim17ROCPRIM_400000_NS6detail17trampoline_kernelINS0_14default_configENS1_25transform_config_selectorIjLb0EEEZNS1_14transform_implILb0ES3_S5_PjN6thrust23THRUST_200600_302600_NS6detail15normal_iteratorINS9_10device_ptrIjEEEENS0_8identityIjEEEE10hipError_tT2_T3_mT4_P12ihipStream_tbEUlT_E_NS1_11comp_targetILNS1_3genE5ELNS1_11target_archE942ELNS1_3gpuE9ELNS1_3repE0EEENS1_30default_config_static_selectorELNS0_4arch9wavefront6targetE0EEEvT1_
		.amdhsa_group_segment_fixed_size 0
		.amdhsa_private_segment_fixed_size 0
		.amdhsa_kernarg_size 40
		.amdhsa_user_sgpr_count 2
		.amdhsa_user_sgpr_dispatch_ptr 0
		.amdhsa_user_sgpr_queue_ptr 0
		.amdhsa_user_sgpr_kernarg_segment_ptr 1
		.amdhsa_user_sgpr_dispatch_id 0
		.amdhsa_user_sgpr_kernarg_preload_length 0
		.amdhsa_user_sgpr_kernarg_preload_offset 0
		.amdhsa_user_sgpr_private_segment_size 0
		.amdhsa_wavefront_size32 1
		.amdhsa_uses_dynamic_stack 0
		.amdhsa_enable_private_segment 0
		.amdhsa_system_sgpr_workgroup_id_x 1
		.amdhsa_system_sgpr_workgroup_id_y 0
		.amdhsa_system_sgpr_workgroup_id_z 0
		.amdhsa_system_sgpr_workgroup_info 0
		.amdhsa_system_vgpr_workitem_id 0
		.amdhsa_next_free_vgpr 1
		.amdhsa_next_free_sgpr 1
		.amdhsa_named_barrier_count 0
		.amdhsa_reserve_vcc 0
		.amdhsa_float_round_mode_32 0
		.amdhsa_float_round_mode_16_64 0
		.amdhsa_float_denorm_mode_32 3
		.amdhsa_float_denorm_mode_16_64 3
		.amdhsa_fp16_overflow 0
		.amdhsa_memory_ordered 1
		.amdhsa_forward_progress 1
		.amdhsa_inst_pref_size 0
		.amdhsa_round_robin_scheduling 0
		.amdhsa_exception_fp_ieee_invalid_op 0
		.amdhsa_exception_fp_denorm_src 0
		.amdhsa_exception_fp_ieee_div_zero 0
		.amdhsa_exception_fp_ieee_overflow 0
		.amdhsa_exception_fp_ieee_underflow 0
		.amdhsa_exception_fp_ieee_inexact 0
		.amdhsa_exception_int_div_zero 0
	.end_amdhsa_kernel
	.section	.text._ZN7rocprim17ROCPRIM_400000_NS6detail17trampoline_kernelINS0_14default_configENS1_25transform_config_selectorIjLb0EEEZNS1_14transform_implILb0ES3_S5_PjN6thrust23THRUST_200600_302600_NS6detail15normal_iteratorINS9_10device_ptrIjEEEENS0_8identityIjEEEE10hipError_tT2_T3_mT4_P12ihipStream_tbEUlT_E_NS1_11comp_targetILNS1_3genE5ELNS1_11target_archE942ELNS1_3gpuE9ELNS1_3repE0EEENS1_30default_config_static_selectorELNS0_4arch9wavefront6targetE0EEEvT1_,"axG",@progbits,_ZN7rocprim17ROCPRIM_400000_NS6detail17trampoline_kernelINS0_14default_configENS1_25transform_config_selectorIjLb0EEEZNS1_14transform_implILb0ES3_S5_PjN6thrust23THRUST_200600_302600_NS6detail15normal_iteratorINS9_10device_ptrIjEEEENS0_8identityIjEEEE10hipError_tT2_T3_mT4_P12ihipStream_tbEUlT_E_NS1_11comp_targetILNS1_3genE5ELNS1_11target_archE942ELNS1_3gpuE9ELNS1_3repE0EEENS1_30default_config_static_selectorELNS0_4arch9wavefront6targetE0EEEvT1_,comdat
.Lfunc_end74:
	.size	_ZN7rocprim17ROCPRIM_400000_NS6detail17trampoline_kernelINS0_14default_configENS1_25transform_config_selectorIjLb0EEEZNS1_14transform_implILb0ES3_S5_PjN6thrust23THRUST_200600_302600_NS6detail15normal_iteratorINS9_10device_ptrIjEEEENS0_8identityIjEEEE10hipError_tT2_T3_mT4_P12ihipStream_tbEUlT_E_NS1_11comp_targetILNS1_3genE5ELNS1_11target_archE942ELNS1_3gpuE9ELNS1_3repE0EEENS1_30default_config_static_selectorELNS0_4arch9wavefront6targetE0EEEvT1_, .Lfunc_end74-_ZN7rocprim17ROCPRIM_400000_NS6detail17trampoline_kernelINS0_14default_configENS1_25transform_config_selectorIjLb0EEEZNS1_14transform_implILb0ES3_S5_PjN6thrust23THRUST_200600_302600_NS6detail15normal_iteratorINS9_10device_ptrIjEEEENS0_8identityIjEEEE10hipError_tT2_T3_mT4_P12ihipStream_tbEUlT_E_NS1_11comp_targetILNS1_3genE5ELNS1_11target_archE942ELNS1_3gpuE9ELNS1_3repE0EEENS1_30default_config_static_selectorELNS0_4arch9wavefront6targetE0EEEvT1_
                                        ; -- End function
	.set _ZN7rocprim17ROCPRIM_400000_NS6detail17trampoline_kernelINS0_14default_configENS1_25transform_config_selectorIjLb0EEEZNS1_14transform_implILb0ES3_S5_PjN6thrust23THRUST_200600_302600_NS6detail15normal_iteratorINS9_10device_ptrIjEEEENS0_8identityIjEEEE10hipError_tT2_T3_mT4_P12ihipStream_tbEUlT_E_NS1_11comp_targetILNS1_3genE5ELNS1_11target_archE942ELNS1_3gpuE9ELNS1_3repE0EEENS1_30default_config_static_selectorELNS0_4arch9wavefront6targetE0EEEvT1_.num_vgpr, 0
	.set _ZN7rocprim17ROCPRIM_400000_NS6detail17trampoline_kernelINS0_14default_configENS1_25transform_config_selectorIjLb0EEEZNS1_14transform_implILb0ES3_S5_PjN6thrust23THRUST_200600_302600_NS6detail15normal_iteratorINS9_10device_ptrIjEEEENS0_8identityIjEEEE10hipError_tT2_T3_mT4_P12ihipStream_tbEUlT_E_NS1_11comp_targetILNS1_3genE5ELNS1_11target_archE942ELNS1_3gpuE9ELNS1_3repE0EEENS1_30default_config_static_selectorELNS0_4arch9wavefront6targetE0EEEvT1_.num_agpr, 0
	.set _ZN7rocprim17ROCPRIM_400000_NS6detail17trampoline_kernelINS0_14default_configENS1_25transform_config_selectorIjLb0EEEZNS1_14transform_implILb0ES3_S5_PjN6thrust23THRUST_200600_302600_NS6detail15normal_iteratorINS9_10device_ptrIjEEEENS0_8identityIjEEEE10hipError_tT2_T3_mT4_P12ihipStream_tbEUlT_E_NS1_11comp_targetILNS1_3genE5ELNS1_11target_archE942ELNS1_3gpuE9ELNS1_3repE0EEENS1_30default_config_static_selectorELNS0_4arch9wavefront6targetE0EEEvT1_.numbered_sgpr, 0
	.set _ZN7rocprim17ROCPRIM_400000_NS6detail17trampoline_kernelINS0_14default_configENS1_25transform_config_selectorIjLb0EEEZNS1_14transform_implILb0ES3_S5_PjN6thrust23THRUST_200600_302600_NS6detail15normal_iteratorINS9_10device_ptrIjEEEENS0_8identityIjEEEE10hipError_tT2_T3_mT4_P12ihipStream_tbEUlT_E_NS1_11comp_targetILNS1_3genE5ELNS1_11target_archE942ELNS1_3gpuE9ELNS1_3repE0EEENS1_30default_config_static_selectorELNS0_4arch9wavefront6targetE0EEEvT1_.num_named_barrier, 0
	.set _ZN7rocprim17ROCPRIM_400000_NS6detail17trampoline_kernelINS0_14default_configENS1_25transform_config_selectorIjLb0EEEZNS1_14transform_implILb0ES3_S5_PjN6thrust23THRUST_200600_302600_NS6detail15normal_iteratorINS9_10device_ptrIjEEEENS0_8identityIjEEEE10hipError_tT2_T3_mT4_P12ihipStream_tbEUlT_E_NS1_11comp_targetILNS1_3genE5ELNS1_11target_archE942ELNS1_3gpuE9ELNS1_3repE0EEENS1_30default_config_static_selectorELNS0_4arch9wavefront6targetE0EEEvT1_.private_seg_size, 0
	.set _ZN7rocprim17ROCPRIM_400000_NS6detail17trampoline_kernelINS0_14default_configENS1_25transform_config_selectorIjLb0EEEZNS1_14transform_implILb0ES3_S5_PjN6thrust23THRUST_200600_302600_NS6detail15normal_iteratorINS9_10device_ptrIjEEEENS0_8identityIjEEEE10hipError_tT2_T3_mT4_P12ihipStream_tbEUlT_E_NS1_11comp_targetILNS1_3genE5ELNS1_11target_archE942ELNS1_3gpuE9ELNS1_3repE0EEENS1_30default_config_static_selectorELNS0_4arch9wavefront6targetE0EEEvT1_.uses_vcc, 0
	.set _ZN7rocprim17ROCPRIM_400000_NS6detail17trampoline_kernelINS0_14default_configENS1_25transform_config_selectorIjLb0EEEZNS1_14transform_implILb0ES3_S5_PjN6thrust23THRUST_200600_302600_NS6detail15normal_iteratorINS9_10device_ptrIjEEEENS0_8identityIjEEEE10hipError_tT2_T3_mT4_P12ihipStream_tbEUlT_E_NS1_11comp_targetILNS1_3genE5ELNS1_11target_archE942ELNS1_3gpuE9ELNS1_3repE0EEENS1_30default_config_static_selectorELNS0_4arch9wavefront6targetE0EEEvT1_.uses_flat_scratch, 0
	.set _ZN7rocprim17ROCPRIM_400000_NS6detail17trampoline_kernelINS0_14default_configENS1_25transform_config_selectorIjLb0EEEZNS1_14transform_implILb0ES3_S5_PjN6thrust23THRUST_200600_302600_NS6detail15normal_iteratorINS9_10device_ptrIjEEEENS0_8identityIjEEEE10hipError_tT2_T3_mT4_P12ihipStream_tbEUlT_E_NS1_11comp_targetILNS1_3genE5ELNS1_11target_archE942ELNS1_3gpuE9ELNS1_3repE0EEENS1_30default_config_static_selectorELNS0_4arch9wavefront6targetE0EEEvT1_.has_dyn_sized_stack, 0
	.set _ZN7rocprim17ROCPRIM_400000_NS6detail17trampoline_kernelINS0_14default_configENS1_25transform_config_selectorIjLb0EEEZNS1_14transform_implILb0ES3_S5_PjN6thrust23THRUST_200600_302600_NS6detail15normal_iteratorINS9_10device_ptrIjEEEENS0_8identityIjEEEE10hipError_tT2_T3_mT4_P12ihipStream_tbEUlT_E_NS1_11comp_targetILNS1_3genE5ELNS1_11target_archE942ELNS1_3gpuE9ELNS1_3repE0EEENS1_30default_config_static_selectorELNS0_4arch9wavefront6targetE0EEEvT1_.has_recursion, 0
	.set _ZN7rocprim17ROCPRIM_400000_NS6detail17trampoline_kernelINS0_14default_configENS1_25transform_config_selectorIjLb0EEEZNS1_14transform_implILb0ES3_S5_PjN6thrust23THRUST_200600_302600_NS6detail15normal_iteratorINS9_10device_ptrIjEEEENS0_8identityIjEEEE10hipError_tT2_T3_mT4_P12ihipStream_tbEUlT_E_NS1_11comp_targetILNS1_3genE5ELNS1_11target_archE942ELNS1_3gpuE9ELNS1_3repE0EEENS1_30default_config_static_selectorELNS0_4arch9wavefront6targetE0EEEvT1_.has_indirect_call, 0
	.section	.AMDGPU.csdata,"",@progbits
; Kernel info:
; codeLenInByte = 0
; TotalNumSgprs: 0
; NumVgprs: 0
; ScratchSize: 0
; MemoryBound: 0
; FloatMode: 240
; IeeeMode: 1
; LDSByteSize: 0 bytes/workgroup (compile time only)
; SGPRBlocks: 0
; VGPRBlocks: 0
; NumSGPRsForWavesPerEU: 1
; NumVGPRsForWavesPerEU: 1
; NamedBarCnt: 0
; Occupancy: 16
; WaveLimiterHint : 0
; COMPUTE_PGM_RSRC2:SCRATCH_EN: 0
; COMPUTE_PGM_RSRC2:USER_SGPR: 2
; COMPUTE_PGM_RSRC2:TRAP_HANDLER: 0
; COMPUTE_PGM_RSRC2:TGID_X_EN: 1
; COMPUTE_PGM_RSRC2:TGID_Y_EN: 0
; COMPUTE_PGM_RSRC2:TGID_Z_EN: 0
; COMPUTE_PGM_RSRC2:TIDIG_COMP_CNT: 0
	.section	.text._ZN7rocprim17ROCPRIM_400000_NS6detail17trampoline_kernelINS0_14default_configENS1_25transform_config_selectorIjLb0EEEZNS1_14transform_implILb0ES3_S5_PjN6thrust23THRUST_200600_302600_NS6detail15normal_iteratorINS9_10device_ptrIjEEEENS0_8identityIjEEEE10hipError_tT2_T3_mT4_P12ihipStream_tbEUlT_E_NS1_11comp_targetILNS1_3genE4ELNS1_11target_archE910ELNS1_3gpuE8ELNS1_3repE0EEENS1_30default_config_static_selectorELNS0_4arch9wavefront6targetE0EEEvT1_,"axG",@progbits,_ZN7rocprim17ROCPRIM_400000_NS6detail17trampoline_kernelINS0_14default_configENS1_25transform_config_selectorIjLb0EEEZNS1_14transform_implILb0ES3_S5_PjN6thrust23THRUST_200600_302600_NS6detail15normal_iteratorINS9_10device_ptrIjEEEENS0_8identityIjEEEE10hipError_tT2_T3_mT4_P12ihipStream_tbEUlT_E_NS1_11comp_targetILNS1_3genE4ELNS1_11target_archE910ELNS1_3gpuE8ELNS1_3repE0EEENS1_30default_config_static_selectorELNS0_4arch9wavefront6targetE0EEEvT1_,comdat
	.protected	_ZN7rocprim17ROCPRIM_400000_NS6detail17trampoline_kernelINS0_14default_configENS1_25transform_config_selectorIjLb0EEEZNS1_14transform_implILb0ES3_S5_PjN6thrust23THRUST_200600_302600_NS6detail15normal_iteratorINS9_10device_ptrIjEEEENS0_8identityIjEEEE10hipError_tT2_T3_mT4_P12ihipStream_tbEUlT_E_NS1_11comp_targetILNS1_3genE4ELNS1_11target_archE910ELNS1_3gpuE8ELNS1_3repE0EEENS1_30default_config_static_selectorELNS0_4arch9wavefront6targetE0EEEvT1_ ; -- Begin function _ZN7rocprim17ROCPRIM_400000_NS6detail17trampoline_kernelINS0_14default_configENS1_25transform_config_selectorIjLb0EEEZNS1_14transform_implILb0ES3_S5_PjN6thrust23THRUST_200600_302600_NS6detail15normal_iteratorINS9_10device_ptrIjEEEENS0_8identityIjEEEE10hipError_tT2_T3_mT4_P12ihipStream_tbEUlT_E_NS1_11comp_targetILNS1_3genE4ELNS1_11target_archE910ELNS1_3gpuE8ELNS1_3repE0EEENS1_30default_config_static_selectorELNS0_4arch9wavefront6targetE0EEEvT1_
	.globl	_ZN7rocprim17ROCPRIM_400000_NS6detail17trampoline_kernelINS0_14default_configENS1_25transform_config_selectorIjLb0EEEZNS1_14transform_implILb0ES3_S5_PjN6thrust23THRUST_200600_302600_NS6detail15normal_iteratorINS9_10device_ptrIjEEEENS0_8identityIjEEEE10hipError_tT2_T3_mT4_P12ihipStream_tbEUlT_E_NS1_11comp_targetILNS1_3genE4ELNS1_11target_archE910ELNS1_3gpuE8ELNS1_3repE0EEENS1_30default_config_static_selectorELNS0_4arch9wavefront6targetE0EEEvT1_
	.p2align	8
	.type	_ZN7rocprim17ROCPRIM_400000_NS6detail17trampoline_kernelINS0_14default_configENS1_25transform_config_selectorIjLb0EEEZNS1_14transform_implILb0ES3_S5_PjN6thrust23THRUST_200600_302600_NS6detail15normal_iteratorINS9_10device_ptrIjEEEENS0_8identityIjEEEE10hipError_tT2_T3_mT4_P12ihipStream_tbEUlT_E_NS1_11comp_targetILNS1_3genE4ELNS1_11target_archE910ELNS1_3gpuE8ELNS1_3repE0EEENS1_30default_config_static_selectorELNS0_4arch9wavefront6targetE0EEEvT1_,@function
_ZN7rocprim17ROCPRIM_400000_NS6detail17trampoline_kernelINS0_14default_configENS1_25transform_config_selectorIjLb0EEEZNS1_14transform_implILb0ES3_S5_PjN6thrust23THRUST_200600_302600_NS6detail15normal_iteratorINS9_10device_ptrIjEEEENS0_8identityIjEEEE10hipError_tT2_T3_mT4_P12ihipStream_tbEUlT_E_NS1_11comp_targetILNS1_3genE4ELNS1_11target_archE910ELNS1_3gpuE8ELNS1_3repE0EEENS1_30default_config_static_selectorELNS0_4arch9wavefront6targetE0EEEvT1_: ; @_ZN7rocprim17ROCPRIM_400000_NS6detail17trampoline_kernelINS0_14default_configENS1_25transform_config_selectorIjLb0EEEZNS1_14transform_implILb0ES3_S5_PjN6thrust23THRUST_200600_302600_NS6detail15normal_iteratorINS9_10device_ptrIjEEEENS0_8identityIjEEEE10hipError_tT2_T3_mT4_P12ihipStream_tbEUlT_E_NS1_11comp_targetILNS1_3genE4ELNS1_11target_archE910ELNS1_3gpuE8ELNS1_3repE0EEENS1_30default_config_static_selectorELNS0_4arch9wavefront6targetE0EEEvT1_
; %bb.0:
	.section	.rodata,"a",@progbits
	.p2align	6, 0x0
	.amdhsa_kernel _ZN7rocprim17ROCPRIM_400000_NS6detail17trampoline_kernelINS0_14default_configENS1_25transform_config_selectorIjLb0EEEZNS1_14transform_implILb0ES3_S5_PjN6thrust23THRUST_200600_302600_NS6detail15normal_iteratorINS9_10device_ptrIjEEEENS0_8identityIjEEEE10hipError_tT2_T3_mT4_P12ihipStream_tbEUlT_E_NS1_11comp_targetILNS1_3genE4ELNS1_11target_archE910ELNS1_3gpuE8ELNS1_3repE0EEENS1_30default_config_static_selectorELNS0_4arch9wavefront6targetE0EEEvT1_
		.amdhsa_group_segment_fixed_size 0
		.amdhsa_private_segment_fixed_size 0
		.amdhsa_kernarg_size 40
		.amdhsa_user_sgpr_count 2
		.amdhsa_user_sgpr_dispatch_ptr 0
		.amdhsa_user_sgpr_queue_ptr 0
		.amdhsa_user_sgpr_kernarg_segment_ptr 1
		.amdhsa_user_sgpr_dispatch_id 0
		.amdhsa_user_sgpr_kernarg_preload_length 0
		.amdhsa_user_sgpr_kernarg_preload_offset 0
		.amdhsa_user_sgpr_private_segment_size 0
		.amdhsa_wavefront_size32 1
		.amdhsa_uses_dynamic_stack 0
		.amdhsa_enable_private_segment 0
		.amdhsa_system_sgpr_workgroup_id_x 1
		.amdhsa_system_sgpr_workgroup_id_y 0
		.amdhsa_system_sgpr_workgroup_id_z 0
		.amdhsa_system_sgpr_workgroup_info 0
		.amdhsa_system_vgpr_workitem_id 0
		.amdhsa_next_free_vgpr 1
		.amdhsa_next_free_sgpr 1
		.amdhsa_named_barrier_count 0
		.amdhsa_reserve_vcc 0
		.amdhsa_float_round_mode_32 0
		.amdhsa_float_round_mode_16_64 0
		.amdhsa_float_denorm_mode_32 3
		.amdhsa_float_denorm_mode_16_64 3
		.amdhsa_fp16_overflow 0
		.amdhsa_memory_ordered 1
		.amdhsa_forward_progress 1
		.amdhsa_inst_pref_size 0
		.amdhsa_round_robin_scheduling 0
		.amdhsa_exception_fp_ieee_invalid_op 0
		.amdhsa_exception_fp_denorm_src 0
		.amdhsa_exception_fp_ieee_div_zero 0
		.amdhsa_exception_fp_ieee_overflow 0
		.amdhsa_exception_fp_ieee_underflow 0
		.amdhsa_exception_fp_ieee_inexact 0
		.amdhsa_exception_int_div_zero 0
	.end_amdhsa_kernel
	.section	.text._ZN7rocprim17ROCPRIM_400000_NS6detail17trampoline_kernelINS0_14default_configENS1_25transform_config_selectorIjLb0EEEZNS1_14transform_implILb0ES3_S5_PjN6thrust23THRUST_200600_302600_NS6detail15normal_iteratorINS9_10device_ptrIjEEEENS0_8identityIjEEEE10hipError_tT2_T3_mT4_P12ihipStream_tbEUlT_E_NS1_11comp_targetILNS1_3genE4ELNS1_11target_archE910ELNS1_3gpuE8ELNS1_3repE0EEENS1_30default_config_static_selectorELNS0_4arch9wavefront6targetE0EEEvT1_,"axG",@progbits,_ZN7rocprim17ROCPRIM_400000_NS6detail17trampoline_kernelINS0_14default_configENS1_25transform_config_selectorIjLb0EEEZNS1_14transform_implILb0ES3_S5_PjN6thrust23THRUST_200600_302600_NS6detail15normal_iteratorINS9_10device_ptrIjEEEENS0_8identityIjEEEE10hipError_tT2_T3_mT4_P12ihipStream_tbEUlT_E_NS1_11comp_targetILNS1_3genE4ELNS1_11target_archE910ELNS1_3gpuE8ELNS1_3repE0EEENS1_30default_config_static_selectorELNS0_4arch9wavefront6targetE0EEEvT1_,comdat
.Lfunc_end75:
	.size	_ZN7rocprim17ROCPRIM_400000_NS6detail17trampoline_kernelINS0_14default_configENS1_25transform_config_selectorIjLb0EEEZNS1_14transform_implILb0ES3_S5_PjN6thrust23THRUST_200600_302600_NS6detail15normal_iteratorINS9_10device_ptrIjEEEENS0_8identityIjEEEE10hipError_tT2_T3_mT4_P12ihipStream_tbEUlT_E_NS1_11comp_targetILNS1_3genE4ELNS1_11target_archE910ELNS1_3gpuE8ELNS1_3repE0EEENS1_30default_config_static_selectorELNS0_4arch9wavefront6targetE0EEEvT1_, .Lfunc_end75-_ZN7rocprim17ROCPRIM_400000_NS6detail17trampoline_kernelINS0_14default_configENS1_25transform_config_selectorIjLb0EEEZNS1_14transform_implILb0ES3_S5_PjN6thrust23THRUST_200600_302600_NS6detail15normal_iteratorINS9_10device_ptrIjEEEENS0_8identityIjEEEE10hipError_tT2_T3_mT4_P12ihipStream_tbEUlT_E_NS1_11comp_targetILNS1_3genE4ELNS1_11target_archE910ELNS1_3gpuE8ELNS1_3repE0EEENS1_30default_config_static_selectorELNS0_4arch9wavefront6targetE0EEEvT1_
                                        ; -- End function
	.set _ZN7rocprim17ROCPRIM_400000_NS6detail17trampoline_kernelINS0_14default_configENS1_25transform_config_selectorIjLb0EEEZNS1_14transform_implILb0ES3_S5_PjN6thrust23THRUST_200600_302600_NS6detail15normal_iteratorINS9_10device_ptrIjEEEENS0_8identityIjEEEE10hipError_tT2_T3_mT4_P12ihipStream_tbEUlT_E_NS1_11comp_targetILNS1_3genE4ELNS1_11target_archE910ELNS1_3gpuE8ELNS1_3repE0EEENS1_30default_config_static_selectorELNS0_4arch9wavefront6targetE0EEEvT1_.num_vgpr, 0
	.set _ZN7rocprim17ROCPRIM_400000_NS6detail17trampoline_kernelINS0_14default_configENS1_25transform_config_selectorIjLb0EEEZNS1_14transform_implILb0ES3_S5_PjN6thrust23THRUST_200600_302600_NS6detail15normal_iteratorINS9_10device_ptrIjEEEENS0_8identityIjEEEE10hipError_tT2_T3_mT4_P12ihipStream_tbEUlT_E_NS1_11comp_targetILNS1_3genE4ELNS1_11target_archE910ELNS1_3gpuE8ELNS1_3repE0EEENS1_30default_config_static_selectorELNS0_4arch9wavefront6targetE0EEEvT1_.num_agpr, 0
	.set _ZN7rocprim17ROCPRIM_400000_NS6detail17trampoline_kernelINS0_14default_configENS1_25transform_config_selectorIjLb0EEEZNS1_14transform_implILb0ES3_S5_PjN6thrust23THRUST_200600_302600_NS6detail15normal_iteratorINS9_10device_ptrIjEEEENS0_8identityIjEEEE10hipError_tT2_T3_mT4_P12ihipStream_tbEUlT_E_NS1_11comp_targetILNS1_3genE4ELNS1_11target_archE910ELNS1_3gpuE8ELNS1_3repE0EEENS1_30default_config_static_selectorELNS0_4arch9wavefront6targetE0EEEvT1_.numbered_sgpr, 0
	.set _ZN7rocprim17ROCPRIM_400000_NS6detail17trampoline_kernelINS0_14default_configENS1_25transform_config_selectorIjLb0EEEZNS1_14transform_implILb0ES3_S5_PjN6thrust23THRUST_200600_302600_NS6detail15normal_iteratorINS9_10device_ptrIjEEEENS0_8identityIjEEEE10hipError_tT2_T3_mT4_P12ihipStream_tbEUlT_E_NS1_11comp_targetILNS1_3genE4ELNS1_11target_archE910ELNS1_3gpuE8ELNS1_3repE0EEENS1_30default_config_static_selectorELNS0_4arch9wavefront6targetE0EEEvT1_.num_named_barrier, 0
	.set _ZN7rocprim17ROCPRIM_400000_NS6detail17trampoline_kernelINS0_14default_configENS1_25transform_config_selectorIjLb0EEEZNS1_14transform_implILb0ES3_S5_PjN6thrust23THRUST_200600_302600_NS6detail15normal_iteratorINS9_10device_ptrIjEEEENS0_8identityIjEEEE10hipError_tT2_T3_mT4_P12ihipStream_tbEUlT_E_NS1_11comp_targetILNS1_3genE4ELNS1_11target_archE910ELNS1_3gpuE8ELNS1_3repE0EEENS1_30default_config_static_selectorELNS0_4arch9wavefront6targetE0EEEvT1_.private_seg_size, 0
	.set _ZN7rocprim17ROCPRIM_400000_NS6detail17trampoline_kernelINS0_14default_configENS1_25transform_config_selectorIjLb0EEEZNS1_14transform_implILb0ES3_S5_PjN6thrust23THRUST_200600_302600_NS6detail15normal_iteratorINS9_10device_ptrIjEEEENS0_8identityIjEEEE10hipError_tT2_T3_mT4_P12ihipStream_tbEUlT_E_NS1_11comp_targetILNS1_3genE4ELNS1_11target_archE910ELNS1_3gpuE8ELNS1_3repE0EEENS1_30default_config_static_selectorELNS0_4arch9wavefront6targetE0EEEvT1_.uses_vcc, 0
	.set _ZN7rocprim17ROCPRIM_400000_NS6detail17trampoline_kernelINS0_14default_configENS1_25transform_config_selectorIjLb0EEEZNS1_14transform_implILb0ES3_S5_PjN6thrust23THRUST_200600_302600_NS6detail15normal_iteratorINS9_10device_ptrIjEEEENS0_8identityIjEEEE10hipError_tT2_T3_mT4_P12ihipStream_tbEUlT_E_NS1_11comp_targetILNS1_3genE4ELNS1_11target_archE910ELNS1_3gpuE8ELNS1_3repE0EEENS1_30default_config_static_selectorELNS0_4arch9wavefront6targetE0EEEvT1_.uses_flat_scratch, 0
	.set _ZN7rocprim17ROCPRIM_400000_NS6detail17trampoline_kernelINS0_14default_configENS1_25transform_config_selectorIjLb0EEEZNS1_14transform_implILb0ES3_S5_PjN6thrust23THRUST_200600_302600_NS6detail15normal_iteratorINS9_10device_ptrIjEEEENS0_8identityIjEEEE10hipError_tT2_T3_mT4_P12ihipStream_tbEUlT_E_NS1_11comp_targetILNS1_3genE4ELNS1_11target_archE910ELNS1_3gpuE8ELNS1_3repE0EEENS1_30default_config_static_selectorELNS0_4arch9wavefront6targetE0EEEvT1_.has_dyn_sized_stack, 0
	.set _ZN7rocprim17ROCPRIM_400000_NS6detail17trampoline_kernelINS0_14default_configENS1_25transform_config_selectorIjLb0EEEZNS1_14transform_implILb0ES3_S5_PjN6thrust23THRUST_200600_302600_NS6detail15normal_iteratorINS9_10device_ptrIjEEEENS0_8identityIjEEEE10hipError_tT2_T3_mT4_P12ihipStream_tbEUlT_E_NS1_11comp_targetILNS1_3genE4ELNS1_11target_archE910ELNS1_3gpuE8ELNS1_3repE0EEENS1_30default_config_static_selectorELNS0_4arch9wavefront6targetE0EEEvT1_.has_recursion, 0
	.set _ZN7rocprim17ROCPRIM_400000_NS6detail17trampoline_kernelINS0_14default_configENS1_25transform_config_selectorIjLb0EEEZNS1_14transform_implILb0ES3_S5_PjN6thrust23THRUST_200600_302600_NS6detail15normal_iteratorINS9_10device_ptrIjEEEENS0_8identityIjEEEE10hipError_tT2_T3_mT4_P12ihipStream_tbEUlT_E_NS1_11comp_targetILNS1_3genE4ELNS1_11target_archE910ELNS1_3gpuE8ELNS1_3repE0EEENS1_30default_config_static_selectorELNS0_4arch9wavefront6targetE0EEEvT1_.has_indirect_call, 0
	.section	.AMDGPU.csdata,"",@progbits
; Kernel info:
; codeLenInByte = 0
; TotalNumSgprs: 0
; NumVgprs: 0
; ScratchSize: 0
; MemoryBound: 0
; FloatMode: 240
; IeeeMode: 1
; LDSByteSize: 0 bytes/workgroup (compile time only)
; SGPRBlocks: 0
; VGPRBlocks: 0
; NumSGPRsForWavesPerEU: 1
; NumVGPRsForWavesPerEU: 1
; NamedBarCnt: 0
; Occupancy: 16
; WaveLimiterHint : 0
; COMPUTE_PGM_RSRC2:SCRATCH_EN: 0
; COMPUTE_PGM_RSRC2:USER_SGPR: 2
; COMPUTE_PGM_RSRC2:TRAP_HANDLER: 0
; COMPUTE_PGM_RSRC2:TGID_X_EN: 1
; COMPUTE_PGM_RSRC2:TGID_Y_EN: 0
; COMPUTE_PGM_RSRC2:TGID_Z_EN: 0
; COMPUTE_PGM_RSRC2:TIDIG_COMP_CNT: 0
	.section	.text._ZN7rocprim17ROCPRIM_400000_NS6detail17trampoline_kernelINS0_14default_configENS1_25transform_config_selectorIjLb0EEEZNS1_14transform_implILb0ES3_S5_PjN6thrust23THRUST_200600_302600_NS6detail15normal_iteratorINS9_10device_ptrIjEEEENS0_8identityIjEEEE10hipError_tT2_T3_mT4_P12ihipStream_tbEUlT_E_NS1_11comp_targetILNS1_3genE3ELNS1_11target_archE908ELNS1_3gpuE7ELNS1_3repE0EEENS1_30default_config_static_selectorELNS0_4arch9wavefront6targetE0EEEvT1_,"axG",@progbits,_ZN7rocprim17ROCPRIM_400000_NS6detail17trampoline_kernelINS0_14default_configENS1_25transform_config_selectorIjLb0EEEZNS1_14transform_implILb0ES3_S5_PjN6thrust23THRUST_200600_302600_NS6detail15normal_iteratorINS9_10device_ptrIjEEEENS0_8identityIjEEEE10hipError_tT2_T3_mT4_P12ihipStream_tbEUlT_E_NS1_11comp_targetILNS1_3genE3ELNS1_11target_archE908ELNS1_3gpuE7ELNS1_3repE0EEENS1_30default_config_static_selectorELNS0_4arch9wavefront6targetE0EEEvT1_,comdat
	.protected	_ZN7rocprim17ROCPRIM_400000_NS6detail17trampoline_kernelINS0_14default_configENS1_25transform_config_selectorIjLb0EEEZNS1_14transform_implILb0ES3_S5_PjN6thrust23THRUST_200600_302600_NS6detail15normal_iteratorINS9_10device_ptrIjEEEENS0_8identityIjEEEE10hipError_tT2_T3_mT4_P12ihipStream_tbEUlT_E_NS1_11comp_targetILNS1_3genE3ELNS1_11target_archE908ELNS1_3gpuE7ELNS1_3repE0EEENS1_30default_config_static_selectorELNS0_4arch9wavefront6targetE0EEEvT1_ ; -- Begin function _ZN7rocprim17ROCPRIM_400000_NS6detail17trampoline_kernelINS0_14default_configENS1_25transform_config_selectorIjLb0EEEZNS1_14transform_implILb0ES3_S5_PjN6thrust23THRUST_200600_302600_NS6detail15normal_iteratorINS9_10device_ptrIjEEEENS0_8identityIjEEEE10hipError_tT2_T3_mT4_P12ihipStream_tbEUlT_E_NS1_11comp_targetILNS1_3genE3ELNS1_11target_archE908ELNS1_3gpuE7ELNS1_3repE0EEENS1_30default_config_static_selectorELNS0_4arch9wavefront6targetE0EEEvT1_
	.globl	_ZN7rocprim17ROCPRIM_400000_NS6detail17trampoline_kernelINS0_14default_configENS1_25transform_config_selectorIjLb0EEEZNS1_14transform_implILb0ES3_S5_PjN6thrust23THRUST_200600_302600_NS6detail15normal_iteratorINS9_10device_ptrIjEEEENS0_8identityIjEEEE10hipError_tT2_T3_mT4_P12ihipStream_tbEUlT_E_NS1_11comp_targetILNS1_3genE3ELNS1_11target_archE908ELNS1_3gpuE7ELNS1_3repE0EEENS1_30default_config_static_selectorELNS0_4arch9wavefront6targetE0EEEvT1_
	.p2align	8
	.type	_ZN7rocprim17ROCPRIM_400000_NS6detail17trampoline_kernelINS0_14default_configENS1_25transform_config_selectorIjLb0EEEZNS1_14transform_implILb0ES3_S5_PjN6thrust23THRUST_200600_302600_NS6detail15normal_iteratorINS9_10device_ptrIjEEEENS0_8identityIjEEEE10hipError_tT2_T3_mT4_P12ihipStream_tbEUlT_E_NS1_11comp_targetILNS1_3genE3ELNS1_11target_archE908ELNS1_3gpuE7ELNS1_3repE0EEENS1_30default_config_static_selectorELNS0_4arch9wavefront6targetE0EEEvT1_,@function
_ZN7rocprim17ROCPRIM_400000_NS6detail17trampoline_kernelINS0_14default_configENS1_25transform_config_selectorIjLb0EEEZNS1_14transform_implILb0ES3_S5_PjN6thrust23THRUST_200600_302600_NS6detail15normal_iteratorINS9_10device_ptrIjEEEENS0_8identityIjEEEE10hipError_tT2_T3_mT4_P12ihipStream_tbEUlT_E_NS1_11comp_targetILNS1_3genE3ELNS1_11target_archE908ELNS1_3gpuE7ELNS1_3repE0EEENS1_30default_config_static_selectorELNS0_4arch9wavefront6targetE0EEEvT1_: ; @_ZN7rocprim17ROCPRIM_400000_NS6detail17trampoline_kernelINS0_14default_configENS1_25transform_config_selectorIjLb0EEEZNS1_14transform_implILb0ES3_S5_PjN6thrust23THRUST_200600_302600_NS6detail15normal_iteratorINS9_10device_ptrIjEEEENS0_8identityIjEEEE10hipError_tT2_T3_mT4_P12ihipStream_tbEUlT_E_NS1_11comp_targetILNS1_3genE3ELNS1_11target_archE908ELNS1_3gpuE7ELNS1_3repE0EEENS1_30default_config_static_selectorELNS0_4arch9wavefront6targetE0EEEvT1_
; %bb.0:
	.section	.rodata,"a",@progbits
	.p2align	6, 0x0
	.amdhsa_kernel _ZN7rocprim17ROCPRIM_400000_NS6detail17trampoline_kernelINS0_14default_configENS1_25transform_config_selectorIjLb0EEEZNS1_14transform_implILb0ES3_S5_PjN6thrust23THRUST_200600_302600_NS6detail15normal_iteratorINS9_10device_ptrIjEEEENS0_8identityIjEEEE10hipError_tT2_T3_mT4_P12ihipStream_tbEUlT_E_NS1_11comp_targetILNS1_3genE3ELNS1_11target_archE908ELNS1_3gpuE7ELNS1_3repE0EEENS1_30default_config_static_selectorELNS0_4arch9wavefront6targetE0EEEvT1_
		.amdhsa_group_segment_fixed_size 0
		.amdhsa_private_segment_fixed_size 0
		.amdhsa_kernarg_size 40
		.amdhsa_user_sgpr_count 2
		.amdhsa_user_sgpr_dispatch_ptr 0
		.amdhsa_user_sgpr_queue_ptr 0
		.amdhsa_user_sgpr_kernarg_segment_ptr 1
		.amdhsa_user_sgpr_dispatch_id 0
		.amdhsa_user_sgpr_kernarg_preload_length 0
		.amdhsa_user_sgpr_kernarg_preload_offset 0
		.amdhsa_user_sgpr_private_segment_size 0
		.amdhsa_wavefront_size32 1
		.amdhsa_uses_dynamic_stack 0
		.amdhsa_enable_private_segment 0
		.amdhsa_system_sgpr_workgroup_id_x 1
		.amdhsa_system_sgpr_workgroup_id_y 0
		.amdhsa_system_sgpr_workgroup_id_z 0
		.amdhsa_system_sgpr_workgroup_info 0
		.amdhsa_system_vgpr_workitem_id 0
		.amdhsa_next_free_vgpr 1
		.amdhsa_next_free_sgpr 1
		.amdhsa_named_barrier_count 0
		.amdhsa_reserve_vcc 0
		.amdhsa_float_round_mode_32 0
		.amdhsa_float_round_mode_16_64 0
		.amdhsa_float_denorm_mode_32 3
		.amdhsa_float_denorm_mode_16_64 3
		.amdhsa_fp16_overflow 0
		.amdhsa_memory_ordered 1
		.amdhsa_forward_progress 1
		.amdhsa_inst_pref_size 0
		.amdhsa_round_robin_scheduling 0
		.amdhsa_exception_fp_ieee_invalid_op 0
		.amdhsa_exception_fp_denorm_src 0
		.amdhsa_exception_fp_ieee_div_zero 0
		.amdhsa_exception_fp_ieee_overflow 0
		.amdhsa_exception_fp_ieee_underflow 0
		.amdhsa_exception_fp_ieee_inexact 0
		.amdhsa_exception_int_div_zero 0
	.end_amdhsa_kernel
	.section	.text._ZN7rocprim17ROCPRIM_400000_NS6detail17trampoline_kernelINS0_14default_configENS1_25transform_config_selectorIjLb0EEEZNS1_14transform_implILb0ES3_S5_PjN6thrust23THRUST_200600_302600_NS6detail15normal_iteratorINS9_10device_ptrIjEEEENS0_8identityIjEEEE10hipError_tT2_T3_mT4_P12ihipStream_tbEUlT_E_NS1_11comp_targetILNS1_3genE3ELNS1_11target_archE908ELNS1_3gpuE7ELNS1_3repE0EEENS1_30default_config_static_selectorELNS0_4arch9wavefront6targetE0EEEvT1_,"axG",@progbits,_ZN7rocprim17ROCPRIM_400000_NS6detail17trampoline_kernelINS0_14default_configENS1_25transform_config_selectorIjLb0EEEZNS1_14transform_implILb0ES3_S5_PjN6thrust23THRUST_200600_302600_NS6detail15normal_iteratorINS9_10device_ptrIjEEEENS0_8identityIjEEEE10hipError_tT2_T3_mT4_P12ihipStream_tbEUlT_E_NS1_11comp_targetILNS1_3genE3ELNS1_11target_archE908ELNS1_3gpuE7ELNS1_3repE0EEENS1_30default_config_static_selectorELNS0_4arch9wavefront6targetE0EEEvT1_,comdat
.Lfunc_end76:
	.size	_ZN7rocprim17ROCPRIM_400000_NS6detail17trampoline_kernelINS0_14default_configENS1_25transform_config_selectorIjLb0EEEZNS1_14transform_implILb0ES3_S5_PjN6thrust23THRUST_200600_302600_NS6detail15normal_iteratorINS9_10device_ptrIjEEEENS0_8identityIjEEEE10hipError_tT2_T3_mT4_P12ihipStream_tbEUlT_E_NS1_11comp_targetILNS1_3genE3ELNS1_11target_archE908ELNS1_3gpuE7ELNS1_3repE0EEENS1_30default_config_static_selectorELNS0_4arch9wavefront6targetE0EEEvT1_, .Lfunc_end76-_ZN7rocprim17ROCPRIM_400000_NS6detail17trampoline_kernelINS0_14default_configENS1_25transform_config_selectorIjLb0EEEZNS1_14transform_implILb0ES3_S5_PjN6thrust23THRUST_200600_302600_NS6detail15normal_iteratorINS9_10device_ptrIjEEEENS0_8identityIjEEEE10hipError_tT2_T3_mT4_P12ihipStream_tbEUlT_E_NS1_11comp_targetILNS1_3genE3ELNS1_11target_archE908ELNS1_3gpuE7ELNS1_3repE0EEENS1_30default_config_static_selectorELNS0_4arch9wavefront6targetE0EEEvT1_
                                        ; -- End function
	.set _ZN7rocprim17ROCPRIM_400000_NS6detail17trampoline_kernelINS0_14default_configENS1_25transform_config_selectorIjLb0EEEZNS1_14transform_implILb0ES3_S5_PjN6thrust23THRUST_200600_302600_NS6detail15normal_iteratorINS9_10device_ptrIjEEEENS0_8identityIjEEEE10hipError_tT2_T3_mT4_P12ihipStream_tbEUlT_E_NS1_11comp_targetILNS1_3genE3ELNS1_11target_archE908ELNS1_3gpuE7ELNS1_3repE0EEENS1_30default_config_static_selectorELNS0_4arch9wavefront6targetE0EEEvT1_.num_vgpr, 0
	.set _ZN7rocprim17ROCPRIM_400000_NS6detail17trampoline_kernelINS0_14default_configENS1_25transform_config_selectorIjLb0EEEZNS1_14transform_implILb0ES3_S5_PjN6thrust23THRUST_200600_302600_NS6detail15normal_iteratorINS9_10device_ptrIjEEEENS0_8identityIjEEEE10hipError_tT2_T3_mT4_P12ihipStream_tbEUlT_E_NS1_11comp_targetILNS1_3genE3ELNS1_11target_archE908ELNS1_3gpuE7ELNS1_3repE0EEENS1_30default_config_static_selectorELNS0_4arch9wavefront6targetE0EEEvT1_.num_agpr, 0
	.set _ZN7rocprim17ROCPRIM_400000_NS6detail17trampoline_kernelINS0_14default_configENS1_25transform_config_selectorIjLb0EEEZNS1_14transform_implILb0ES3_S5_PjN6thrust23THRUST_200600_302600_NS6detail15normal_iteratorINS9_10device_ptrIjEEEENS0_8identityIjEEEE10hipError_tT2_T3_mT4_P12ihipStream_tbEUlT_E_NS1_11comp_targetILNS1_3genE3ELNS1_11target_archE908ELNS1_3gpuE7ELNS1_3repE0EEENS1_30default_config_static_selectorELNS0_4arch9wavefront6targetE0EEEvT1_.numbered_sgpr, 0
	.set _ZN7rocprim17ROCPRIM_400000_NS6detail17trampoline_kernelINS0_14default_configENS1_25transform_config_selectorIjLb0EEEZNS1_14transform_implILb0ES3_S5_PjN6thrust23THRUST_200600_302600_NS6detail15normal_iteratorINS9_10device_ptrIjEEEENS0_8identityIjEEEE10hipError_tT2_T3_mT4_P12ihipStream_tbEUlT_E_NS1_11comp_targetILNS1_3genE3ELNS1_11target_archE908ELNS1_3gpuE7ELNS1_3repE0EEENS1_30default_config_static_selectorELNS0_4arch9wavefront6targetE0EEEvT1_.num_named_barrier, 0
	.set _ZN7rocprim17ROCPRIM_400000_NS6detail17trampoline_kernelINS0_14default_configENS1_25transform_config_selectorIjLb0EEEZNS1_14transform_implILb0ES3_S5_PjN6thrust23THRUST_200600_302600_NS6detail15normal_iteratorINS9_10device_ptrIjEEEENS0_8identityIjEEEE10hipError_tT2_T3_mT4_P12ihipStream_tbEUlT_E_NS1_11comp_targetILNS1_3genE3ELNS1_11target_archE908ELNS1_3gpuE7ELNS1_3repE0EEENS1_30default_config_static_selectorELNS0_4arch9wavefront6targetE0EEEvT1_.private_seg_size, 0
	.set _ZN7rocprim17ROCPRIM_400000_NS6detail17trampoline_kernelINS0_14default_configENS1_25transform_config_selectorIjLb0EEEZNS1_14transform_implILb0ES3_S5_PjN6thrust23THRUST_200600_302600_NS6detail15normal_iteratorINS9_10device_ptrIjEEEENS0_8identityIjEEEE10hipError_tT2_T3_mT4_P12ihipStream_tbEUlT_E_NS1_11comp_targetILNS1_3genE3ELNS1_11target_archE908ELNS1_3gpuE7ELNS1_3repE0EEENS1_30default_config_static_selectorELNS0_4arch9wavefront6targetE0EEEvT1_.uses_vcc, 0
	.set _ZN7rocprim17ROCPRIM_400000_NS6detail17trampoline_kernelINS0_14default_configENS1_25transform_config_selectorIjLb0EEEZNS1_14transform_implILb0ES3_S5_PjN6thrust23THRUST_200600_302600_NS6detail15normal_iteratorINS9_10device_ptrIjEEEENS0_8identityIjEEEE10hipError_tT2_T3_mT4_P12ihipStream_tbEUlT_E_NS1_11comp_targetILNS1_3genE3ELNS1_11target_archE908ELNS1_3gpuE7ELNS1_3repE0EEENS1_30default_config_static_selectorELNS0_4arch9wavefront6targetE0EEEvT1_.uses_flat_scratch, 0
	.set _ZN7rocprim17ROCPRIM_400000_NS6detail17trampoline_kernelINS0_14default_configENS1_25transform_config_selectorIjLb0EEEZNS1_14transform_implILb0ES3_S5_PjN6thrust23THRUST_200600_302600_NS6detail15normal_iteratorINS9_10device_ptrIjEEEENS0_8identityIjEEEE10hipError_tT2_T3_mT4_P12ihipStream_tbEUlT_E_NS1_11comp_targetILNS1_3genE3ELNS1_11target_archE908ELNS1_3gpuE7ELNS1_3repE0EEENS1_30default_config_static_selectorELNS0_4arch9wavefront6targetE0EEEvT1_.has_dyn_sized_stack, 0
	.set _ZN7rocprim17ROCPRIM_400000_NS6detail17trampoline_kernelINS0_14default_configENS1_25transform_config_selectorIjLb0EEEZNS1_14transform_implILb0ES3_S5_PjN6thrust23THRUST_200600_302600_NS6detail15normal_iteratorINS9_10device_ptrIjEEEENS0_8identityIjEEEE10hipError_tT2_T3_mT4_P12ihipStream_tbEUlT_E_NS1_11comp_targetILNS1_3genE3ELNS1_11target_archE908ELNS1_3gpuE7ELNS1_3repE0EEENS1_30default_config_static_selectorELNS0_4arch9wavefront6targetE0EEEvT1_.has_recursion, 0
	.set _ZN7rocprim17ROCPRIM_400000_NS6detail17trampoline_kernelINS0_14default_configENS1_25transform_config_selectorIjLb0EEEZNS1_14transform_implILb0ES3_S5_PjN6thrust23THRUST_200600_302600_NS6detail15normal_iteratorINS9_10device_ptrIjEEEENS0_8identityIjEEEE10hipError_tT2_T3_mT4_P12ihipStream_tbEUlT_E_NS1_11comp_targetILNS1_3genE3ELNS1_11target_archE908ELNS1_3gpuE7ELNS1_3repE0EEENS1_30default_config_static_selectorELNS0_4arch9wavefront6targetE0EEEvT1_.has_indirect_call, 0
	.section	.AMDGPU.csdata,"",@progbits
; Kernel info:
; codeLenInByte = 0
; TotalNumSgprs: 0
; NumVgprs: 0
; ScratchSize: 0
; MemoryBound: 0
; FloatMode: 240
; IeeeMode: 1
; LDSByteSize: 0 bytes/workgroup (compile time only)
; SGPRBlocks: 0
; VGPRBlocks: 0
; NumSGPRsForWavesPerEU: 1
; NumVGPRsForWavesPerEU: 1
; NamedBarCnt: 0
; Occupancy: 16
; WaveLimiterHint : 0
; COMPUTE_PGM_RSRC2:SCRATCH_EN: 0
; COMPUTE_PGM_RSRC2:USER_SGPR: 2
; COMPUTE_PGM_RSRC2:TRAP_HANDLER: 0
; COMPUTE_PGM_RSRC2:TGID_X_EN: 1
; COMPUTE_PGM_RSRC2:TGID_Y_EN: 0
; COMPUTE_PGM_RSRC2:TGID_Z_EN: 0
; COMPUTE_PGM_RSRC2:TIDIG_COMP_CNT: 0
	.section	.text._ZN7rocprim17ROCPRIM_400000_NS6detail17trampoline_kernelINS0_14default_configENS1_25transform_config_selectorIjLb0EEEZNS1_14transform_implILb0ES3_S5_PjN6thrust23THRUST_200600_302600_NS6detail15normal_iteratorINS9_10device_ptrIjEEEENS0_8identityIjEEEE10hipError_tT2_T3_mT4_P12ihipStream_tbEUlT_E_NS1_11comp_targetILNS1_3genE2ELNS1_11target_archE906ELNS1_3gpuE6ELNS1_3repE0EEENS1_30default_config_static_selectorELNS0_4arch9wavefront6targetE0EEEvT1_,"axG",@progbits,_ZN7rocprim17ROCPRIM_400000_NS6detail17trampoline_kernelINS0_14default_configENS1_25transform_config_selectorIjLb0EEEZNS1_14transform_implILb0ES3_S5_PjN6thrust23THRUST_200600_302600_NS6detail15normal_iteratorINS9_10device_ptrIjEEEENS0_8identityIjEEEE10hipError_tT2_T3_mT4_P12ihipStream_tbEUlT_E_NS1_11comp_targetILNS1_3genE2ELNS1_11target_archE906ELNS1_3gpuE6ELNS1_3repE0EEENS1_30default_config_static_selectorELNS0_4arch9wavefront6targetE0EEEvT1_,comdat
	.protected	_ZN7rocprim17ROCPRIM_400000_NS6detail17trampoline_kernelINS0_14default_configENS1_25transform_config_selectorIjLb0EEEZNS1_14transform_implILb0ES3_S5_PjN6thrust23THRUST_200600_302600_NS6detail15normal_iteratorINS9_10device_ptrIjEEEENS0_8identityIjEEEE10hipError_tT2_T3_mT4_P12ihipStream_tbEUlT_E_NS1_11comp_targetILNS1_3genE2ELNS1_11target_archE906ELNS1_3gpuE6ELNS1_3repE0EEENS1_30default_config_static_selectorELNS0_4arch9wavefront6targetE0EEEvT1_ ; -- Begin function _ZN7rocprim17ROCPRIM_400000_NS6detail17trampoline_kernelINS0_14default_configENS1_25transform_config_selectorIjLb0EEEZNS1_14transform_implILb0ES3_S5_PjN6thrust23THRUST_200600_302600_NS6detail15normal_iteratorINS9_10device_ptrIjEEEENS0_8identityIjEEEE10hipError_tT2_T3_mT4_P12ihipStream_tbEUlT_E_NS1_11comp_targetILNS1_3genE2ELNS1_11target_archE906ELNS1_3gpuE6ELNS1_3repE0EEENS1_30default_config_static_selectorELNS0_4arch9wavefront6targetE0EEEvT1_
	.globl	_ZN7rocprim17ROCPRIM_400000_NS6detail17trampoline_kernelINS0_14default_configENS1_25transform_config_selectorIjLb0EEEZNS1_14transform_implILb0ES3_S5_PjN6thrust23THRUST_200600_302600_NS6detail15normal_iteratorINS9_10device_ptrIjEEEENS0_8identityIjEEEE10hipError_tT2_T3_mT4_P12ihipStream_tbEUlT_E_NS1_11comp_targetILNS1_3genE2ELNS1_11target_archE906ELNS1_3gpuE6ELNS1_3repE0EEENS1_30default_config_static_selectorELNS0_4arch9wavefront6targetE0EEEvT1_
	.p2align	8
	.type	_ZN7rocprim17ROCPRIM_400000_NS6detail17trampoline_kernelINS0_14default_configENS1_25transform_config_selectorIjLb0EEEZNS1_14transform_implILb0ES3_S5_PjN6thrust23THRUST_200600_302600_NS6detail15normal_iteratorINS9_10device_ptrIjEEEENS0_8identityIjEEEE10hipError_tT2_T3_mT4_P12ihipStream_tbEUlT_E_NS1_11comp_targetILNS1_3genE2ELNS1_11target_archE906ELNS1_3gpuE6ELNS1_3repE0EEENS1_30default_config_static_selectorELNS0_4arch9wavefront6targetE0EEEvT1_,@function
_ZN7rocprim17ROCPRIM_400000_NS6detail17trampoline_kernelINS0_14default_configENS1_25transform_config_selectorIjLb0EEEZNS1_14transform_implILb0ES3_S5_PjN6thrust23THRUST_200600_302600_NS6detail15normal_iteratorINS9_10device_ptrIjEEEENS0_8identityIjEEEE10hipError_tT2_T3_mT4_P12ihipStream_tbEUlT_E_NS1_11comp_targetILNS1_3genE2ELNS1_11target_archE906ELNS1_3gpuE6ELNS1_3repE0EEENS1_30default_config_static_selectorELNS0_4arch9wavefront6targetE0EEEvT1_: ; @_ZN7rocprim17ROCPRIM_400000_NS6detail17trampoline_kernelINS0_14default_configENS1_25transform_config_selectorIjLb0EEEZNS1_14transform_implILb0ES3_S5_PjN6thrust23THRUST_200600_302600_NS6detail15normal_iteratorINS9_10device_ptrIjEEEENS0_8identityIjEEEE10hipError_tT2_T3_mT4_P12ihipStream_tbEUlT_E_NS1_11comp_targetILNS1_3genE2ELNS1_11target_archE906ELNS1_3gpuE6ELNS1_3repE0EEENS1_30default_config_static_selectorELNS0_4arch9wavefront6targetE0EEEvT1_
; %bb.0:
	.section	.rodata,"a",@progbits
	.p2align	6, 0x0
	.amdhsa_kernel _ZN7rocprim17ROCPRIM_400000_NS6detail17trampoline_kernelINS0_14default_configENS1_25transform_config_selectorIjLb0EEEZNS1_14transform_implILb0ES3_S5_PjN6thrust23THRUST_200600_302600_NS6detail15normal_iteratorINS9_10device_ptrIjEEEENS0_8identityIjEEEE10hipError_tT2_T3_mT4_P12ihipStream_tbEUlT_E_NS1_11comp_targetILNS1_3genE2ELNS1_11target_archE906ELNS1_3gpuE6ELNS1_3repE0EEENS1_30default_config_static_selectorELNS0_4arch9wavefront6targetE0EEEvT1_
		.amdhsa_group_segment_fixed_size 0
		.amdhsa_private_segment_fixed_size 0
		.amdhsa_kernarg_size 40
		.amdhsa_user_sgpr_count 2
		.amdhsa_user_sgpr_dispatch_ptr 0
		.amdhsa_user_sgpr_queue_ptr 0
		.amdhsa_user_sgpr_kernarg_segment_ptr 1
		.amdhsa_user_sgpr_dispatch_id 0
		.amdhsa_user_sgpr_kernarg_preload_length 0
		.amdhsa_user_sgpr_kernarg_preload_offset 0
		.amdhsa_user_sgpr_private_segment_size 0
		.amdhsa_wavefront_size32 1
		.amdhsa_uses_dynamic_stack 0
		.amdhsa_enable_private_segment 0
		.amdhsa_system_sgpr_workgroup_id_x 1
		.amdhsa_system_sgpr_workgroup_id_y 0
		.amdhsa_system_sgpr_workgroup_id_z 0
		.amdhsa_system_sgpr_workgroup_info 0
		.amdhsa_system_vgpr_workitem_id 0
		.amdhsa_next_free_vgpr 1
		.amdhsa_next_free_sgpr 1
		.amdhsa_named_barrier_count 0
		.amdhsa_reserve_vcc 0
		.amdhsa_float_round_mode_32 0
		.amdhsa_float_round_mode_16_64 0
		.amdhsa_float_denorm_mode_32 3
		.amdhsa_float_denorm_mode_16_64 3
		.amdhsa_fp16_overflow 0
		.amdhsa_memory_ordered 1
		.amdhsa_forward_progress 1
		.amdhsa_inst_pref_size 0
		.amdhsa_round_robin_scheduling 0
		.amdhsa_exception_fp_ieee_invalid_op 0
		.amdhsa_exception_fp_denorm_src 0
		.amdhsa_exception_fp_ieee_div_zero 0
		.amdhsa_exception_fp_ieee_overflow 0
		.amdhsa_exception_fp_ieee_underflow 0
		.amdhsa_exception_fp_ieee_inexact 0
		.amdhsa_exception_int_div_zero 0
	.end_amdhsa_kernel
	.section	.text._ZN7rocprim17ROCPRIM_400000_NS6detail17trampoline_kernelINS0_14default_configENS1_25transform_config_selectorIjLb0EEEZNS1_14transform_implILb0ES3_S5_PjN6thrust23THRUST_200600_302600_NS6detail15normal_iteratorINS9_10device_ptrIjEEEENS0_8identityIjEEEE10hipError_tT2_T3_mT4_P12ihipStream_tbEUlT_E_NS1_11comp_targetILNS1_3genE2ELNS1_11target_archE906ELNS1_3gpuE6ELNS1_3repE0EEENS1_30default_config_static_selectorELNS0_4arch9wavefront6targetE0EEEvT1_,"axG",@progbits,_ZN7rocprim17ROCPRIM_400000_NS6detail17trampoline_kernelINS0_14default_configENS1_25transform_config_selectorIjLb0EEEZNS1_14transform_implILb0ES3_S5_PjN6thrust23THRUST_200600_302600_NS6detail15normal_iteratorINS9_10device_ptrIjEEEENS0_8identityIjEEEE10hipError_tT2_T3_mT4_P12ihipStream_tbEUlT_E_NS1_11comp_targetILNS1_3genE2ELNS1_11target_archE906ELNS1_3gpuE6ELNS1_3repE0EEENS1_30default_config_static_selectorELNS0_4arch9wavefront6targetE0EEEvT1_,comdat
.Lfunc_end77:
	.size	_ZN7rocprim17ROCPRIM_400000_NS6detail17trampoline_kernelINS0_14default_configENS1_25transform_config_selectorIjLb0EEEZNS1_14transform_implILb0ES3_S5_PjN6thrust23THRUST_200600_302600_NS6detail15normal_iteratorINS9_10device_ptrIjEEEENS0_8identityIjEEEE10hipError_tT2_T3_mT4_P12ihipStream_tbEUlT_E_NS1_11comp_targetILNS1_3genE2ELNS1_11target_archE906ELNS1_3gpuE6ELNS1_3repE0EEENS1_30default_config_static_selectorELNS0_4arch9wavefront6targetE0EEEvT1_, .Lfunc_end77-_ZN7rocprim17ROCPRIM_400000_NS6detail17trampoline_kernelINS0_14default_configENS1_25transform_config_selectorIjLb0EEEZNS1_14transform_implILb0ES3_S5_PjN6thrust23THRUST_200600_302600_NS6detail15normal_iteratorINS9_10device_ptrIjEEEENS0_8identityIjEEEE10hipError_tT2_T3_mT4_P12ihipStream_tbEUlT_E_NS1_11comp_targetILNS1_3genE2ELNS1_11target_archE906ELNS1_3gpuE6ELNS1_3repE0EEENS1_30default_config_static_selectorELNS0_4arch9wavefront6targetE0EEEvT1_
                                        ; -- End function
	.set _ZN7rocprim17ROCPRIM_400000_NS6detail17trampoline_kernelINS0_14default_configENS1_25transform_config_selectorIjLb0EEEZNS1_14transform_implILb0ES3_S5_PjN6thrust23THRUST_200600_302600_NS6detail15normal_iteratorINS9_10device_ptrIjEEEENS0_8identityIjEEEE10hipError_tT2_T3_mT4_P12ihipStream_tbEUlT_E_NS1_11comp_targetILNS1_3genE2ELNS1_11target_archE906ELNS1_3gpuE6ELNS1_3repE0EEENS1_30default_config_static_selectorELNS0_4arch9wavefront6targetE0EEEvT1_.num_vgpr, 0
	.set _ZN7rocprim17ROCPRIM_400000_NS6detail17trampoline_kernelINS0_14default_configENS1_25transform_config_selectorIjLb0EEEZNS1_14transform_implILb0ES3_S5_PjN6thrust23THRUST_200600_302600_NS6detail15normal_iteratorINS9_10device_ptrIjEEEENS0_8identityIjEEEE10hipError_tT2_T3_mT4_P12ihipStream_tbEUlT_E_NS1_11comp_targetILNS1_3genE2ELNS1_11target_archE906ELNS1_3gpuE6ELNS1_3repE0EEENS1_30default_config_static_selectorELNS0_4arch9wavefront6targetE0EEEvT1_.num_agpr, 0
	.set _ZN7rocprim17ROCPRIM_400000_NS6detail17trampoline_kernelINS0_14default_configENS1_25transform_config_selectorIjLb0EEEZNS1_14transform_implILb0ES3_S5_PjN6thrust23THRUST_200600_302600_NS6detail15normal_iteratorINS9_10device_ptrIjEEEENS0_8identityIjEEEE10hipError_tT2_T3_mT4_P12ihipStream_tbEUlT_E_NS1_11comp_targetILNS1_3genE2ELNS1_11target_archE906ELNS1_3gpuE6ELNS1_3repE0EEENS1_30default_config_static_selectorELNS0_4arch9wavefront6targetE0EEEvT1_.numbered_sgpr, 0
	.set _ZN7rocprim17ROCPRIM_400000_NS6detail17trampoline_kernelINS0_14default_configENS1_25transform_config_selectorIjLb0EEEZNS1_14transform_implILb0ES3_S5_PjN6thrust23THRUST_200600_302600_NS6detail15normal_iteratorINS9_10device_ptrIjEEEENS0_8identityIjEEEE10hipError_tT2_T3_mT4_P12ihipStream_tbEUlT_E_NS1_11comp_targetILNS1_3genE2ELNS1_11target_archE906ELNS1_3gpuE6ELNS1_3repE0EEENS1_30default_config_static_selectorELNS0_4arch9wavefront6targetE0EEEvT1_.num_named_barrier, 0
	.set _ZN7rocprim17ROCPRIM_400000_NS6detail17trampoline_kernelINS0_14default_configENS1_25transform_config_selectorIjLb0EEEZNS1_14transform_implILb0ES3_S5_PjN6thrust23THRUST_200600_302600_NS6detail15normal_iteratorINS9_10device_ptrIjEEEENS0_8identityIjEEEE10hipError_tT2_T3_mT4_P12ihipStream_tbEUlT_E_NS1_11comp_targetILNS1_3genE2ELNS1_11target_archE906ELNS1_3gpuE6ELNS1_3repE0EEENS1_30default_config_static_selectorELNS0_4arch9wavefront6targetE0EEEvT1_.private_seg_size, 0
	.set _ZN7rocprim17ROCPRIM_400000_NS6detail17trampoline_kernelINS0_14default_configENS1_25transform_config_selectorIjLb0EEEZNS1_14transform_implILb0ES3_S5_PjN6thrust23THRUST_200600_302600_NS6detail15normal_iteratorINS9_10device_ptrIjEEEENS0_8identityIjEEEE10hipError_tT2_T3_mT4_P12ihipStream_tbEUlT_E_NS1_11comp_targetILNS1_3genE2ELNS1_11target_archE906ELNS1_3gpuE6ELNS1_3repE0EEENS1_30default_config_static_selectorELNS0_4arch9wavefront6targetE0EEEvT1_.uses_vcc, 0
	.set _ZN7rocprim17ROCPRIM_400000_NS6detail17trampoline_kernelINS0_14default_configENS1_25transform_config_selectorIjLb0EEEZNS1_14transform_implILb0ES3_S5_PjN6thrust23THRUST_200600_302600_NS6detail15normal_iteratorINS9_10device_ptrIjEEEENS0_8identityIjEEEE10hipError_tT2_T3_mT4_P12ihipStream_tbEUlT_E_NS1_11comp_targetILNS1_3genE2ELNS1_11target_archE906ELNS1_3gpuE6ELNS1_3repE0EEENS1_30default_config_static_selectorELNS0_4arch9wavefront6targetE0EEEvT1_.uses_flat_scratch, 0
	.set _ZN7rocprim17ROCPRIM_400000_NS6detail17trampoline_kernelINS0_14default_configENS1_25transform_config_selectorIjLb0EEEZNS1_14transform_implILb0ES3_S5_PjN6thrust23THRUST_200600_302600_NS6detail15normal_iteratorINS9_10device_ptrIjEEEENS0_8identityIjEEEE10hipError_tT2_T3_mT4_P12ihipStream_tbEUlT_E_NS1_11comp_targetILNS1_3genE2ELNS1_11target_archE906ELNS1_3gpuE6ELNS1_3repE0EEENS1_30default_config_static_selectorELNS0_4arch9wavefront6targetE0EEEvT1_.has_dyn_sized_stack, 0
	.set _ZN7rocprim17ROCPRIM_400000_NS6detail17trampoline_kernelINS0_14default_configENS1_25transform_config_selectorIjLb0EEEZNS1_14transform_implILb0ES3_S5_PjN6thrust23THRUST_200600_302600_NS6detail15normal_iteratorINS9_10device_ptrIjEEEENS0_8identityIjEEEE10hipError_tT2_T3_mT4_P12ihipStream_tbEUlT_E_NS1_11comp_targetILNS1_3genE2ELNS1_11target_archE906ELNS1_3gpuE6ELNS1_3repE0EEENS1_30default_config_static_selectorELNS0_4arch9wavefront6targetE0EEEvT1_.has_recursion, 0
	.set _ZN7rocprim17ROCPRIM_400000_NS6detail17trampoline_kernelINS0_14default_configENS1_25transform_config_selectorIjLb0EEEZNS1_14transform_implILb0ES3_S5_PjN6thrust23THRUST_200600_302600_NS6detail15normal_iteratorINS9_10device_ptrIjEEEENS0_8identityIjEEEE10hipError_tT2_T3_mT4_P12ihipStream_tbEUlT_E_NS1_11comp_targetILNS1_3genE2ELNS1_11target_archE906ELNS1_3gpuE6ELNS1_3repE0EEENS1_30default_config_static_selectorELNS0_4arch9wavefront6targetE0EEEvT1_.has_indirect_call, 0
	.section	.AMDGPU.csdata,"",@progbits
; Kernel info:
; codeLenInByte = 0
; TotalNumSgprs: 0
; NumVgprs: 0
; ScratchSize: 0
; MemoryBound: 0
; FloatMode: 240
; IeeeMode: 1
; LDSByteSize: 0 bytes/workgroup (compile time only)
; SGPRBlocks: 0
; VGPRBlocks: 0
; NumSGPRsForWavesPerEU: 1
; NumVGPRsForWavesPerEU: 1
; NamedBarCnt: 0
; Occupancy: 16
; WaveLimiterHint : 0
; COMPUTE_PGM_RSRC2:SCRATCH_EN: 0
; COMPUTE_PGM_RSRC2:USER_SGPR: 2
; COMPUTE_PGM_RSRC2:TRAP_HANDLER: 0
; COMPUTE_PGM_RSRC2:TGID_X_EN: 1
; COMPUTE_PGM_RSRC2:TGID_Y_EN: 0
; COMPUTE_PGM_RSRC2:TGID_Z_EN: 0
; COMPUTE_PGM_RSRC2:TIDIG_COMP_CNT: 0
	.section	.text._ZN7rocprim17ROCPRIM_400000_NS6detail17trampoline_kernelINS0_14default_configENS1_25transform_config_selectorIjLb0EEEZNS1_14transform_implILb0ES3_S5_PjN6thrust23THRUST_200600_302600_NS6detail15normal_iteratorINS9_10device_ptrIjEEEENS0_8identityIjEEEE10hipError_tT2_T3_mT4_P12ihipStream_tbEUlT_E_NS1_11comp_targetILNS1_3genE10ELNS1_11target_archE1201ELNS1_3gpuE5ELNS1_3repE0EEENS1_30default_config_static_selectorELNS0_4arch9wavefront6targetE0EEEvT1_,"axG",@progbits,_ZN7rocprim17ROCPRIM_400000_NS6detail17trampoline_kernelINS0_14default_configENS1_25transform_config_selectorIjLb0EEEZNS1_14transform_implILb0ES3_S5_PjN6thrust23THRUST_200600_302600_NS6detail15normal_iteratorINS9_10device_ptrIjEEEENS0_8identityIjEEEE10hipError_tT2_T3_mT4_P12ihipStream_tbEUlT_E_NS1_11comp_targetILNS1_3genE10ELNS1_11target_archE1201ELNS1_3gpuE5ELNS1_3repE0EEENS1_30default_config_static_selectorELNS0_4arch9wavefront6targetE0EEEvT1_,comdat
	.protected	_ZN7rocprim17ROCPRIM_400000_NS6detail17trampoline_kernelINS0_14default_configENS1_25transform_config_selectorIjLb0EEEZNS1_14transform_implILb0ES3_S5_PjN6thrust23THRUST_200600_302600_NS6detail15normal_iteratorINS9_10device_ptrIjEEEENS0_8identityIjEEEE10hipError_tT2_T3_mT4_P12ihipStream_tbEUlT_E_NS1_11comp_targetILNS1_3genE10ELNS1_11target_archE1201ELNS1_3gpuE5ELNS1_3repE0EEENS1_30default_config_static_selectorELNS0_4arch9wavefront6targetE0EEEvT1_ ; -- Begin function _ZN7rocprim17ROCPRIM_400000_NS6detail17trampoline_kernelINS0_14default_configENS1_25transform_config_selectorIjLb0EEEZNS1_14transform_implILb0ES3_S5_PjN6thrust23THRUST_200600_302600_NS6detail15normal_iteratorINS9_10device_ptrIjEEEENS0_8identityIjEEEE10hipError_tT2_T3_mT4_P12ihipStream_tbEUlT_E_NS1_11comp_targetILNS1_3genE10ELNS1_11target_archE1201ELNS1_3gpuE5ELNS1_3repE0EEENS1_30default_config_static_selectorELNS0_4arch9wavefront6targetE0EEEvT1_
	.globl	_ZN7rocprim17ROCPRIM_400000_NS6detail17trampoline_kernelINS0_14default_configENS1_25transform_config_selectorIjLb0EEEZNS1_14transform_implILb0ES3_S5_PjN6thrust23THRUST_200600_302600_NS6detail15normal_iteratorINS9_10device_ptrIjEEEENS0_8identityIjEEEE10hipError_tT2_T3_mT4_P12ihipStream_tbEUlT_E_NS1_11comp_targetILNS1_3genE10ELNS1_11target_archE1201ELNS1_3gpuE5ELNS1_3repE0EEENS1_30default_config_static_selectorELNS0_4arch9wavefront6targetE0EEEvT1_
	.p2align	8
	.type	_ZN7rocprim17ROCPRIM_400000_NS6detail17trampoline_kernelINS0_14default_configENS1_25transform_config_selectorIjLb0EEEZNS1_14transform_implILb0ES3_S5_PjN6thrust23THRUST_200600_302600_NS6detail15normal_iteratorINS9_10device_ptrIjEEEENS0_8identityIjEEEE10hipError_tT2_T3_mT4_P12ihipStream_tbEUlT_E_NS1_11comp_targetILNS1_3genE10ELNS1_11target_archE1201ELNS1_3gpuE5ELNS1_3repE0EEENS1_30default_config_static_selectorELNS0_4arch9wavefront6targetE0EEEvT1_,@function
_ZN7rocprim17ROCPRIM_400000_NS6detail17trampoline_kernelINS0_14default_configENS1_25transform_config_selectorIjLb0EEEZNS1_14transform_implILb0ES3_S5_PjN6thrust23THRUST_200600_302600_NS6detail15normal_iteratorINS9_10device_ptrIjEEEENS0_8identityIjEEEE10hipError_tT2_T3_mT4_P12ihipStream_tbEUlT_E_NS1_11comp_targetILNS1_3genE10ELNS1_11target_archE1201ELNS1_3gpuE5ELNS1_3repE0EEENS1_30default_config_static_selectorELNS0_4arch9wavefront6targetE0EEEvT1_: ; @_ZN7rocprim17ROCPRIM_400000_NS6detail17trampoline_kernelINS0_14default_configENS1_25transform_config_selectorIjLb0EEEZNS1_14transform_implILb0ES3_S5_PjN6thrust23THRUST_200600_302600_NS6detail15normal_iteratorINS9_10device_ptrIjEEEENS0_8identityIjEEEE10hipError_tT2_T3_mT4_P12ihipStream_tbEUlT_E_NS1_11comp_targetILNS1_3genE10ELNS1_11target_archE1201ELNS1_3gpuE5ELNS1_3repE0EEENS1_30default_config_static_selectorELNS0_4arch9wavefront6targetE0EEEvT1_
; %bb.0:
	.section	.rodata,"a",@progbits
	.p2align	6, 0x0
	.amdhsa_kernel _ZN7rocprim17ROCPRIM_400000_NS6detail17trampoline_kernelINS0_14default_configENS1_25transform_config_selectorIjLb0EEEZNS1_14transform_implILb0ES3_S5_PjN6thrust23THRUST_200600_302600_NS6detail15normal_iteratorINS9_10device_ptrIjEEEENS0_8identityIjEEEE10hipError_tT2_T3_mT4_P12ihipStream_tbEUlT_E_NS1_11comp_targetILNS1_3genE10ELNS1_11target_archE1201ELNS1_3gpuE5ELNS1_3repE0EEENS1_30default_config_static_selectorELNS0_4arch9wavefront6targetE0EEEvT1_
		.amdhsa_group_segment_fixed_size 0
		.amdhsa_private_segment_fixed_size 0
		.amdhsa_kernarg_size 40
		.amdhsa_user_sgpr_count 2
		.amdhsa_user_sgpr_dispatch_ptr 0
		.amdhsa_user_sgpr_queue_ptr 0
		.amdhsa_user_sgpr_kernarg_segment_ptr 1
		.amdhsa_user_sgpr_dispatch_id 0
		.amdhsa_user_sgpr_kernarg_preload_length 0
		.amdhsa_user_sgpr_kernarg_preload_offset 0
		.amdhsa_user_sgpr_private_segment_size 0
		.amdhsa_wavefront_size32 1
		.amdhsa_uses_dynamic_stack 0
		.amdhsa_enable_private_segment 0
		.amdhsa_system_sgpr_workgroup_id_x 1
		.amdhsa_system_sgpr_workgroup_id_y 0
		.amdhsa_system_sgpr_workgroup_id_z 0
		.amdhsa_system_sgpr_workgroup_info 0
		.amdhsa_system_vgpr_workitem_id 0
		.amdhsa_next_free_vgpr 1
		.amdhsa_next_free_sgpr 1
		.amdhsa_named_barrier_count 0
		.amdhsa_reserve_vcc 0
		.amdhsa_float_round_mode_32 0
		.amdhsa_float_round_mode_16_64 0
		.amdhsa_float_denorm_mode_32 3
		.amdhsa_float_denorm_mode_16_64 3
		.amdhsa_fp16_overflow 0
		.amdhsa_memory_ordered 1
		.amdhsa_forward_progress 1
		.amdhsa_inst_pref_size 0
		.amdhsa_round_robin_scheduling 0
		.amdhsa_exception_fp_ieee_invalid_op 0
		.amdhsa_exception_fp_denorm_src 0
		.amdhsa_exception_fp_ieee_div_zero 0
		.amdhsa_exception_fp_ieee_overflow 0
		.amdhsa_exception_fp_ieee_underflow 0
		.amdhsa_exception_fp_ieee_inexact 0
		.amdhsa_exception_int_div_zero 0
	.end_amdhsa_kernel
	.section	.text._ZN7rocprim17ROCPRIM_400000_NS6detail17trampoline_kernelINS0_14default_configENS1_25transform_config_selectorIjLb0EEEZNS1_14transform_implILb0ES3_S5_PjN6thrust23THRUST_200600_302600_NS6detail15normal_iteratorINS9_10device_ptrIjEEEENS0_8identityIjEEEE10hipError_tT2_T3_mT4_P12ihipStream_tbEUlT_E_NS1_11comp_targetILNS1_3genE10ELNS1_11target_archE1201ELNS1_3gpuE5ELNS1_3repE0EEENS1_30default_config_static_selectorELNS0_4arch9wavefront6targetE0EEEvT1_,"axG",@progbits,_ZN7rocprim17ROCPRIM_400000_NS6detail17trampoline_kernelINS0_14default_configENS1_25transform_config_selectorIjLb0EEEZNS1_14transform_implILb0ES3_S5_PjN6thrust23THRUST_200600_302600_NS6detail15normal_iteratorINS9_10device_ptrIjEEEENS0_8identityIjEEEE10hipError_tT2_T3_mT4_P12ihipStream_tbEUlT_E_NS1_11comp_targetILNS1_3genE10ELNS1_11target_archE1201ELNS1_3gpuE5ELNS1_3repE0EEENS1_30default_config_static_selectorELNS0_4arch9wavefront6targetE0EEEvT1_,comdat
.Lfunc_end78:
	.size	_ZN7rocprim17ROCPRIM_400000_NS6detail17trampoline_kernelINS0_14default_configENS1_25transform_config_selectorIjLb0EEEZNS1_14transform_implILb0ES3_S5_PjN6thrust23THRUST_200600_302600_NS6detail15normal_iteratorINS9_10device_ptrIjEEEENS0_8identityIjEEEE10hipError_tT2_T3_mT4_P12ihipStream_tbEUlT_E_NS1_11comp_targetILNS1_3genE10ELNS1_11target_archE1201ELNS1_3gpuE5ELNS1_3repE0EEENS1_30default_config_static_selectorELNS0_4arch9wavefront6targetE0EEEvT1_, .Lfunc_end78-_ZN7rocprim17ROCPRIM_400000_NS6detail17trampoline_kernelINS0_14default_configENS1_25transform_config_selectorIjLb0EEEZNS1_14transform_implILb0ES3_S5_PjN6thrust23THRUST_200600_302600_NS6detail15normal_iteratorINS9_10device_ptrIjEEEENS0_8identityIjEEEE10hipError_tT2_T3_mT4_P12ihipStream_tbEUlT_E_NS1_11comp_targetILNS1_3genE10ELNS1_11target_archE1201ELNS1_3gpuE5ELNS1_3repE0EEENS1_30default_config_static_selectorELNS0_4arch9wavefront6targetE0EEEvT1_
                                        ; -- End function
	.set _ZN7rocprim17ROCPRIM_400000_NS6detail17trampoline_kernelINS0_14default_configENS1_25transform_config_selectorIjLb0EEEZNS1_14transform_implILb0ES3_S5_PjN6thrust23THRUST_200600_302600_NS6detail15normal_iteratorINS9_10device_ptrIjEEEENS0_8identityIjEEEE10hipError_tT2_T3_mT4_P12ihipStream_tbEUlT_E_NS1_11comp_targetILNS1_3genE10ELNS1_11target_archE1201ELNS1_3gpuE5ELNS1_3repE0EEENS1_30default_config_static_selectorELNS0_4arch9wavefront6targetE0EEEvT1_.num_vgpr, 0
	.set _ZN7rocprim17ROCPRIM_400000_NS6detail17trampoline_kernelINS0_14default_configENS1_25transform_config_selectorIjLb0EEEZNS1_14transform_implILb0ES3_S5_PjN6thrust23THRUST_200600_302600_NS6detail15normal_iteratorINS9_10device_ptrIjEEEENS0_8identityIjEEEE10hipError_tT2_T3_mT4_P12ihipStream_tbEUlT_E_NS1_11comp_targetILNS1_3genE10ELNS1_11target_archE1201ELNS1_3gpuE5ELNS1_3repE0EEENS1_30default_config_static_selectorELNS0_4arch9wavefront6targetE0EEEvT1_.num_agpr, 0
	.set _ZN7rocprim17ROCPRIM_400000_NS6detail17trampoline_kernelINS0_14default_configENS1_25transform_config_selectorIjLb0EEEZNS1_14transform_implILb0ES3_S5_PjN6thrust23THRUST_200600_302600_NS6detail15normal_iteratorINS9_10device_ptrIjEEEENS0_8identityIjEEEE10hipError_tT2_T3_mT4_P12ihipStream_tbEUlT_E_NS1_11comp_targetILNS1_3genE10ELNS1_11target_archE1201ELNS1_3gpuE5ELNS1_3repE0EEENS1_30default_config_static_selectorELNS0_4arch9wavefront6targetE0EEEvT1_.numbered_sgpr, 0
	.set _ZN7rocprim17ROCPRIM_400000_NS6detail17trampoline_kernelINS0_14default_configENS1_25transform_config_selectorIjLb0EEEZNS1_14transform_implILb0ES3_S5_PjN6thrust23THRUST_200600_302600_NS6detail15normal_iteratorINS9_10device_ptrIjEEEENS0_8identityIjEEEE10hipError_tT2_T3_mT4_P12ihipStream_tbEUlT_E_NS1_11comp_targetILNS1_3genE10ELNS1_11target_archE1201ELNS1_3gpuE5ELNS1_3repE0EEENS1_30default_config_static_selectorELNS0_4arch9wavefront6targetE0EEEvT1_.num_named_barrier, 0
	.set _ZN7rocprim17ROCPRIM_400000_NS6detail17trampoline_kernelINS0_14default_configENS1_25transform_config_selectorIjLb0EEEZNS1_14transform_implILb0ES3_S5_PjN6thrust23THRUST_200600_302600_NS6detail15normal_iteratorINS9_10device_ptrIjEEEENS0_8identityIjEEEE10hipError_tT2_T3_mT4_P12ihipStream_tbEUlT_E_NS1_11comp_targetILNS1_3genE10ELNS1_11target_archE1201ELNS1_3gpuE5ELNS1_3repE0EEENS1_30default_config_static_selectorELNS0_4arch9wavefront6targetE0EEEvT1_.private_seg_size, 0
	.set _ZN7rocprim17ROCPRIM_400000_NS6detail17trampoline_kernelINS0_14default_configENS1_25transform_config_selectorIjLb0EEEZNS1_14transform_implILb0ES3_S5_PjN6thrust23THRUST_200600_302600_NS6detail15normal_iteratorINS9_10device_ptrIjEEEENS0_8identityIjEEEE10hipError_tT2_T3_mT4_P12ihipStream_tbEUlT_E_NS1_11comp_targetILNS1_3genE10ELNS1_11target_archE1201ELNS1_3gpuE5ELNS1_3repE0EEENS1_30default_config_static_selectorELNS0_4arch9wavefront6targetE0EEEvT1_.uses_vcc, 0
	.set _ZN7rocprim17ROCPRIM_400000_NS6detail17trampoline_kernelINS0_14default_configENS1_25transform_config_selectorIjLb0EEEZNS1_14transform_implILb0ES3_S5_PjN6thrust23THRUST_200600_302600_NS6detail15normal_iteratorINS9_10device_ptrIjEEEENS0_8identityIjEEEE10hipError_tT2_T3_mT4_P12ihipStream_tbEUlT_E_NS1_11comp_targetILNS1_3genE10ELNS1_11target_archE1201ELNS1_3gpuE5ELNS1_3repE0EEENS1_30default_config_static_selectorELNS0_4arch9wavefront6targetE0EEEvT1_.uses_flat_scratch, 0
	.set _ZN7rocprim17ROCPRIM_400000_NS6detail17trampoline_kernelINS0_14default_configENS1_25transform_config_selectorIjLb0EEEZNS1_14transform_implILb0ES3_S5_PjN6thrust23THRUST_200600_302600_NS6detail15normal_iteratorINS9_10device_ptrIjEEEENS0_8identityIjEEEE10hipError_tT2_T3_mT4_P12ihipStream_tbEUlT_E_NS1_11comp_targetILNS1_3genE10ELNS1_11target_archE1201ELNS1_3gpuE5ELNS1_3repE0EEENS1_30default_config_static_selectorELNS0_4arch9wavefront6targetE0EEEvT1_.has_dyn_sized_stack, 0
	.set _ZN7rocprim17ROCPRIM_400000_NS6detail17trampoline_kernelINS0_14default_configENS1_25transform_config_selectorIjLb0EEEZNS1_14transform_implILb0ES3_S5_PjN6thrust23THRUST_200600_302600_NS6detail15normal_iteratorINS9_10device_ptrIjEEEENS0_8identityIjEEEE10hipError_tT2_T3_mT4_P12ihipStream_tbEUlT_E_NS1_11comp_targetILNS1_3genE10ELNS1_11target_archE1201ELNS1_3gpuE5ELNS1_3repE0EEENS1_30default_config_static_selectorELNS0_4arch9wavefront6targetE0EEEvT1_.has_recursion, 0
	.set _ZN7rocprim17ROCPRIM_400000_NS6detail17trampoline_kernelINS0_14default_configENS1_25transform_config_selectorIjLb0EEEZNS1_14transform_implILb0ES3_S5_PjN6thrust23THRUST_200600_302600_NS6detail15normal_iteratorINS9_10device_ptrIjEEEENS0_8identityIjEEEE10hipError_tT2_T3_mT4_P12ihipStream_tbEUlT_E_NS1_11comp_targetILNS1_3genE10ELNS1_11target_archE1201ELNS1_3gpuE5ELNS1_3repE0EEENS1_30default_config_static_selectorELNS0_4arch9wavefront6targetE0EEEvT1_.has_indirect_call, 0
	.section	.AMDGPU.csdata,"",@progbits
; Kernel info:
; codeLenInByte = 0
; TotalNumSgprs: 0
; NumVgprs: 0
; ScratchSize: 0
; MemoryBound: 0
; FloatMode: 240
; IeeeMode: 1
; LDSByteSize: 0 bytes/workgroup (compile time only)
; SGPRBlocks: 0
; VGPRBlocks: 0
; NumSGPRsForWavesPerEU: 1
; NumVGPRsForWavesPerEU: 1
; NamedBarCnt: 0
; Occupancy: 16
; WaveLimiterHint : 0
; COMPUTE_PGM_RSRC2:SCRATCH_EN: 0
; COMPUTE_PGM_RSRC2:USER_SGPR: 2
; COMPUTE_PGM_RSRC2:TRAP_HANDLER: 0
; COMPUTE_PGM_RSRC2:TGID_X_EN: 1
; COMPUTE_PGM_RSRC2:TGID_Y_EN: 0
; COMPUTE_PGM_RSRC2:TGID_Z_EN: 0
; COMPUTE_PGM_RSRC2:TIDIG_COMP_CNT: 0
	.section	.text._ZN7rocprim17ROCPRIM_400000_NS6detail17trampoline_kernelINS0_14default_configENS1_25transform_config_selectorIjLb0EEEZNS1_14transform_implILb0ES3_S5_PjN6thrust23THRUST_200600_302600_NS6detail15normal_iteratorINS9_10device_ptrIjEEEENS0_8identityIjEEEE10hipError_tT2_T3_mT4_P12ihipStream_tbEUlT_E_NS1_11comp_targetILNS1_3genE10ELNS1_11target_archE1200ELNS1_3gpuE4ELNS1_3repE0EEENS1_30default_config_static_selectorELNS0_4arch9wavefront6targetE0EEEvT1_,"axG",@progbits,_ZN7rocprim17ROCPRIM_400000_NS6detail17trampoline_kernelINS0_14default_configENS1_25transform_config_selectorIjLb0EEEZNS1_14transform_implILb0ES3_S5_PjN6thrust23THRUST_200600_302600_NS6detail15normal_iteratorINS9_10device_ptrIjEEEENS0_8identityIjEEEE10hipError_tT2_T3_mT4_P12ihipStream_tbEUlT_E_NS1_11comp_targetILNS1_3genE10ELNS1_11target_archE1200ELNS1_3gpuE4ELNS1_3repE0EEENS1_30default_config_static_selectorELNS0_4arch9wavefront6targetE0EEEvT1_,comdat
	.protected	_ZN7rocprim17ROCPRIM_400000_NS6detail17trampoline_kernelINS0_14default_configENS1_25transform_config_selectorIjLb0EEEZNS1_14transform_implILb0ES3_S5_PjN6thrust23THRUST_200600_302600_NS6detail15normal_iteratorINS9_10device_ptrIjEEEENS0_8identityIjEEEE10hipError_tT2_T3_mT4_P12ihipStream_tbEUlT_E_NS1_11comp_targetILNS1_3genE10ELNS1_11target_archE1200ELNS1_3gpuE4ELNS1_3repE0EEENS1_30default_config_static_selectorELNS0_4arch9wavefront6targetE0EEEvT1_ ; -- Begin function _ZN7rocprim17ROCPRIM_400000_NS6detail17trampoline_kernelINS0_14default_configENS1_25transform_config_selectorIjLb0EEEZNS1_14transform_implILb0ES3_S5_PjN6thrust23THRUST_200600_302600_NS6detail15normal_iteratorINS9_10device_ptrIjEEEENS0_8identityIjEEEE10hipError_tT2_T3_mT4_P12ihipStream_tbEUlT_E_NS1_11comp_targetILNS1_3genE10ELNS1_11target_archE1200ELNS1_3gpuE4ELNS1_3repE0EEENS1_30default_config_static_selectorELNS0_4arch9wavefront6targetE0EEEvT1_
	.globl	_ZN7rocprim17ROCPRIM_400000_NS6detail17trampoline_kernelINS0_14default_configENS1_25transform_config_selectorIjLb0EEEZNS1_14transform_implILb0ES3_S5_PjN6thrust23THRUST_200600_302600_NS6detail15normal_iteratorINS9_10device_ptrIjEEEENS0_8identityIjEEEE10hipError_tT2_T3_mT4_P12ihipStream_tbEUlT_E_NS1_11comp_targetILNS1_3genE10ELNS1_11target_archE1200ELNS1_3gpuE4ELNS1_3repE0EEENS1_30default_config_static_selectorELNS0_4arch9wavefront6targetE0EEEvT1_
	.p2align	8
	.type	_ZN7rocprim17ROCPRIM_400000_NS6detail17trampoline_kernelINS0_14default_configENS1_25transform_config_selectorIjLb0EEEZNS1_14transform_implILb0ES3_S5_PjN6thrust23THRUST_200600_302600_NS6detail15normal_iteratorINS9_10device_ptrIjEEEENS0_8identityIjEEEE10hipError_tT2_T3_mT4_P12ihipStream_tbEUlT_E_NS1_11comp_targetILNS1_3genE10ELNS1_11target_archE1200ELNS1_3gpuE4ELNS1_3repE0EEENS1_30default_config_static_selectorELNS0_4arch9wavefront6targetE0EEEvT1_,@function
_ZN7rocprim17ROCPRIM_400000_NS6detail17trampoline_kernelINS0_14default_configENS1_25transform_config_selectorIjLb0EEEZNS1_14transform_implILb0ES3_S5_PjN6thrust23THRUST_200600_302600_NS6detail15normal_iteratorINS9_10device_ptrIjEEEENS0_8identityIjEEEE10hipError_tT2_T3_mT4_P12ihipStream_tbEUlT_E_NS1_11comp_targetILNS1_3genE10ELNS1_11target_archE1200ELNS1_3gpuE4ELNS1_3repE0EEENS1_30default_config_static_selectorELNS0_4arch9wavefront6targetE0EEEvT1_: ; @_ZN7rocprim17ROCPRIM_400000_NS6detail17trampoline_kernelINS0_14default_configENS1_25transform_config_selectorIjLb0EEEZNS1_14transform_implILb0ES3_S5_PjN6thrust23THRUST_200600_302600_NS6detail15normal_iteratorINS9_10device_ptrIjEEEENS0_8identityIjEEEE10hipError_tT2_T3_mT4_P12ihipStream_tbEUlT_E_NS1_11comp_targetILNS1_3genE10ELNS1_11target_archE1200ELNS1_3gpuE4ELNS1_3repE0EEENS1_30default_config_static_selectorELNS0_4arch9wavefront6targetE0EEEvT1_
; %bb.0:
	.section	.rodata,"a",@progbits
	.p2align	6, 0x0
	.amdhsa_kernel _ZN7rocprim17ROCPRIM_400000_NS6detail17trampoline_kernelINS0_14default_configENS1_25transform_config_selectorIjLb0EEEZNS1_14transform_implILb0ES3_S5_PjN6thrust23THRUST_200600_302600_NS6detail15normal_iteratorINS9_10device_ptrIjEEEENS0_8identityIjEEEE10hipError_tT2_T3_mT4_P12ihipStream_tbEUlT_E_NS1_11comp_targetILNS1_3genE10ELNS1_11target_archE1200ELNS1_3gpuE4ELNS1_3repE0EEENS1_30default_config_static_selectorELNS0_4arch9wavefront6targetE0EEEvT1_
		.amdhsa_group_segment_fixed_size 0
		.amdhsa_private_segment_fixed_size 0
		.amdhsa_kernarg_size 40
		.amdhsa_user_sgpr_count 2
		.amdhsa_user_sgpr_dispatch_ptr 0
		.amdhsa_user_sgpr_queue_ptr 0
		.amdhsa_user_sgpr_kernarg_segment_ptr 1
		.amdhsa_user_sgpr_dispatch_id 0
		.amdhsa_user_sgpr_kernarg_preload_length 0
		.amdhsa_user_sgpr_kernarg_preload_offset 0
		.amdhsa_user_sgpr_private_segment_size 0
		.amdhsa_wavefront_size32 1
		.amdhsa_uses_dynamic_stack 0
		.amdhsa_enable_private_segment 0
		.amdhsa_system_sgpr_workgroup_id_x 1
		.amdhsa_system_sgpr_workgroup_id_y 0
		.amdhsa_system_sgpr_workgroup_id_z 0
		.amdhsa_system_sgpr_workgroup_info 0
		.amdhsa_system_vgpr_workitem_id 0
		.amdhsa_next_free_vgpr 1
		.amdhsa_next_free_sgpr 1
		.amdhsa_named_barrier_count 0
		.amdhsa_reserve_vcc 0
		.amdhsa_float_round_mode_32 0
		.amdhsa_float_round_mode_16_64 0
		.amdhsa_float_denorm_mode_32 3
		.amdhsa_float_denorm_mode_16_64 3
		.amdhsa_fp16_overflow 0
		.amdhsa_memory_ordered 1
		.amdhsa_forward_progress 1
		.amdhsa_inst_pref_size 0
		.amdhsa_round_robin_scheduling 0
		.amdhsa_exception_fp_ieee_invalid_op 0
		.amdhsa_exception_fp_denorm_src 0
		.amdhsa_exception_fp_ieee_div_zero 0
		.amdhsa_exception_fp_ieee_overflow 0
		.amdhsa_exception_fp_ieee_underflow 0
		.amdhsa_exception_fp_ieee_inexact 0
		.amdhsa_exception_int_div_zero 0
	.end_amdhsa_kernel
	.section	.text._ZN7rocprim17ROCPRIM_400000_NS6detail17trampoline_kernelINS0_14default_configENS1_25transform_config_selectorIjLb0EEEZNS1_14transform_implILb0ES3_S5_PjN6thrust23THRUST_200600_302600_NS6detail15normal_iteratorINS9_10device_ptrIjEEEENS0_8identityIjEEEE10hipError_tT2_T3_mT4_P12ihipStream_tbEUlT_E_NS1_11comp_targetILNS1_3genE10ELNS1_11target_archE1200ELNS1_3gpuE4ELNS1_3repE0EEENS1_30default_config_static_selectorELNS0_4arch9wavefront6targetE0EEEvT1_,"axG",@progbits,_ZN7rocprim17ROCPRIM_400000_NS6detail17trampoline_kernelINS0_14default_configENS1_25transform_config_selectorIjLb0EEEZNS1_14transform_implILb0ES3_S5_PjN6thrust23THRUST_200600_302600_NS6detail15normal_iteratorINS9_10device_ptrIjEEEENS0_8identityIjEEEE10hipError_tT2_T3_mT4_P12ihipStream_tbEUlT_E_NS1_11comp_targetILNS1_3genE10ELNS1_11target_archE1200ELNS1_3gpuE4ELNS1_3repE0EEENS1_30default_config_static_selectorELNS0_4arch9wavefront6targetE0EEEvT1_,comdat
.Lfunc_end79:
	.size	_ZN7rocprim17ROCPRIM_400000_NS6detail17trampoline_kernelINS0_14default_configENS1_25transform_config_selectorIjLb0EEEZNS1_14transform_implILb0ES3_S5_PjN6thrust23THRUST_200600_302600_NS6detail15normal_iteratorINS9_10device_ptrIjEEEENS0_8identityIjEEEE10hipError_tT2_T3_mT4_P12ihipStream_tbEUlT_E_NS1_11comp_targetILNS1_3genE10ELNS1_11target_archE1200ELNS1_3gpuE4ELNS1_3repE0EEENS1_30default_config_static_selectorELNS0_4arch9wavefront6targetE0EEEvT1_, .Lfunc_end79-_ZN7rocprim17ROCPRIM_400000_NS6detail17trampoline_kernelINS0_14default_configENS1_25transform_config_selectorIjLb0EEEZNS1_14transform_implILb0ES3_S5_PjN6thrust23THRUST_200600_302600_NS6detail15normal_iteratorINS9_10device_ptrIjEEEENS0_8identityIjEEEE10hipError_tT2_T3_mT4_P12ihipStream_tbEUlT_E_NS1_11comp_targetILNS1_3genE10ELNS1_11target_archE1200ELNS1_3gpuE4ELNS1_3repE0EEENS1_30default_config_static_selectorELNS0_4arch9wavefront6targetE0EEEvT1_
                                        ; -- End function
	.set _ZN7rocprim17ROCPRIM_400000_NS6detail17trampoline_kernelINS0_14default_configENS1_25transform_config_selectorIjLb0EEEZNS1_14transform_implILb0ES3_S5_PjN6thrust23THRUST_200600_302600_NS6detail15normal_iteratorINS9_10device_ptrIjEEEENS0_8identityIjEEEE10hipError_tT2_T3_mT4_P12ihipStream_tbEUlT_E_NS1_11comp_targetILNS1_3genE10ELNS1_11target_archE1200ELNS1_3gpuE4ELNS1_3repE0EEENS1_30default_config_static_selectorELNS0_4arch9wavefront6targetE0EEEvT1_.num_vgpr, 0
	.set _ZN7rocprim17ROCPRIM_400000_NS6detail17trampoline_kernelINS0_14default_configENS1_25transform_config_selectorIjLb0EEEZNS1_14transform_implILb0ES3_S5_PjN6thrust23THRUST_200600_302600_NS6detail15normal_iteratorINS9_10device_ptrIjEEEENS0_8identityIjEEEE10hipError_tT2_T3_mT4_P12ihipStream_tbEUlT_E_NS1_11comp_targetILNS1_3genE10ELNS1_11target_archE1200ELNS1_3gpuE4ELNS1_3repE0EEENS1_30default_config_static_selectorELNS0_4arch9wavefront6targetE0EEEvT1_.num_agpr, 0
	.set _ZN7rocprim17ROCPRIM_400000_NS6detail17trampoline_kernelINS0_14default_configENS1_25transform_config_selectorIjLb0EEEZNS1_14transform_implILb0ES3_S5_PjN6thrust23THRUST_200600_302600_NS6detail15normal_iteratorINS9_10device_ptrIjEEEENS0_8identityIjEEEE10hipError_tT2_T3_mT4_P12ihipStream_tbEUlT_E_NS1_11comp_targetILNS1_3genE10ELNS1_11target_archE1200ELNS1_3gpuE4ELNS1_3repE0EEENS1_30default_config_static_selectorELNS0_4arch9wavefront6targetE0EEEvT1_.numbered_sgpr, 0
	.set _ZN7rocprim17ROCPRIM_400000_NS6detail17trampoline_kernelINS0_14default_configENS1_25transform_config_selectorIjLb0EEEZNS1_14transform_implILb0ES3_S5_PjN6thrust23THRUST_200600_302600_NS6detail15normal_iteratorINS9_10device_ptrIjEEEENS0_8identityIjEEEE10hipError_tT2_T3_mT4_P12ihipStream_tbEUlT_E_NS1_11comp_targetILNS1_3genE10ELNS1_11target_archE1200ELNS1_3gpuE4ELNS1_3repE0EEENS1_30default_config_static_selectorELNS0_4arch9wavefront6targetE0EEEvT1_.num_named_barrier, 0
	.set _ZN7rocprim17ROCPRIM_400000_NS6detail17trampoline_kernelINS0_14default_configENS1_25transform_config_selectorIjLb0EEEZNS1_14transform_implILb0ES3_S5_PjN6thrust23THRUST_200600_302600_NS6detail15normal_iteratorINS9_10device_ptrIjEEEENS0_8identityIjEEEE10hipError_tT2_T3_mT4_P12ihipStream_tbEUlT_E_NS1_11comp_targetILNS1_3genE10ELNS1_11target_archE1200ELNS1_3gpuE4ELNS1_3repE0EEENS1_30default_config_static_selectorELNS0_4arch9wavefront6targetE0EEEvT1_.private_seg_size, 0
	.set _ZN7rocprim17ROCPRIM_400000_NS6detail17trampoline_kernelINS0_14default_configENS1_25transform_config_selectorIjLb0EEEZNS1_14transform_implILb0ES3_S5_PjN6thrust23THRUST_200600_302600_NS6detail15normal_iteratorINS9_10device_ptrIjEEEENS0_8identityIjEEEE10hipError_tT2_T3_mT4_P12ihipStream_tbEUlT_E_NS1_11comp_targetILNS1_3genE10ELNS1_11target_archE1200ELNS1_3gpuE4ELNS1_3repE0EEENS1_30default_config_static_selectorELNS0_4arch9wavefront6targetE0EEEvT1_.uses_vcc, 0
	.set _ZN7rocprim17ROCPRIM_400000_NS6detail17trampoline_kernelINS0_14default_configENS1_25transform_config_selectorIjLb0EEEZNS1_14transform_implILb0ES3_S5_PjN6thrust23THRUST_200600_302600_NS6detail15normal_iteratorINS9_10device_ptrIjEEEENS0_8identityIjEEEE10hipError_tT2_T3_mT4_P12ihipStream_tbEUlT_E_NS1_11comp_targetILNS1_3genE10ELNS1_11target_archE1200ELNS1_3gpuE4ELNS1_3repE0EEENS1_30default_config_static_selectorELNS0_4arch9wavefront6targetE0EEEvT1_.uses_flat_scratch, 0
	.set _ZN7rocprim17ROCPRIM_400000_NS6detail17trampoline_kernelINS0_14default_configENS1_25transform_config_selectorIjLb0EEEZNS1_14transform_implILb0ES3_S5_PjN6thrust23THRUST_200600_302600_NS6detail15normal_iteratorINS9_10device_ptrIjEEEENS0_8identityIjEEEE10hipError_tT2_T3_mT4_P12ihipStream_tbEUlT_E_NS1_11comp_targetILNS1_3genE10ELNS1_11target_archE1200ELNS1_3gpuE4ELNS1_3repE0EEENS1_30default_config_static_selectorELNS0_4arch9wavefront6targetE0EEEvT1_.has_dyn_sized_stack, 0
	.set _ZN7rocprim17ROCPRIM_400000_NS6detail17trampoline_kernelINS0_14default_configENS1_25transform_config_selectorIjLb0EEEZNS1_14transform_implILb0ES3_S5_PjN6thrust23THRUST_200600_302600_NS6detail15normal_iteratorINS9_10device_ptrIjEEEENS0_8identityIjEEEE10hipError_tT2_T3_mT4_P12ihipStream_tbEUlT_E_NS1_11comp_targetILNS1_3genE10ELNS1_11target_archE1200ELNS1_3gpuE4ELNS1_3repE0EEENS1_30default_config_static_selectorELNS0_4arch9wavefront6targetE0EEEvT1_.has_recursion, 0
	.set _ZN7rocprim17ROCPRIM_400000_NS6detail17trampoline_kernelINS0_14default_configENS1_25transform_config_selectorIjLb0EEEZNS1_14transform_implILb0ES3_S5_PjN6thrust23THRUST_200600_302600_NS6detail15normal_iteratorINS9_10device_ptrIjEEEENS0_8identityIjEEEE10hipError_tT2_T3_mT4_P12ihipStream_tbEUlT_E_NS1_11comp_targetILNS1_3genE10ELNS1_11target_archE1200ELNS1_3gpuE4ELNS1_3repE0EEENS1_30default_config_static_selectorELNS0_4arch9wavefront6targetE0EEEvT1_.has_indirect_call, 0
	.section	.AMDGPU.csdata,"",@progbits
; Kernel info:
; codeLenInByte = 0
; TotalNumSgprs: 0
; NumVgprs: 0
; ScratchSize: 0
; MemoryBound: 0
; FloatMode: 240
; IeeeMode: 1
; LDSByteSize: 0 bytes/workgroup (compile time only)
; SGPRBlocks: 0
; VGPRBlocks: 0
; NumSGPRsForWavesPerEU: 1
; NumVGPRsForWavesPerEU: 1
; NamedBarCnt: 0
; Occupancy: 16
; WaveLimiterHint : 0
; COMPUTE_PGM_RSRC2:SCRATCH_EN: 0
; COMPUTE_PGM_RSRC2:USER_SGPR: 2
; COMPUTE_PGM_RSRC2:TRAP_HANDLER: 0
; COMPUTE_PGM_RSRC2:TGID_X_EN: 1
; COMPUTE_PGM_RSRC2:TGID_Y_EN: 0
; COMPUTE_PGM_RSRC2:TGID_Z_EN: 0
; COMPUTE_PGM_RSRC2:TIDIG_COMP_CNT: 0
	.section	.text._ZN7rocprim17ROCPRIM_400000_NS6detail17trampoline_kernelINS0_14default_configENS1_25transform_config_selectorIjLb0EEEZNS1_14transform_implILb0ES3_S5_PjN6thrust23THRUST_200600_302600_NS6detail15normal_iteratorINS9_10device_ptrIjEEEENS0_8identityIjEEEE10hipError_tT2_T3_mT4_P12ihipStream_tbEUlT_E_NS1_11comp_targetILNS1_3genE9ELNS1_11target_archE1100ELNS1_3gpuE3ELNS1_3repE0EEENS1_30default_config_static_selectorELNS0_4arch9wavefront6targetE0EEEvT1_,"axG",@progbits,_ZN7rocprim17ROCPRIM_400000_NS6detail17trampoline_kernelINS0_14default_configENS1_25transform_config_selectorIjLb0EEEZNS1_14transform_implILb0ES3_S5_PjN6thrust23THRUST_200600_302600_NS6detail15normal_iteratorINS9_10device_ptrIjEEEENS0_8identityIjEEEE10hipError_tT2_T3_mT4_P12ihipStream_tbEUlT_E_NS1_11comp_targetILNS1_3genE9ELNS1_11target_archE1100ELNS1_3gpuE3ELNS1_3repE0EEENS1_30default_config_static_selectorELNS0_4arch9wavefront6targetE0EEEvT1_,comdat
	.protected	_ZN7rocprim17ROCPRIM_400000_NS6detail17trampoline_kernelINS0_14default_configENS1_25transform_config_selectorIjLb0EEEZNS1_14transform_implILb0ES3_S5_PjN6thrust23THRUST_200600_302600_NS6detail15normal_iteratorINS9_10device_ptrIjEEEENS0_8identityIjEEEE10hipError_tT2_T3_mT4_P12ihipStream_tbEUlT_E_NS1_11comp_targetILNS1_3genE9ELNS1_11target_archE1100ELNS1_3gpuE3ELNS1_3repE0EEENS1_30default_config_static_selectorELNS0_4arch9wavefront6targetE0EEEvT1_ ; -- Begin function _ZN7rocprim17ROCPRIM_400000_NS6detail17trampoline_kernelINS0_14default_configENS1_25transform_config_selectorIjLb0EEEZNS1_14transform_implILb0ES3_S5_PjN6thrust23THRUST_200600_302600_NS6detail15normal_iteratorINS9_10device_ptrIjEEEENS0_8identityIjEEEE10hipError_tT2_T3_mT4_P12ihipStream_tbEUlT_E_NS1_11comp_targetILNS1_3genE9ELNS1_11target_archE1100ELNS1_3gpuE3ELNS1_3repE0EEENS1_30default_config_static_selectorELNS0_4arch9wavefront6targetE0EEEvT1_
	.globl	_ZN7rocprim17ROCPRIM_400000_NS6detail17trampoline_kernelINS0_14default_configENS1_25transform_config_selectorIjLb0EEEZNS1_14transform_implILb0ES3_S5_PjN6thrust23THRUST_200600_302600_NS6detail15normal_iteratorINS9_10device_ptrIjEEEENS0_8identityIjEEEE10hipError_tT2_T3_mT4_P12ihipStream_tbEUlT_E_NS1_11comp_targetILNS1_3genE9ELNS1_11target_archE1100ELNS1_3gpuE3ELNS1_3repE0EEENS1_30default_config_static_selectorELNS0_4arch9wavefront6targetE0EEEvT1_
	.p2align	8
	.type	_ZN7rocprim17ROCPRIM_400000_NS6detail17trampoline_kernelINS0_14default_configENS1_25transform_config_selectorIjLb0EEEZNS1_14transform_implILb0ES3_S5_PjN6thrust23THRUST_200600_302600_NS6detail15normal_iteratorINS9_10device_ptrIjEEEENS0_8identityIjEEEE10hipError_tT2_T3_mT4_P12ihipStream_tbEUlT_E_NS1_11comp_targetILNS1_3genE9ELNS1_11target_archE1100ELNS1_3gpuE3ELNS1_3repE0EEENS1_30default_config_static_selectorELNS0_4arch9wavefront6targetE0EEEvT1_,@function
_ZN7rocprim17ROCPRIM_400000_NS6detail17trampoline_kernelINS0_14default_configENS1_25transform_config_selectorIjLb0EEEZNS1_14transform_implILb0ES3_S5_PjN6thrust23THRUST_200600_302600_NS6detail15normal_iteratorINS9_10device_ptrIjEEEENS0_8identityIjEEEE10hipError_tT2_T3_mT4_P12ihipStream_tbEUlT_E_NS1_11comp_targetILNS1_3genE9ELNS1_11target_archE1100ELNS1_3gpuE3ELNS1_3repE0EEENS1_30default_config_static_selectorELNS0_4arch9wavefront6targetE0EEEvT1_: ; @_ZN7rocprim17ROCPRIM_400000_NS6detail17trampoline_kernelINS0_14default_configENS1_25transform_config_selectorIjLb0EEEZNS1_14transform_implILb0ES3_S5_PjN6thrust23THRUST_200600_302600_NS6detail15normal_iteratorINS9_10device_ptrIjEEEENS0_8identityIjEEEE10hipError_tT2_T3_mT4_P12ihipStream_tbEUlT_E_NS1_11comp_targetILNS1_3genE9ELNS1_11target_archE1100ELNS1_3gpuE3ELNS1_3repE0EEENS1_30default_config_static_selectorELNS0_4arch9wavefront6targetE0EEEvT1_
; %bb.0:
	.section	.rodata,"a",@progbits
	.p2align	6, 0x0
	.amdhsa_kernel _ZN7rocprim17ROCPRIM_400000_NS6detail17trampoline_kernelINS0_14default_configENS1_25transform_config_selectorIjLb0EEEZNS1_14transform_implILb0ES3_S5_PjN6thrust23THRUST_200600_302600_NS6detail15normal_iteratorINS9_10device_ptrIjEEEENS0_8identityIjEEEE10hipError_tT2_T3_mT4_P12ihipStream_tbEUlT_E_NS1_11comp_targetILNS1_3genE9ELNS1_11target_archE1100ELNS1_3gpuE3ELNS1_3repE0EEENS1_30default_config_static_selectorELNS0_4arch9wavefront6targetE0EEEvT1_
		.amdhsa_group_segment_fixed_size 0
		.amdhsa_private_segment_fixed_size 0
		.amdhsa_kernarg_size 40
		.amdhsa_user_sgpr_count 2
		.amdhsa_user_sgpr_dispatch_ptr 0
		.amdhsa_user_sgpr_queue_ptr 0
		.amdhsa_user_sgpr_kernarg_segment_ptr 1
		.amdhsa_user_sgpr_dispatch_id 0
		.amdhsa_user_sgpr_kernarg_preload_length 0
		.amdhsa_user_sgpr_kernarg_preload_offset 0
		.amdhsa_user_sgpr_private_segment_size 0
		.amdhsa_wavefront_size32 1
		.amdhsa_uses_dynamic_stack 0
		.amdhsa_enable_private_segment 0
		.amdhsa_system_sgpr_workgroup_id_x 1
		.amdhsa_system_sgpr_workgroup_id_y 0
		.amdhsa_system_sgpr_workgroup_id_z 0
		.amdhsa_system_sgpr_workgroup_info 0
		.amdhsa_system_vgpr_workitem_id 0
		.amdhsa_next_free_vgpr 1
		.amdhsa_next_free_sgpr 1
		.amdhsa_named_barrier_count 0
		.amdhsa_reserve_vcc 0
		.amdhsa_float_round_mode_32 0
		.amdhsa_float_round_mode_16_64 0
		.amdhsa_float_denorm_mode_32 3
		.amdhsa_float_denorm_mode_16_64 3
		.amdhsa_fp16_overflow 0
		.amdhsa_memory_ordered 1
		.amdhsa_forward_progress 1
		.amdhsa_inst_pref_size 0
		.amdhsa_round_robin_scheduling 0
		.amdhsa_exception_fp_ieee_invalid_op 0
		.amdhsa_exception_fp_denorm_src 0
		.amdhsa_exception_fp_ieee_div_zero 0
		.amdhsa_exception_fp_ieee_overflow 0
		.amdhsa_exception_fp_ieee_underflow 0
		.amdhsa_exception_fp_ieee_inexact 0
		.amdhsa_exception_int_div_zero 0
	.end_amdhsa_kernel
	.section	.text._ZN7rocprim17ROCPRIM_400000_NS6detail17trampoline_kernelINS0_14default_configENS1_25transform_config_selectorIjLb0EEEZNS1_14transform_implILb0ES3_S5_PjN6thrust23THRUST_200600_302600_NS6detail15normal_iteratorINS9_10device_ptrIjEEEENS0_8identityIjEEEE10hipError_tT2_T3_mT4_P12ihipStream_tbEUlT_E_NS1_11comp_targetILNS1_3genE9ELNS1_11target_archE1100ELNS1_3gpuE3ELNS1_3repE0EEENS1_30default_config_static_selectorELNS0_4arch9wavefront6targetE0EEEvT1_,"axG",@progbits,_ZN7rocprim17ROCPRIM_400000_NS6detail17trampoline_kernelINS0_14default_configENS1_25transform_config_selectorIjLb0EEEZNS1_14transform_implILb0ES3_S5_PjN6thrust23THRUST_200600_302600_NS6detail15normal_iteratorINS9_10device_ptrIjEEEENS0_8identityIjEEEE10hipError_tT2_T3_mT4_P12ihipStream_tbEUlT_E_NS1_11comp_targetILNS1_3genE9ELNS1_11target_archE1100ELNS1_3gpuE3ELNS1_3repE0EEENS1_30default_config_static_selectorELNS0_4arch9wavefront6targetE0EEEvT1_,comdat
.Lfunc_end80:
	.size	_ZN7rocprim17ROCPRIM_400000_NS6detail17trampoline_kernelINS0_14default_configENS1_25transform_config_selectorIjLb0EEEZNS1_14transform_implILb0ES3_S5_PjN6thrust23THRUST_200600_302600_NS6detail15normal_iteratorINS9_10device_ptrIjEEEENS0_8identityIjEEEE10hipError_tT2_T3_mT4_P12ihipStream_tbEUlT_E_NS1_11comp_targetILNS1_3genE9ELNS1_11target_archE1100ELNS1_3gpuE3ELNS1_3repE0EEENS1_30default_config_static_selectorELNS0_4arch9wavefront6targetE0EEEvT1_, .Lfunc_end80-_ZN7rocprim17ROCPRIM_400000_NS6detail17trampoline_kernelINS0_14default_configENS1_25transform_config_selectorIjLb0EEEZNS1_14transform_implILb0ES3_S5_PjN6thrust23THRUST_200600_302600_NS6detail15normal_iteratorINS9_10device_ptrIjEEEENS0_8identityIjEEEE10hipError_tT2_T3_mT4_P12ihipStream_tbEUlT_E_NS1_11comp_targetILNS1_3genE9ELNS1_11target_archE1100ELNS1_3gpuE3ELNS1_3repE0EEENS1_30default_config_static_selectorELNS0_4arch9wavefront6targetE0EEEvT1_
                                        ; -- End function
	.set _ZN7rocprim17ROCPRIM_400000_NS6detail17trampoline_kernelINS0_14default_configENS1_25transform_config_selectorIjLb0EEEZNS1_14transform_implILb0ES3_S5_PjN6thrust23THRUST_200600_302600_NS6detail15normal_iteratorINS9_10device_ptrIjEEEENS0_8identityIjEEEE10hipError_tT2_T3_mT4_P12ihipStream_tbEUlT_E_NS1_11comp_targetILNS1_3genE9ELNS1_11target_archE1100ELNS1_3gpuE3ELNS1_3repE0EEENS1_30default_config_static_selectorELNS0_4arch9wavefront6targetE0EEEvT1_.num_vgpr, 0
	.set _ZN7rocprim17ROCPRIM_400000_NS6detail17trampoline_kernelINS0_14default_configENS1_25transform_config_selectorIjLb0EEEZNS1_14transform_implILb0ES3_S5_PjN6thrust23THRUST_200600_302600_NS6detail15normal_iteratorINS9_10device_ptrIjEEEENS0_8identityIjEEEE10hipError_tT2_T3_mT4_P12ihipStream_tbEUlT_E_NS1_11comp_targetILNS1_3genE9ELNS1_11target_archE1100ELNS1_3gpuE3ELNS1_3repE0EEENS1_30default_config_static_selectorELNS0_4arch9wavefront6targetE0EEEvT1_.num_agpr, 0
	.set _ZN7rocprim17ROCPRIM_400000_NS6detail17trampoline_kernelINS0_14default_configENS1_25transform_config_selectorIjLb0EEEZNS1_14transform_implILb0ES3_S5_PjN6thrust23THRUST_200600_302600_NS6detail15normal_iteratorINS9_10device_ptrIjEEEENS0_8identityIjEEEE10hipError_tT2_T3_mT4_P12ihipStream_tbEUlT_E_NS1_11comp_targetILNS1_3genE9ELNS1_11target_archE1100ELNS1_3gpuE3ELNS1_3repE0EEENS1_30default_config_static_selectorELNS0_4arch9wavefront6targetE0EEEvT1_.numbered_sgpr, 0
	.set _ZN7rocprim17ROCPRIM_400000_NS6detail17trampoline_kernelINS0_14default_configENS1_25transform_config_selectorIjLb0EEEZNS1_14transform_implILb0ES3_S5_PjN6thrust23THRUST_200600_302600_NS6detail15normal_iteratorINS9_10device_ptrIjEEEENS0_8identityIjEEEE10hipError_tT2_T3_mT4_P12ihipStream_tbEUlT_E_NS1_11comp_targetILNS1_3genE9ELNS1_11target_archE1100ELNS1_3gpuE3ELNS1_3repE0EEENS1_30default_config_static_selectorELNS0_4arch9wavefront6targetE0EEEvT1_.num_named_barrier, 0
	.set _ZN7rocprim17ROCPRIM_400000_NS6detail17trampoline_kernelINS0_14default_configENS1_25transform_config_selectorIjLb0EEEZNS1_14transform_implILb0ES3_S5_PjN6thrust23THRUST_200600_302600_NS6detail15normal_iteratorINS9_10device_ptrIjEEEENS0_8identityIjEEEE10hipError_tT2_T3_mT4_P12ihipStream_tbEUlT_E_NS1_11comp_targetILNS1_3genE9ELNS1_11target_archE1100ELNS1_3gpuE3ELNS1_3repE0EEENS1_30default_config_static_selectorELNS0_4arch9wavefront6targetE0EEEvT1_.private_seg_size, 0
	.set _ZN7rocprim17ROCPRIM_400000_NS6detail17trampoline_kernelINS0_14default_configENS1_25transform_config_selectorIjLb0EEEZNS1_14transform_implILb0ES3_S5_PjN6thrust23THRUST_200600_302600_NS6detail15normal_iteratorINS9_10device_ptrIjEEEENS0_8identityIjEEEE10hipError_tT2_T3_mT4_P12ihipStream_tbEUlT_E_NS1_11comp_targetILNS1_3genE9ELNS1_11target_archE1100ELNS1_3gpuE3ELNS1_3repE0EEENS1_30default_config_static_selectorELNS0_4arch9wavefront6targetE0EEEvT1_.uses_vcc, 0
	.set _ZN7rocprim17ROCPRIM_400000_NS6detail17trampoline_kernelINS0_14default_configENS1_25transform_config_selectorIjLb0EEEZNS1_14transform_implILb0ES3_S5_PjN6thrust23THRUST_200600_302600_NS6detail15normal_iteratorINS9_10device_ptrIjEEEENS0_8identityIjEEEE10hipError_tT2_T3_mT4_P12ihipStream_tbEUlT_E_NS1_11comp_targetILNS1_3genE9ELNS1_11target_archE1100ELNS1_3gpuE3ELNS1_3repE0EEENS1_30default_config_static_selectorELNS0_4arch9wavefront6targetE0EEEvT1_.uses_flat_scratch, 0
	.set _ZN7rocprim17ROCPRIM_400000_NS6detail17trampoline_kernelINS0_14default_configENS1_25transform_config_selectorIjLb0EEEZNS1_14transform_implILb0ES3_S5_PjN6thrust23THRUST_200600_302600_NS6detail15normal_iteratorINS9_10device_ptrIjEEEENS0_8identityIjEEEE10hipError_tT2_T3_mT4_P12ihipStream_tbEUlT_E_NS1_11comp_targetILNS1_3genE9ELNS1_11target_archE1100ELNS1_3gpuE3ELNS1_3repE0EEENS1_30default_config_static_selectorELNS0_4arch9wavefront6targetE0EEEvT1_.has_dyn_sized_stack, 0
	.set _ZN7rocprim17ROCPRIM_400000_NS6detail17trampoline_kernelINS0_14default_configENS1_25transform_config_selectorIjLb0EEEZNS1_14transform_implILb0ES3_S5_PjN6thrust23THRUST_200600_302600_NS6detail15normal_iteratorINS9_10device_ptrIjEEEENS0_8identityIjEEEE10hipError_tT2_T3_mT4_P12ihipStream_tbEUlT_E_NS1_11comp_targetILNS1_3genE9ELNS1_11target_archE1100ELNS1_3gpuE3ELNS1_3repE0EEENS1_30default_config_static_selectorELNS0_4arch9wavefront6targetE0EEEvT1_.has_recursion, 0
	.set _ZN7rocprim17ROCPRIM_400000_NS6detail17trampoline_kernelINS0_14default_configENS1_25transform_config_selectorIjLb0EEEZNS1_14transform_implILb0ES3_S5_PjN6thrust23THRUST_200600_302600_NS6detail15normal_iteratorINS9_10device_ptrIjEEEENS0_8identityIjEEEE10hipError_tT2_T3_mT4_P12ihipStream_tbEUlT_E_NS1_11comp_targetILNS1_3genE9ELNS1_11target_archE1100ELNS1_3gpuE3ELNS1_3repE0EEENS1_30default_config_static_selectorELNS0_4arch9wavefront6targetE0EEEvT1_.has_indirect_call, 0
	.section	.AMDGPU.csdata,"",@progbits
; Kernel info:
; codeLenInByte = 0
; TotalNumSgprs: 0
; NumVgprs: 0
; ScratchSize: 0
; MemoryBound: 0
; FloatMode: 240
; IeeeMode: 1
; LDSByteSize: 0 bytes/workgroup (compile time only)
; SGPRBlocks: 0
; VGPRBlocks: 0
; NumSGPRsForWavesPerEU: 1
; NumVGPRsForWavesPerEU: 1
; NamedBarCnt: 0
; Occupancy: 16
; WaveLimiterHint : 0
; COMPUTE_PGM_RSRC2:SCRATCH_EN: 0
; COMPUTE_PGM_RSRC2:USER_SGPR: 2
; COMPUTE_PGM_RSRC2:TRAP_HANDLER: 0
; COMPUTE_PGM_RSRC2:TGID_X_EN: 1
; COMPUTE_PGM_RSRC2:TGID_Y_EN: 0
; COMPUTE_PGM_RSRC2:TGID_Z_EN: 0
; COMPUTE_PGM_RSRC2:TIDIG_COMP_CNT: 0
	.section	.text._ZN7rocprim17ROCPRIM_400000_NS6detail17trampoline_kernelINS0_14default_configENS1_25transform_config_selectorIjLb0EEEZNS1_14transform_implILb0ES3_S5_PjN6thrust23THRUST_200600_302600_NS6detail15normal_iteratorINS9_10device_ptrIjEEEENS0_8identityIjEEEE10hipError_tT2_T3_mT4_P12ihipStream_tbEUlT_E_NS1_11comp_targetILNS1_3genE8ELNS1_11target_archE1030ELNS1_3gpuE2ELNS1_3repE0EEENS1_30default_config_static_selectorELNS0_4arch9wavefront6targetE0EEEvT1_,"axG",@progbits,_ZN7rocprim17ROCPRIM_400000_NS6detail17trampoline_kernelINS0_14default_configENS1_25transform_config_selectorIjLb0EEEZNS1_14transform_implILb0ES3_S5_PjN6thrust23THRUST_200600_302600_NS6detail15normal_iteratorINS9_10device_ptrIjEEEENS0_8identityIjEEEE10hipError_tT2_T3_mT4_P12ihipStream_tbEUlT_E_NS1_11comp_targetILNS1_3genE8ELNS1_11target_archE1030ELNS1_3gpuE2ELNS1_3repE0EEENS1_30default_config_static_selectorELNS0_4arch9wavefront6targetE0EEEvT1_,comdat
	.protected	_ZN7rocprim17ROCPRIM_400000_NS6detail17trampoline_kernelINS0_14default_configENS1_25transform_config_selectorIjLb0EEEZNS1_14transform_implILb0ES3_S5_PjN6thrust23THRUST_200600_302600_NS6detail15normal_iteratorINS9_10device_ptrIjEEEENS0_8identityIjEEEE10hipError_tT2_T3_mT4_P12ihipStream_tbEUlT_E_NS1_11comp_targetILNS1_3genE8ELNS1_11target_archE1030ELNS1_3gpuE2ELNS1_3repE0EEENS1_30default_config_static_selectorELNS0_4arch9wavefront6targetE0EEEvT1_ ; -- Begin function _ZN7rocprim17ROCPRIM_400000_NS6detail17trampoline_kernelINS0_14default_configENS1_25transform_config_selectorIjLb0EEEZNS1_14transform_implILb0ES3_S5_PjN6thrust23THRUST_200600_302600_NS6detail15normal_iteratorINS9_10device_ptrIjEEEENS0_8identityIjEEEE10hipError_tT2_T3_mT4_P12ihipStream_tbEUlT_E_NS1_11comp_targetILNS1_3genE8ELNS1_11target_archE1030ELNS1_3gpuE2ELNS1_3repE0EEENS1_30default_config_static_selectorELNS0_4arch9wavefront6targetE0EEEvT1_
	.globl	_ZN7rocprim17ROCPRIM_400000_NS6detail17trampoline_kernelINS0_14default_configENS1_25transform_config_selectorIjLb0EEEZNS1_14transform_implILb0ES3_S5_PjN6thrust23THRUST_200600_302600_NS6detail15normal_iteratorINS9_10device_ptrIjEEEENS0_8identityIjEEEE10hipError_tT2_T3_mT4_P12ihipStream_tbEUlT_E_NS1_11comp_targetILNS1_3genE8ELNS1_11target_archE1030ELNS1_3gpuE2ELNS1_3repE0EEENS1_30default_config_static_selectorELNS0_4arch9wavefront6targetE0EEEvT1_
	.p2align	8
	.type	_ZN7rocprim17ROCPRIM_400000_NS6detail17trampoline_kernelINS0_14default_configENS1_25transform_config_selectorIjLb0EEEZNS1_14transform_implILb0ES3_S5_PjN6thrust23THRUST_200600_302600_NS6detail15normal_iteratorINS9_10device_ptrIjEEEENS0_8identityIjEEEE10hipError_tT2_T3_mT4_P12ihipStream_tbEUlT_E_NS1_11comp_targetILNS1_3genE8ELNS1_11target_archE1030ELNS1_3gpuE2ELNS1_3repE0EEENS1_30default_config_static_selectorELNS0_4arch9wavefront6targetE0EEEvT1_,@function
_ZN7rocprim17ROCPRIM_400000_NS6detail17trampoline_kernelINS0_14default_configENS1_25transform_config_selectorIjLb0EEEZNS1_14transform_implILb0ES3_S5_PjN6thrust23THRUST_200600_302600_NS6detail15normal_iteratorINS9_10device_ptrIjEEEENS0_8identityIjEEEE10hipError_tT2_T3_mT4_P12ihipStream_tbEUlT_E_NS1_11comp_targetILNS1_3genE8ELNS1_11target_archE1030ELNS1_3gpuE2ELNS1_3repE0EEENS1_30default_config_static_selectorELNS0_4arch9wavefront6targetE0EEEvT1_: ; @_ZN7rocprim17ROCPRIM_400000_NS6detail17trampoline_kernelINS0_14default_configENS1_25transform_config_selectorIjLb0EEEZNS1_14transform_implILb0ES3_S5_PjN6thrust23THRUST_200600_302600_NS6detail15normal_iteratorINS9_10device_ptrIjEEEENS0_8identityIjEEEE10hipError_tT2_T3_mT4_P12ihipStream_tbEUlT_E_NS1_11comp_targetILNS1_3genE8ELNS1_11target_archE1030ELNS1_3gpuE2ELNS1_3repE0EEENS1_30default_config_static_selectorELNS0_4arch9wavefront6targetE0EEEvT1_
; %bb.0:
	.section	.rodata,"a",@progbits
	.p2align	6, 0x0
	.amdhsa_kernel _ZN7rocprim17ROCPRIM_400000_NS6detail17trampoline_kernelINS0_14default_configENS1_25transform_config_selectorIjLb0EEEZNS1_14transform_implILb0ES3_S5_PjN6thrust23THRUST_200600_302600_NS6detail15normal_iteratorINS9_10device_ptrIjEEEENS0_8identityIjEEEE10hipError_tT2_T3_mT4_P12ihipStream_tbEUlT_E_NS1_11comp_targetILNS1_3genE8ELNS1_11target_archE1030ELNS1_3gpuE2ELNS1_3repE0EEENS1_30default_config_static_selectorELNS0_4arch9wavefront6targetE0EEEvT1_
		.amdhsa_group_segment_fixed_size 0
		.amdhsa_private_segment_fixed_size 0
		.amdhsa_kernarg_size 40
		.amdhsa_user_sgpr_count 2
		.amdhsa_user_sgpr_dispatch_ptr 0
		.amdhsa_user_sgpr_queue_ptr 0
		.amdhsa_user_sgpr_kernarg_segment_ptr 1
		.amdhsa_user_sgpr_dispatch_id 0
		.amdhsa_user_sgpr_kernarg_preload_length 0
		.amdhsa_user_sgpr_kernarg_preload_offset 0
		.amdhsa_user_sgpr_private_segment_size 0
		.amdhsa_wavefront_size32 1
		.amdhsa_uses_dynamic_stack 0
		.amdhsa_enable_private_segment 0
		.amdhsa_system_sgpr_workgroup_id_x 1
		.amdhsa_system_sgpr_workgroup_id_y 0
		.amdhsa_system_sgpr_workgroup_id_z 0
		.amdhsa_system_sgpr_workgroup_info 0
		.amdhsa_system_vgpr_workitem_id 0
		.amdhsa_next_free_vgpr 1
		.amdhsa_next_free_sgpr 1
		.amdhsa_named_barrier_count 0
		.amdhsa_reserve_vcc 0
		.amdhsa_float_round_mode_32 0
		.amdhsa_float_round_mode_16_64 0
		.amdhsa_float_denorm_mode_32 3
		.amdhsa_float_denorm_mode_16_64 3
		.amdhsa_fp16_overflow 0
		.amdhsa_memory_ordered 1
		.amdhsa_forward_progress 1
		.amdhsa_inst_pref_size 0
		.amdhsa_round_robin_scheduling 0
		.amdhsa_exception_fp_ieee_invalid_op 0
		.amdhsa_exception_fp_denorm_src 0
		.amdhsa_exception_fp_ieee_div_zero 0
		.amdhsa_exception_fp_ieee_overflow 0
		.amdhsa_exception_fp_ieee_underflow 0
		.amdhsa_exception_fp_ieee_inexact 0
		.amdhsa_exception_int_div_zero 0
	.end_amdhsa_kernel
	.section	.text._ZN7rocprim17ROCPRIM_400000_NS6detail17trampoline_kernelINS0_14default_configENS1_25transform_config_selectorIjLb0EEEZNS1_14transform_implILb0ES3_S5_PjN6thrust23THRUST_200600_302600_NS6detail15normal_iteratorINS9_10device_ptrIjEEEENS0_8identityIjEEEE10hipError_tT2_T3_mT4_P12ihipStream_tbEUlT_E_NS1_11comp_targetILNS1_3genE8ELNS1_11target_archE1030ELNS1_3gpuE2ELNS1_3repE0EEENS1_30default_config_static_selectorELNS0_4arch9wavefront6targetE0EEEvT1_,"axG",@progbits,_ZN7rocprim17ROCPRIM_400000_NS6detail17trampoline_kernelINS0_14default_configENS1_25transform_config_selectorIjLb0EEEZNS1_14transform_implILb0ES3_S5_PjN6thrust23THRUST_200600_302600_NS6detail15normal_iteratorINS9_10device_ptrIjEEEENS0_8identityIjEEEE10hipError_tT2_T3_mT4_P12ihipStream_tbEUlT_E_NS1_11comp_targetILNS1_3genE8ELNS1_11target_archE1030ELNS1_3gpuE2ELNS1_3repE0EEENS1_30default_config_static_selectorELNS0_4arch9wavefront6targetE0EEEvT1_,comdat
.Lfunc_end81:
	.size	_ZN7rocprim17ROCPRIM_400000_NS6detail17trampoline_kernelINS0_14default_configENS1_25transform_config_selectorIjLb0EEEZNS1_14transform_implILb0ES3_S5_PjN6thrust23THRUST_200600_302600_NS6detail15normal_iteratorINS9_10device_ptrIjEEEENS0_8identityIjEEEE10hipError_tT2_T3_mT4_P12ihipStream_tbEUlT_E_NS1_11comp_targetILNS1_3genE8ELNS1_11target_archE1030ELNS1_3gpuE2ELNS1_3repE0EEENS1_30default_config_static_selectorELNS0_4arch9wavefront6targetE0EEEvT1_, .Lfunc_end81-_ZN7rocprim17ROCPRIM_400000_NS6detail17trampoline_kernelINS0_14default_configENS1_25transform_config_selectorIjLb0EEEZNS1_14transform_implILb0ES3_S5_PjN6thrust23THRUST_200600_302600_NS6detail15normal_iteratorINS9_10device_ptrIjEEEENS0_8identityIjEEEE10hipError_tT2_T3_mT4_P12ihipStream_tbEUlT_E_NS1_11comp_targetILNS1_3genE8ELNS1_11target_archE1030ELNS1_3gpuE2ELNS1_3repE0EEENS1_30default_config_static_selectorELNS0_4arch9wavefront6targetE0EEEvT1_
                                        ; -- End function
	.set _ZN7rocprim17ROCPRIM_400000_NS6detail17trampoline_kernelINS0_14default_configENS1_25transform_config_selectorIjLb0EEEZNS1_14transform_implILb0ES3_S5_PjN6thrust23THRUST_200600_302600_NS6detail15normal_iteratorINS9_10device_ptrIjEEEENS0_8identityIjEEEE10hipError_tT2_T3_mT4_P12ihipStream_tbEUlT_E_NS1_11comp_targetILNS1_3genE8ELNS1_11target_archE1030ELNS1_3gpuE2ELNS1_3repE0EEENS1_30default_config_static_selectorELNS0_4arch9wavefront6targetE0EEEvT1_.num_vgpr, 0
	.set _ZN7rocprim17ROCPRIM_400000_NS6detail17trampoline_kernelINS0_14default_configENS1_25transform_config_selectorIjLb0EEEZNS1_14transform_implILb0ES3_S5_PjN6thrust23THRUST_200600_302600_NS6detail15normal_iteratorINS9_10device_ptrIjEEEENS0_8identityIjEEEE10hipError_tT2_T3_mT4_P12ihipStream_tbEUlT_E_NS1_11comp_targetILNS1_3genE8ELNS1_11target_archE1030ELNS1_3gpuE2ELNS1_3repE0EEENS1_30default_config_static_selectorELNS0_4arch9wavefront6targetE0EEEvT1_.num_agpr, 0
	.set _ZN7rocprim17ROCPRIM_400000_NS6detail17trampoline_kernelINS0_14default_configENS1_25transform_config_selectorIjLb0EEEZNS1_14transform_implILb0ES3_S5_PjN6thrust23THRUST_200600_302600_NS6detail15normal_iteratorINS9_10device_ptrIjEEEENS0_8identityIjEEEE10hipError_tT2_T3_mT4_P12ihipStream_tbEUlT_E_NS1_11comp_targetILNS1_3genE8ELNS1_11target_archE1030ELNS1_3gpuE2ELNS1_3repE0EEENS1_30default_config_static_selectorELNS0_4arch9wavefront6targetE0EEEvT1_.numbered_sgpr, 0
	.set _ZN7rocprim17ROCPRIM_400000_NS6detail17trampoline_kernelINS0_14default_configENS1_25transform_config_selectorIjLb0EEEZNS1_14transform_implILb0ES3_S5_PjN6thrust23THRUST_200600_302600_NS6detail15normal_iteratorINS9_10device_ptrIjEEEENS0_8identityIjEEEE10hipError_tT2_T3_mT4_P12ihipStream_tbEUlT_E_NS1_11comp_targetILNS1_3genE8ELNS1_11target_archE1030ELNS1_3gpuE2ELNS1_3repE0EEENS1_30default_config_static_selectorELNS0_4arch9wavefront6targetE0EEEvT1_.num_named_barrier, 0
	.set _ZN7rocprim17ROCPRIM_400000_NS6detail17trampoline_kernelINS0_14default_configENS1_25transform_config_selectorIjLb0EEEZNS1_14transform_implILb0ES3_S5_PjN6thrust23THRUST_200600_302600_NS6detail15normal_iteratorINS9_10device_ptrIjEEEENS0_8identityIjEEEE10hipError_tT2_T3_mT4_P12ihipStream_tbEUlT_E_NS1_11comp_targetILNS1_3genE8ELNS1_11target_archE1030ELNS1_3gpuE2ELNS1_3repE0EEENS1_30default_config_static_selectorELNS0_4arch9wavefront6targetE0EEEvT1_.private_seg_size, 0
	.set _ZN7rocprim17ROCPRIM_400000_NS6detail17trampoline_kernelINS0_14default_configENS1_25transform_config_selectorIjLb0EEEZNS1_14transform_implILb0ES3_S5_PjN6thrust23THRUST_200600_302600_NS6detail15normal_iteratorINS9_10device_ptrIjEEEENS0_8identityIjEEEE10hipError_tT2_T3_mT4_P12ihipStream_tbEUlT_E_NS1_11comp_targetILNS1_3genE8ELNS1_11target_archE1030ELNS1_3gpuE2ELNS1_3repE0EEENS1_30default_config_static_selectorELNS0_4arch9wavefront6targetE0EEEvT1_.uses_vcc, 0
	.set _ZN7rocprim17ROCPRIM_400000_NS6detail17trampoline_kernelINS0_14default_configENS1_25transform_config_selectorIjLb0EEEZNS1_14transform_implILb0ES3_S5_PjN6thrust23THRUST_200600_302600_NS6detail15normal_iteratorINS9_10device_ptrIjEEEENS0_8identityIjEEEE10hipError_tT2_T3_mT4_P12ihipStream_tbEUlT_E_NS1_11comp_targetILNS1_3genE8ELNS1_11target_archE1030ELNS1_3gpuE2ELNS1_3repE0EEENS1_30default_config_static_selectorELNS0_4arch9wavefront6targetE0EEEvT1_.uses_flat_scratch, 0
	.set _ZN7rocprim17ROCPRIM_400000_NS6detail17trampoline_kernelINS0_14default_configENS1_25transform_config_selectorIjLb0EEEZNS1_14transform_implILb0ES3_S5_PjN6thrust23THRUST_200600_302600_NS6detail15normal_iteratorINS9_10device_ptrIjEEEENS0_8identityIjEEEE10hipError_tT2_T3_mT4_P12ihipStream_tbEUlT_E_NS1_11comp_targetILNS1_3genE8ELNS1_11target_archE1030ELNS1_3gpuE2ELNS1_3repE0EEENS1_30default_config_static_selectorELNS0_4arch9wavefront6targetE0EEEvT1_.has_dyn_sized_stack, 0
	.set _ZN7rocprim17ROCPRIM_400000_NS6detail17trampoline_kernelINS0_14default_configENS1_25transform_config_selectorIjLb0EEEZNS1_14transform_implILb0ES3_S5_PjN6thrust23THRUST_200600_302600_NS6detail15normal_iteratorINS9_10device_ptrIjEEEENS0_8identityIjEEEE10hipError_tT2_T3_mT4_P12ihipStream_tbEUlT_E_NS1_11comp_targetILNS1_3genE8ELNS1_11target_archE1030ELNS1_3gpuE2ELNS1_3repE0EEENS1_30default_config_static_selectorELNS0_4arch9wavefront6targetE0EEEvT1_.has_recursion, 0
	.set _ZN7rocprim17ROCPRIM_400000_NS6detail17trampoline_kernelINS0_14default_configENS1_25transform_config_selectorIjLb0EEEZNS1_14transform_implILb0ES3_S5_PjN6thrust23THRUST_200600_302600_NS6detail15normal_iteratorINS9_10device_ptrIjEEEENS0_8identityIjEEEE10hipError_tT2_T3_mT4_P12ihipStream_tbEUlT_E_NS1_11comp_targetILNS1_3genE8ELNS1_11target_archE1030ELNS1_3gpuE2ELNS1_3repE0EEENS1_30default_config_static_selectorELNS0_4arch9wavefront6targetE0EEEvT1_.has_indirect_call, 0
	.section	.AMDGPU.csdata,"",@progbits
; Kernel info:
; codeLenInByte = 0
; TotalNumSgprs: 0
; NumVgprs: 0
; ScratchSize: 0
; MemoryBound: 0
; FloatMode: 240
; IeeeMode: 1
; LDSByteSize: 0 bytes/workgroup (compile time only)
; SGPRBlocks: 0
; VGPRBlocks: 0
; NumSGPRsForWavesPerEU: 1
; NumVGPRsForWavesPerEU: 1
; NamedBarCnt: 0
; Occupancy: 16
; WaveLimiterHint : 0
; COMPUTE_PGM_RSRC2:SCRATCH_EN: 0
; COMPUTE_PGM_RSRC2:USER_SGPR: 2
; COMPUTE_PGM_RSRC2:TRAP_HANDLER: 0
; COMPUTE_PGM_RSRC2:TGID_X_EN: 1
; COMPUTE_PGM_RSRC2:TGID_Y_EN: 0
; COMPUTE_PGM_RSRC2:TGID_Z_EN: 0
; COMPUTE_PGM_RSRC2:TIDIG_COMP_CNT: 0
	.section	.text._ZN7rocprim17ROCPRIM_400000_NS6detail17trampoline_kernelINS0_14default_configENS1_25transform_config_selectorIN6thrust23THRUST_200600_302600_NS5tupleIffNS6_9null_typeES8_S8_S8_S8_S8_S8_S8_EELb0EEEZNS1_14transform_implILb0ES3_SA_PS9_NS6_6detail15normal_iteratorINS6_10device_ptrIS9_EEEENS0_8identityIS9_EEEE10hipError_tT2_T3_mT4_P12ihipStream_tbEUlT_E_NS1_11comp_targetILNS1_3genE0ELNS1_11target_archE4294967295ELNS1_3gpuE0ELNS1_3repE0EEENS1_30default_config_static_selectorELNS0_4arch9wavefront6targetE0EEEvT1_,"axG",@progbits,_ZN7rocprim17ROCPRIM_400000_NS6detail17trampoline_kernelINS0_14default_configENS1_25transform_config_selectorIN6thrust23THRUST_200600_302600_NS5tupleIffNS6_9null_typeES8_S8_S8_S8_S8_S8_S8_EELb0EEEZNS1_14transform_implILb0ES3_SA_PS9_NS6_6detail15normal_iteratorINS6_10device_ptrIS9_EEEENS0_8identityIS9_EEEE10hipError_tT2_T3_mT4_P12ihipStream_tbEUlT_E_NS1_11comp_targetILNS1_3genE0ELNS1_11target_archE4294967295ELNS1_3gpuE0ELNS1_3repE0EEENS1_30default_config_static_selectorELNS0_4arch9wavefront6targetE0EEEvT1_,comdat
	.protected	_ZN7rocprim17ROCPRIM_400000_NS6detail17trampoline_kernelINS0_14default_configENS1_25transform_config_selectorIN6thrust23THRUST_200600_302600_NS5tupleIffNS6_9null_typeES8_S8_S8_S8_S8_S8_S8_EELb0EEEZNS1_14transform_implILb0ES3_SA_PS9_NS6_6detail15normal_iteratorINS6_10device_ptrIS9_EEEENS0_8identityIS9_EEEE10hipError_tT2_T3_mT4_P12ihipStream_tbEUlT_E_NS1_11comp_targetILNS1_3genE0ELNS1_11target_archE4294967295ELNS1_3gpuE0ELNS1_3repE0EEENS1_30default_config_static_selectorELNS0_4arch9wavefront6targetE0EEEvT1_ ; -- Begin function _ZN7rocprim17ROCPRIM_400000_NS6detail17trampoline_kernelINS0_14default_configENS1_25transform_config_selectorIN6thrust23THRUST_200600_302600_NS5tupleIffNS6_9null_typeES8_S8_S8_S8_S8_S8_S8_EELb0EEEZNS1_14transform_implILb0ES3_SA_PS9_NS6_6detail15normal_iteratorINS6_10device_ptrIS9_EEEENS0_8identityIS9_EEEE10hipError_tT2_T3_mT4_P12ihipStream_tbEUlT_E_NS1_11comp_targetILNS1_3genE0ELNS1_11target_archE4294967295ELNS1_3gpuE0ELNS1_3repE0EEENS1_30default_config_static_selectorELNS0_4arch9wavefront6targetE0EEEvT1_
	.globl	_ZN7rocprim17ROCPRIM_400000_NS6detail17trampoline_kernelINS0_14default_configENS1_25transform_config_selectorIN6thrust23THRUST_200600_302600_NS5tupleIffNS6_9null_typeES8_S8_S8_S8_S8_S8_S8_EELb0EEEZNS1_14transform_implILb0ES3_SA_PS9_NS6_6detail15normal_iteratorINS6_10device_ptrIS9_EEEENS0_8identityIS9_EEEE10hipError_tT2_T3_mT4_P12ihipStream_tbEUlT_E_NS1_11comp_targetILNS1_3genE0ELNS1_11target_archE4294967295ELNS1_3gpuE0ELNS1_3repE0EEENS1_30default_config_static_selectorELNS0_4arch9wavefront6targetE0EEEvT1_
	.p2align	8
	.type	_ZN7rocprim17ROCPRIM_400000_NS6detail17trampoline_kernelINS0_14default_configENS1_25transform_config_selectorIN6thrust23THRUST_200600_302600_NS5tupleIffNS6_9null_typeES8_S8_S8_S8_S8_S8_S8_EELb0EEEZNS1_14transform_implILb0ES3_SA_PS9_NS6_6detail15normal_iteratorINS6_10device_ptrIS9_EEEENS0_8identityIS9_EEEE10hipError_tT2_T3_mT4_P12ihipStream_tbEUlT_E_NS1_11comp_targetILNS1_3genE0ELNS1_11target_archE4294967295ELNS1_3gpuE0ELNS1_3repE0EEENS1_30default_config_static_selectorELNS0_4arch9wavefront6targetE0EEEvT1_,@function
_ZN7rocprim17ROCPRIM_400000_NS6detail17trampoline_kernelINS0_14default_configENS1_25transform_config_selectorIN6thrust23THRUST_200600_302600_NS5tupleIffNS6_9null_typeES8_S8_S8_S8_S8_S8_S8_EELb0EEEZNS1_14transform_implILb0ES3_SA_PS9_NS6_6detail15normal_iteratorINS6_10device_ptrIS9_EEEENS0_8identityIS9_EEEE10hipError_tT2_T3_mT4_P12ihipStream_tbEUlT_E_NS1_11comp_targetILNS1_3genE0ELNS1_11target_archE4294967295ELNS1_3gpuE0ELNS1_3repE0EEENS1_30default_config_static_selectorELNS0_4arch9wavefront6targetE0EEEvT1_: ; @_ZN7rocprim17ROCPRIM_400000_NS6detail17trampoline_kernelINS0_14default_configENS1_25transform_config_selectorIN6thrust23THRUST_200600_302600_NS5tupleIffNS6_9null_typeES8_S8_S8_S8_S8_S8_S8_EELb0EEEZNS1_14transform_implILb0ES3_SA_PS9_NS6_6detail15normal_iteratorINS6_10device_ptrIS9_EEEENS0_8identityIS9_EEEE10hipError_tT2_T3_mT4_P12ihipStream_tbEUlT_E_NS1_11comp_targetILNS1_3genE0ELNS1_11target_archE4294967295ELNS1_3gpuE0ELNS1_3repE0EEENS1_30default_config_static_selectorELNS0_4arch9wavefront6targetE0EEEvT1_
; %bb.0:
	s_clause 0x2
	s_load_b128 s[4:7], s[0:1], 0x0
	s_load_b64 s[2:3], s[0:1], 0x18
	s_load_b32 s8, s[0:1], 0x28
	s_bfe_u32 s9, ttmp6, 0x4000c
	s_and_b32 s10, ttmp6, 15
	s_add_co_i32 s9, s9, 1
	s_getreg_b32 s11, hwreg(HW_REG_IB_STS2, 6, 4)
	s_mul_i32 s9, ttmp9, s9
	s_delay_alu instid0(SALU_CYCLE_1)
	s_add_co_i32 s10, s10, s9
	s_wait_kmcnt 0x0
	s_lshl_b64 s[6:7], s[6:7], 3
	s_cmp_eq_u32 s11, 0
	s_add_nc_u64 s[4:5], s[4:5], s[6:7]
	s_cselect_b32 s9, ttmp9, s10
	s_add_co_i32 s8, s8, -1
	s_add_nc_u64 s[2:3], s[2:3], s[6:7]
	s_lshl_b32 s6, s9, 7
	s_mov_b32 s7, 0
	s_cmp_lg_u32 s9, s8
	s_mov_b32 s8, -1
	s_cbranch_scc0 .LBB82_2
; %bb.1:
	s_lshl_b64 s[8:9], s[6:7], 3
	s_delay_alu instid0(SALU_CYCLE_1)
	s_add_nc_u64 s[10:11], s[4:5], s[8:9]
	global_load_b64 v[2:3], v0, s[10:11] scale_offset
	s_wait_xcnt 0x0
	s_add_nc_u64 s[10:11], s[2:3], s[8:9]
	s_mov_b32 s8, s7
	s_wait_loadcnt 0x0
	flat_store_b64 v0, v[2:3], s[10:11] scale_offset
.LBB82_2:
	s_and_not1_b32 vcc_lo, exec_lo, s8
	s_cbranch_vccnz .LBB82_5
; %bb.3:
	s_load_b32 s0, s[0:1], 0x10
	s_wait_kmcnt 0x0
	s_sub_co_i32 s0, s0, s6
	s_delay_alu instid0(SALU_CYCLE_1)
	v_cmp_gt_u32_e32 vcc_lo, s0, v0
	s_and_saveexec_b32 s0, vcc_lo
	s_cbranch_execz .LBB82_5
; %bb.4:
	s_lshl_b64 s[0:1], s[6:7], 3
	s_delay_alu instid0(SALU_CYCLE_1)
	s_add_nc_u64 s[4:5], s[4:5], s[0:1]
	s_add_nc_u64 s[0:1], s[2:3], s[0:1]
	global_load_b64 v[2:3], v0, s[4:5] scale_offset
	s_wait_loadcnt 0x0
	flat_store_b64 v0, v[2:3], s[0:1] scale_offset
.LBB82_5:
	s_endpgm
	.section	.rodata,"a",@progbits
	.p2align	6, 0x0
	.amdhsa_kernel _ZN7rocprim17ROCPRIM_400000_NS6detail17trampoline_kernelINS0_14default_configENS1_25transform_config_selectorIN6thrust23THRUST_200600_302600_NS5tupleIffNS6_9null_typeES8_S8_S8_S8_S8_S8_S8_EELb0EEEZNS1_14transform_implILb0ES3_SA_PS9_NS6_6detail15normal_iteratorINS6_10device_ptrIS9_EEEENS0_8identityIS9_EEEE10hipError_tT2_T3_mT4_P12ihipStream_tbEUlT_E_NS1_11comp_targetILNS1_3genE0ELNS1_11target_archE4294967295ELNS1_3gpuE0ELNS1_3repE0EEENS1_30default_config_static_selectorELNS0_4arch9wavefront6targetE0EEEvT1_
		.amdhsa_group_segment_fixed_size 0
		.amdhsa_private_segment_fixed_size 0
		.amdhsa_kernarg_size 296
		.amdhsa_user_sgpr_count 2
		.amdhsa_user_sgpr_dispatch_ptr 0
		.amdhsa_user_sgpr_queue_ptr 0
		.amdhsa_user_sgpr_kernarg_segment_ptr 1
		.amdhsa_user_sgpr_dispatch_id 0
		.amdhsa_user_sgpr_kernarg_preload_length 0
		.amdhsa_user_sgpr_kernarg_preload_offset 0
		.amdhsa_user_sgpr_private_segment_size 0
		.amdhsa_wavefront_size32 1
		.amdhsa_uses_dynamic_stack 0
		.amdhsa_enable_private_segment 0
		.amdhsa_system_sgpr_workgroup_id_x 1
		.amdhsa_system_sgpr_workgroup_id_y 0
		.amdhsa_system_sgpr_workgroup_id_z 0
		.amdhsa_system_sgpr_workgroup_info 0
		.amdhsa_system_vgpr_workitem_id 0
		.amdhsa_next_free_vgpr 4
		.amdhsa_next_free_sgpr 12
		.amdhsa_named_barrier_count 0
		.amdhsa_reserve_vcc 1
		.amdhsa_float_round_mode_32 0
		.amdhsa_float_round_mode_16_64 0
		.amdhsa_float_denorm_mode_32 3
		.amdhsa_float_denorm_mode_16_64 3
		.amdhsa_fp16_overflow 0
		.amdhsa_memory_ordered 1
		.amdhsa_forward_progress 1
		.amdhsa_inst_pref_size 2
		.amdhsa_round_robin_scheduling 0
		.amdhsa_exception_fp_ieee_invalid_op 0
		.amdhsa_exception_fp_denorm_src 0
		.amdhsa_exception_fp_ieee_div_zero 0
		.amdhsa_exception_fp_ieee_overflow 0
		.amdhsa_exception_fp_ieee_underflow 0
		.amdhsa_exception_fp_ieee_inexact 0
		.amdhsa_exception_int_div_zero 0
	.end_amdhsa_kernel
	.section	.text._ZN7rocprim17ROCPRIM_400000_NS6detail17trampoline_kernelINS0_14default_configENS1_25transform_config_selectorIN6thrust23THRUST_200600_302600_NS5tupleIffNS6_9null_typeES8_S8_S8_S8_S8_S8_S8_EELb0EEEZNS1_14transform_implILb0ES3_SA_PS9_NS6_6detail15normal_iteratorINS6_10device_ptrIS9_EEEENS0_8identityIS9_EEEE10hipError_tT2_T3_mT4_P12ihipStream_tbEUlT_E_NS1_11comp_targetILNS1_3genE0ELNS1_11target_archE4294967295ELNS1_3gpuE0ELNS1_3repE0EEENS1_30default_config_static_selectorELNS0_4arch9wavefront6targetE0EEEvT1_,"axG",@progbits,_ZN7rocprim17ROCPRIM_400000_NS6detail17trampoline_kernelINS0_14default_configENS1_25transform_config_selectorIN6thrust23THRUST_200600_302600_NS5tupleIffNS6_9null_typeES8_S8_S8_S8_S8_S8_S8_EELb0EEEZNS1_14transform_implILb0ES3_SA_PS9_NS6_6detail15normal_iteratorINS6_10device_ptrIS9_EEEENS0_8identityIS9_EEEE10hipError_tT2_T3_mT4_P12ihipStream_tbEUlT_E_NS1_11comp_targetILNS1_3genE0ELNS1_11target_archE4294967295ELNS1_3gpuE0ELNS1_3repE0EEENS1_30default_config_static_selectorELNS0_4arch9wavefront6targetE0EEEvT1_,comdat
.Lfunc_end82:
	.size	_ZN7rocprim17ROCPRIM_400000_NS6detail17trampoline_kernelINS0_14default_configENS1_25transform_config_selectorIN6thrust23THRUST_200600_302600_NS5tupleIffNS6_9null_typeES8_S8_S8_S8_S8_S8_S8_EELb0EEEZNS1_14transform_implILb0ES3_SA_PS9_NS6_6detail15normal_iteratorINS6_10device_ptrIS9_EEEENS0_8identityIS9_EEEE10hipError_tT2_T3_mT4_P12ihipStream_tbEUlT_E_NS1_11comp_targetILNS1_3genE0ELNS1_11target_archE4294967295ELNS1_3gpuE0ELNS1_3repE0EEENS1_30default_config_static_selectorELNS0_4arch9wavefront6targetE0EEEvT1_, .Lfunc_end82-_ZN7rocprim17ROCPRIM_400000_NS6detail17trampoline_kernelINS0_14default_configENS1_25transform_config_selectorIN6thrust23THRUST_200600_302600_NS5tupleIffNS6_9null_typeES8_S8_S8_S8_S8_S8_S8_EELb0EEEZNS1_14transform_implILb0ES3_SA_PS9_NS6_6detail15normal_iteratorINS6_10device_ptrIS9_EEEENS0_8identityIS9_EEEE10hipError_tT2_T3_mT4_P12ihipStream_tbEUlT_E_NS1_11comp_targetILNS1_3genE0ELNS1_11target_archE4294967295ELNS1_3gpuE0ELNS1_3repE0EEENS1_30default_config_static_selectorELNS0_4arch9wavefront6targetE0EEEvT1_
                                        ; -- End function
	.set _ZN7rocprim17ROCPRIM_400000_NS6detail17trampoline_kernelINS0_14default_configENS1_25transform_config_selectorIN6thrust23THRUST_200600_302600_NS5tupleIffNS6_9null_typeES8_S8_S8_S8_S8_S8_S8_EELb0EEEZNS1_14transform_implILb0ES3_SA_PS9_NS6_6detail15normal_iteratorINS6_10device_ptrIS9_EEEENS0_8identityIS9_EEEE10hipError_tT2_T3_mT4_P12ihipStream_tbEUlT_E_NS1_11comp_targetILNS1_3genE0ELNS1_11target_archE4294967295ELNS1_3gpuE0ELNS1_3repE0EEENS1_30default_config_static_selectorELNS0_4arch9wavefront6targetE0EEEvT1_.num_vgpr, 4
	.set _ZN7rocprim17ROCPRIM_400000_NS6detail17trampoline_kernelINS0_14default_configENS1_25transform_config_selectorIN6thrust23THRUST_200600_302600_NS5tupleIffNS6_9null_typeES8_S8_S8_S8_S8_S8_S8_EELb0EEEZNS1_14transform_implILb0ES3_SA_PS9_NS6_6detail15normal_iteratorINS6_10device_ptrIS9_EEEENS0_8identityIS9_EEEE10hipError_tT2_T3_mT4_P12ihipStream_tbEUlT_E_NS1_11comp_targetILNS1_3genE0ELNS1_11target_archE4294967295ELNS1_3gpuE0ELNS1_3repE0EEENS1_30default_config_static_selectorELNS0_4arch9wavefront6targetE0EEEvT1_.num_agpr, 0
	.set _ZN7rocprim17ROCPRIM_400000_NS6detail17trampoline_kernelINS0_14default_configENS1_25transform_config_selectorIN6thrust23THRUST_200600_302600_NS5tupleIffNS6_9null_typeES8_S8_S8_S8_S8_S8_S8_EELb0EEEZNS1_14transform_implILb0ES3_SA_PS9_NS6_6detail15normal_iteratorINS6_10device_ptrIS9_EEEENS0_8identityIS9_EEEE10hipError_tT2_T3_mT4_P12ihipStream_tbEUlT_E_NS1_11comp_targetILNS1_3genE0ELNS1_11target_archE4294967295ELNS1_3gpuE0ELNS1_3repE0EEENS1_30default_config_static_selectorELNS0_4arch9wavefront6targetE0EEEvT1_.numbered_sgpr, 12
	.set _ZN7rocprim17ROCPRIM_400000_NS6detail17trampoline_kernelINS0_14default_configENS1_25transform_config_selectorIN6thrust23THRUST_200600_302600_NS5tupleIffNS6_9null_typeES8_S8_S8_S8_S8_S8_S8_EELb0EEEZNS1_14transform_implILb0ES3_SA_PS9_NS6_6detail15normal_iteratorINS6_10device_ptrIS9_EEEENS0_8identityIS9_EEEE10hipError_tT2_T3_mT4_P12ihipStream_tbEUlT_E_NS1_11comp_targetILNS1_3genE0ELNS1_11target_archE4294967295ELNS1_3gpuE0ELNS1_3repE0EEENS1_30default_config_static_selectorELNS0_4arch9wavefront6targetE0EEEvT1_.num_named_barrier, 0
	.set _ZN7rocprim17ROCPRIM_400000_NS6detail17trampoline_kernelINS0_14default_configENS1_25transform_config_selectorIN6thrust23THRUST_200600_302600_NS5tupleIffNS6_9null_typeES8_S8_S8_S8_S8_S8_S8_EELb0EEEZNS1_14transform_implILb0ES3_SA_PS9_NS6_6detail15normal_iteratorINS6_10device_ptrIS9_EEEENS0_8identityIS9_EEEE10hipError_tT2_T3_mT4_P12ihipStream_tbEUlT_E_NS1_11comp_targetILNS1_3genE0ELNS1_11target_archE4294967295ELNS1_3gpuE0ELNS1_3repE0EEENS1_30default_config_static_selectorELNS0_4arch9wavefront6targetE0EEEvT1_.private_seg_size, 0
	.set _ZN7rocprim17ROCPRIM_400000_NS6detail17trampoline_kernelINS0_14default_configENS1_25transform_config_selectorIN6thrust23THRUST_200600_302600_NS5tupleIffNS6_9null_typeES8_S8_S8_S8_S8_S8_S8_EELb0EEEZNS1_14transform_implILb0ES3_SA_PS9_NS6_6detail15normal_iteratorINS6_10device_ptrIS9_EEEENS0_8identityIS9_EEEE10hipError_tT2_T3_mT4_P12ihipStream_tbEUlT_E_NS1_11comp_targetILNS1_3genE0ELNS1_11target_archE4294967295ELNS1_3gpuE0ELNS1_3repE0EEENS1_30default_config_static_selectorELNS0_4arch9wavefront6targetE0EEEvT1_.uses_vcc, 1
	.set _ZN7rocprim17ROCPRIM_400000_NS6detail17trampoline_kernelINS0_14default_configENS1_25transform_config_selectorIN6thrust23THRUST_200600_302600_NS5tupleIffNS6_9null_typeES8_S8_S8_S8_S8_S8_S8_EELb0EEEZNS1_14transform_implILb0ES3_SA_PS9_NS6_6detail15normal_iteratorINS6_10device_ptrIS9_EEEENS0_8identityIS9_EEEE10hipError_tT2_T3_mT4_P12ihipStream_tbEUlT_E_NS1_11comp_targetILNS1_3genE0ELNS1_11target_archE4294967295ELNS1_3gpuE0ELNS1_3repE0EEENS1_30default_config_static_selectorELNS0_4arch9wavefront6targetE0EEEvT1_.uses_flat_scratch, 0
	.set _ZN7rocprim17ROCPRIM_400000_NS6detail17trampoline_kernelINS0_14default_configENS1_25transform_config_selectorIN6thrust23THRUST_200600_302600_NS5tupleIffNS6_9null_typeES8_S8_S8_S8_S8_S8_S8_EELb0EEEZNS1_14transform_implILb0ES3_SA_PS9_NS6_6detail15normal_iteratorINS6_10device_ptrIS9_EEEENS0_8identityIS9_EEEE10hipError_tT2_T3_mT4_P12ihipStream_tbEUlT_E_NS1_11comp_targetILNS1_3genE0ELNS1_11target_archE4294967295ELNS1_3gpuE0ELNS1_3repE0EEENS1_30default_config_static_selectorELNS0_4arch9wavefront6targetE0EEEvT1_.has_dyn_sized_stack, 0
	.set _ZN7rocprim17ROCPRIM_400000_NS6detail17trampoline_kernelINS0_14default_configENS1_25transform_config_selectorIN6thrust23THRUST_200600_302600_NS5tupleIffNS6_9null_typeES8_S8_S8_S8_S8_S8_S8_EELb0EEEZNS1_14transform_implILb0ES3_SA_PS9_NS6_6detail15normal_iteratorINS6_10device_ptrIS9_EEEENS0_8identityIS9_EEEE10hipError_tT2_T3_mT4_P12ihipStream_tbEUlT_E_NS1_11comp_targetILNS1_3genE0ELNS1_11target_archE4294967295ELNS1_3gpuE0ELNS1_3repE0EEENS1_30default_config_static_selectorELNS0_4arch9wavefront6targetE0EEEvT1_.has_recursion, 0
	.set _ZN7rocprim17ROCPRIM_400000_NS6detail17trampoline_kernelINS0_14default_configENS1_25transform_config_selectorIN6thrust23THRUST_200600_302600_NS5tupleIffNS6_9null_typeES8_S8_S8_S8_S8_S8_S8_EELb0EEEZNS1_14transform_implILb0ES3_SA_PS9_NS6_6detail15normal_iteratorINS6_10device_ptrIS9_EEEENS0_8identityIS9_EEEE10hipError_tT2_T3_mT4_P12ihipStream_tbEUlT_E_NS1_11comp_targetILNS1_3genE0ELNS1_11target_archE4294967295ELNS1_3gpuE0ELNS1_3repE0EEENS1_30default_config_static_selectorELNS0_4arch9wavefront6targetE0EEEvT1_.has_indirect_call, 0
	.section	.AMDGPU.csdata,"",@progbits
; Kernel info:
; codeLenInByte = 248
; TotalNumSgprs: 14
; NumVgprs: 4
; ScratchSize: 0
; MemoryBound: 0
; FloatMode: 240
; IeeeMode: 1
; LDSByteSize: 0 bytes/workgroup (compile time only)
; SGPRBlocks: 0
; VGPRBlocks: 0
; NumSGPRsForWavesPerEU: 14
; NumVGPRsForWavesPerEU: 4
; NamedBarCnt: 0
; Occupancy: 16
; WaveLimiterHint : 0
; COMPUTE_PGM_RSRC2:SCRATCH_EN: 0
; COMPUTE_PGM_RSRC2:USER_SGPR: 2
; COMPUTE_PGM_RSRC2:TRAP_HANDLER: 0
; COMPUTE_PGM_RSRC2:TGID_X_EN: 1
; COMPUTE_PGM_RSRC2:TGID_Y_EN: 0
; COMPUTE_PGM_RSRC2:TGID_Z_EN: 0
; COMPUTE_PGM_RSRC2:TIDIG_COMP_CNT: 0
	.section	.text._ZN7rocprim17ROCPRIM_400000_NS6detail17trampoline_kernelINS0_14default_configENS1_25transform_config_selectorIN6thrust23THRUST_200600_302600_NS5tupleIffNS6_9null_typeES8_S8_S8_S8_S8_S8_S8_EELb0EEEZNS1_14transform_implILb0ES3_SA_PS9_NS6_6detail15normal_iteratorINS6_10device_ptrIS9_EEEENS0_8identityIS9_EEEE10hipError_tT2_T3_mT4_P12ihipStream_tbEUlT_E_NS1_11comp_targetILNS1_3genE5ELNS1_11target_archE942ELNS1_3gpuE9ELNS1_3repE0EEENS1_30default_config_static_selectorELNS0_4arch9wavefront6targetE0EEEvT1_,"axG",@progbits,_ZN7rocprim17ROCPRIM_400000_NS6detail17trampoline_kernelINS0_14default_configENS1_25transform_config_selectorIN6thrust23THRUST_200600_302600_NS5tupleIffNS6_9null_typeES8_S8_S8_S8_S8_S8_S8_EELb0EEEZNS1_14transform_implILb0ES3_SA_PS9_NS6_6detail15normal_iteratorINS6_10device_ptrIS9_EEEENS0_8identityIS9_EEEE10hipError_tT2_T3_mT4_P12ihipStream_tbEUlT_E_NS1_11comp_targetILNS1_3genE5ELNS1_11target_archE942ELNS1_3gpuE9ELNS1_3repE0EEENS1_30default_config_static_selectorELNS0_4arch9wavefront6targetE0EEEvT1_,comdat
	.protected	_ZN7rocprim17ROCPRIM_400000_NS6detail17trampoline_kernelINS0_14default_configENS1_25transform_config_selectorIN6thrust23THRUST_200600_302600_NS5tupleIffNS6_9null_typeES8_S8_S8_S8_S8_S8_S8_EELb0EEEZNS1_14transform_implILb0ES3_SA_PS9_NS6_6detail15normal_iteratorINS6_10device_ptrIS9_EEEENS0_8identityIS9_EEEE10hipError_tT2_T3_mT4_P12ihipStream_tbEUlT_E_NS1_11comp_targetILNS1_3genE5ELNS1_11target_archE942ELNS1_3gpuE9ELNS1_3repE0EEENS1_30default_config_static_selectorELNS0_4arch9wavefront6targetE0EEEvT1_ ; -- Begin function _ZN7rocprim17ROCPRIM_400000_NS6detail17trampoline_kernelINS0_14default_configENS1_25transform_config_selectorIN6thrust23THRUST_200600_302600_NS5tupleIffNS6_9null_typeES8_S8_S8_S8_S8_S8_S8_EELb0EEEZNS1_14transform_implILb0ES3_SA_PS9_NS6_6detail15normal_iteratorINS6_10device_ptrIS9_EEEENS0_8identityIS9_EEEE10hipError_tT2_T3_mT4_P12ihipStream_tbEUlT_E_NS1_11comp_targetILNS1_3genE5ELNS1_11target_archE942ELNS1_3gpuE9ELNS1_3repE0EEENS1_30default_config_static_selectorELNS0_4arch9wavefront6targetE0EEEvT1_
	.globl	_ZN7rocprim17ROCPRIM_400000_NS6detail17trampoline_kernelINS0_14default_configENS1_25transform_config_selectorIN6thrust23THRUST_200600_302600_NS5tupleIffNS6_9null_typeES8_S8_S8_S8_S8_S8_S8_EELb0EEEZNS1_14transform_implILb0ES3_SA_PS9_NS6_6detail15normal_iteratorINS6_10device_ptrIS9_EEEENS0_8identityIS9_EEEE10hipError_tT2_T3_mT4_P12ihipStream_tbEUlT_E_NS1_11comp_targetILNS1_3genE5ELNS1_11target_archE942ELNS1_3gpuE9ELNS1_3repE0EEENS1_30default_config_static_selectorELNS0_4arch9wavefront6targetE0EEEvT1_
	.p2align	8
	.type	_ZN7rocprim17ROCPRIM_400000_NS6detail17trampoline_kernelINS0_14default_configENS1_25transform_config_selectorIN6thrust23THRUST_200600_302600_NS5tupleIffNS6_9null_typeES8_S8_S8_S8_S8_S8_S8_EELb0EEEZNS1_14transform_implILb0ES3_SA_PS9_NS6_6detail15normal_iteratorINS6_10device_ptrIS9_EEEENS0_8identityIS9_EEEE10hipError_tT2_T3_mT4_P12ihipStream_tbEUlT_E_NS1_11comp_targetILNS1_3genE5ELNS1_11target_archE942ELNS1_3gpuE9ELNS1_3repE0EEENS1_30default_config_static_selectorELNS0_4arch9wavefront6targetE0EEEvT1_,@function
_ZN7rocprim17ROCPRIM_400000_NS6detail17trampoline_kernelINS0_14default_configENS1_25transform_config_selectorIN6thrust23THRUST_200600_302600_NS5tupleIffNS6_9null_typeES8_S8_S8_S8_S8_S8_S8_EELb0EEEZNS1_14transform_implILb0ES3_SA_PS9_NS6_6detail15normal_iteratorINS6_10device_ptrIS9_EEEENS0_8identityIS9_EEEE10hipError_tT2_T3_mT4_P12ihipStream_tbEUlT_E_NS1_11comp_targetILNS1_3genE5ELNS1_11target_archE942ELNS1_3gpuE9ELNS1_3repE0EEENS1_30default_config_static_selectorELNS0_4arch9wavefront6targetE0EEEvT1_: ; @_ZN7rocprim17ROCPRIM_400000_NS6detail17trampoline_kernelINS0_14default_configENS1_25transform_config_selectorIN6thrust23THRUST_200600_302600_NS5tupleIffNS6_9null_typeES8_S8_S8_S8_S8_S8_S8_EELb0EEEZNS1_14transform_implILb0ES3_SA_PS9_NS6_6detail15normal_iteratorINS6_10device_ptrIS9_EEEENS0_8identityIS9_EEEE10hipError_tT2_T3_mT4_P12ihipStream_tbEUlT_E_NS1_11comp_targetILNS1_3genE5ELNS1_11target_archE942ELNS1_3gpuE9ELNS1_3repE0EEENS1_30default_config_static_selectorELNS0_4arch9wavefront6targetE0EEEvT1_
; %bb.0:
	.section	.rodata,"a",@progbits
	.p2align	6, 0x0
	.amdhsa_kernel _ZN7rocprim17ROCPRIM_400000_NS6detail17trampoline_kernelINS0_14default_configENS1_25transform_config_selectorIN6thrust23THRUST_200600_302600_NS5tupleIffNS6_9null_typeES8_S8_S8_S8_S8_S8_S8_EELb0EEEZNS1_14transform_implILb0ES3_SA_PS9_NS6_6detail15normal_iteratorINS6_10device_ptrIS9_EEEENS0_8identityIS9_EEEE10hipError_tT2_T3_mT4_P12ihipStream_tbEUlT_E_NS1_11comp_targetILNS1_3genE5ELNS1_11target_archE942ELNS1_3gpuE9ELNS1_3repE0EEENS1_30default_config_static_selectorELNS0_4arch9wavefront6targetE0EEEvT1_
		.amdhsa_group_segment_fixed_size 0
		.amdhsa_private_segment_fixed_size 0
		.amdhsa_kernarg_size 40
		.amdhsa_user_sgpr_count 2
		.amdhsa_user_sgpr_dispatch_ptr 0
		.amdhsa_user_sgpr_queue_ptr 0
		.amdhsa_user_sgpr_kernarg_segment_ptr 1
		.amdhsa_user_sgpr_dispatch_id 0
		.amdhsa_user_sgpr_kernarg_preload_length 0
		.amdhsa_user_sgpr_kernarg_preload_offset 0
		.amdhsa_user_sgpr_private_segment_size 0
		.amdhsa_wavefront_size32 1
		.amdhsa_uses_dynamic_stack 0
		.amdhsa_enable_private_segment 0
		.amdhsa_system_sgpr_workgroup_id_x 1
		.amdhsa_system_sgpr_workgroup_id_y 0
		.amdhsa_system_sgpr_workgroup_id_z 0
		.amdhsa_system_sgpr_workgroup_info 0
		.amdhsa_system_vgpr_workitem_id 0
		.amdhsa_next_free_vgpr 1
		.amdhsa_next_free_sgpr 1
		.amdhsa_named_barrier_count 0
		.amdhsa_reserve_vcc 0
		.amdhsa_float_round_mode_32 0
		.amdhsa_float_round_mode_16_64 0
		.amdhsa_float_denorm_mode_32 3
		.amdhsa_float_denorm_mode_16_64 3
		.amdhsa_fp16_overflow 0
		.amdhsa_memory_ordered 1
		.amdhsa_forward_progress 1
		.amdhsa_inst_pref_size 0
		.amdhsa_round_robin_scheduling 0
		.amdhsa_exception_fp_ieee_invalid_op 0
		.amdhsa_exception_fp_denorm_src 0
		.amdhsa_exception_fp_ieee_div_zero 0
		.amdhsa_exception_fp_ieee_overflow 0
		.amdhsa_exception_fp_ieee_underflow 0
		.amdhsa_exception_fp_ieee_inexact 0
		.amdhsa_exception_int_div_zero 0
	.end_amdhsa_kernel
	.section	.text._ZN7rocprim17ROCPRIM_400000_NS6detail17trampoline_kernelINS0_14default_configENS1_25transform_config_selectorIN6thrust23THRUST_200600_302600_NS5tupleIffNS6_9null_typeES8_S8_S8_S8_S8_S8_S8_EELb0EEEZNS1_14transform_implILb0ES3_SA_PS9_NS6_6detail15normal_iteratorINS6_10device_ptrIS9_EEEENS0_8identityIS9_EEEE10hipError_tT2_T3_mT4_P12ihipStream_tbEUlT_E_NS1_11comp_targetILNS1_3genE5ELNS1_11target_archE942ELNS1_3gpuE9ELNS1_3repE0EEENS1_30default_config_static_selectorELNS0_4arch9wavefront6targetE0EEEvT1_,"axG",@progbits,_ZN7rocprim17ROCPRIM_400000_NS6detail17trampoline_kernelINS0_14default_configENS1_25transform_config_selectorIN6thrust23THRUST_200600_302600_NS5tupleIffNS6_9null_typeES8_S8_S8_S8_S8_S8_S8_EELb0EEEZNS1_14transform_implILb0ES3_SA_PS9_NS6_6detail15normal_iteratorINS6_10device_ptrIS9_EEEENS0_8identityIS9_EEEE10hipError_tT2_T3_mT4_P12ihipStream_tbEUlT_E_NS1_11comp_targetILNS1_3genE5ELNS1_11target_archE942ELNS1_3gpuE9ELNS1_3repE0EEENS1_30default_config_static_selectorELNS0_4arch9wavefront6targetE0EEEvT1_,comdat
.Lfunc_end83:
	.size	_ZN7rocprim17ROCPRIM_400000_NS6detail17trampoline_kernelINS0_14default_configENS1_25transform_config_selectorIN6thrust23THRUST_200600_302600_NS5tupleIffNS6_9null_typeES8_S8_S8_S8_S8_S8_S8_EELb0EEEZNS1_14transform_implILb0ES3_SA_PS9_NS6_6detail15normal_iteratorINS6_10device_ptrIS9_EEEENS0_8identityIS9_EEEE10hipError_tT2_T3_mT4_P12ihipStream_tbEUlT_E_NS1_11comp_targetILNS1_3genE5ELNS1_11target_archE942ELNS1_3gpuE9ELNS1_3repE0EEENS1_30default_config_static_selectorELNS0_4arch9wavefront6targetE0EEEvT1_, .Lfunc_end83-_ZN7rocprim17ROCPRIM_400000_NS6detail17trampoline_kernelINS0_14default_configENS1_25transform_config_selectorIN6thrust23THRUST_200600_302600_NS5tupleIffNS6_9null_typeES8_S8_S8_S8_S8_S8_S8_EELb0EEEZNS1_14transform_implILb0ES3_SA_PS9_NS6_6detail15normal_iteratorINS6_10device_ptrIS9_EEEENS0_8identityIS9_EEEE10hipError_tT2_T3_mT4_P12ihipStream_tbEUlT_E_NS1_11comp_targetILNS1_3genE5ELNS1_11target_archE942ELNS1_3gpuE9ELNS1_3repE0EEENS1_30default_config_static_selectorELNS0_4arch9wavefront6targetE0EEEvT1_
                                        ; -- End function
	.set _ZN7rocprim17ROCPRIM_400000_NS6detail17trampoline_kernelINS0_14default_configENS1_25transform_config_selectorIN6thrust23THRUST_200600_302600_NS5tupleIffNS6_9null_typeES8_S8_S8_S8_S8_S8_S8_EELb0EEEZNS1_14transform_implILb0ES3_SA_PS9_NS6_6detail15normal_iteratorINS6_10device_ptrIS9_EEEENS0_8identityIS9_EEEE10hipError_tT2_T3_mT4_P12ihipStream_tbEUlT_E_NS1_11comp_targetILNS1_3genE5ELNS1_11target_archE942ELNS1_3gpuE9ELNS1_3repE0EEENS1_30default_config_static_selectorELNS0_4arch9wavefront6targetE0EEEvT1_.num_vgpr, 0
	.set _ZN7rocprim17ROCPRIM_400000_NS6detail17trampoline_kernelINS0_14default_configENS1_25transform_config_selectorIN6thrust23THRUST_200600_302600_NS5tupleIffNS6_9null_typeES8_S8_S8_S8_S8_S8_S8_EELb0EEEZNS1_14transform_implILb0ES3_SA_PS9_NS6_6detail15normal_iteratorINS6_10device_ptrIS9_EEEENS0_8identityIS9_EEEE10hipError_tT2_T3_mT4_P12ihipStream_tbEUlT_E_NS1_11comp_targetILNS1_3genE5ELNS1_11target_archE942ELNS1_3gpuE9ELNS1_3repE0EEENS1_30default_config_static_selectorELNS0_4arch9wavefront6targetE0EEEvT1_.num_agpr, 0
	.set _ZN7rocprim17ROCPRIM_400000_NS6detail17trampoline_kernelINS0_14default_configENS1_25transform_config_selectorIN6thrust23THRUST_200600_302600_NS5tupleIffNS6_9null_typeES8_S8_S8_S8_S8_S8_S8_EELb0EEEZNS1_14transform_implILb0ES3_SA_PS9_NS6_6detail15normal_iteratorINS6_10device_ptrIS9_EEEENS0_8identityIS9_EEEE10hipError_tT2_T3_mT4_P12ihipStream_tbEUlT_E_NS1_11comp_targetILNS1_3genE5ELNS1_11target_archE942ELNS1_3gpuE9ELNS1_3repE0EEENS1_30default_config_static_selectorELNS0_4arch9wavefront6targetE0EEEvT1_.numbered_sgpr, 0
	.set _ZN7rocprim17ROCPRIM_400000_NS6detail17trampoline_kernelINS0_14default_configENS1_25transform_config_selectorIN6thrust23THRUST_200600_302600_NS5tupleIffNS6_9null_typeES8_S8_S8_S8_S8_S8_S8_EELb0EEEZNS1_14transform_implILb0ES3_SA_PS9_NS6_6detail15normal_iteratorINS6_10device_ptrIS9_EEEENS0_8identityIS9_EEEE10hipError_tT2_T3_mT4_P12ihipStream_tbEUlT_E_NS1_11comp_targetILNS1_3genE5ELNS1_11target_archE942ELNS1_3gpuE9ELNS1_3repE0EEENS1_30default_config_static_selectorELNS0_4arch9wavefront6targetE0EEEvT1_.num_named_barrier, 0
	.set _ZN7rocprim17ROCPRIM_400000_NS6detail17trampoline_kernelINS0_14default_configENS1_25transform_config_selectorIN6thrust23THRUST_200600_302600_NS5tupleIffNS6_9null_typeES8_S8_S8_S8_S8_S8_S8_EELb0EEEZNS1_14transform_implILb0ES3_SA_PS9_NS6_6detail15normal_iteratorINS6_10device_ptrIS9_EEEENS0_8identityIS9_EEEE10hipError_tT2_T3_mT4_P12ihipStream_tbEUlT_E_NS1_11comp_targetILNS1_3genE5ELNS1_11target_archE942ELNS1_3gpuE9ELNS1_3repE0EEENS1_30default_config_static_selectorELNS0_4arch9wavefront6targetE0EEEvT1_.private_seg_size, 0
	.set _ZN7rocprim17ROCPRIM_400000_NS6detail17trampoline_kernelINS0_14default_configENS1_25transform_config_selectorIN6thrust23THRUST_200600_302600_NS5tupleIffNS6_9null_typeES8_S8_S8_S8_S8_S8_S8_EELb0EEEZNS1_14transform_implILb0ES3_SA_PS9_NS6_6detail15normal_iteratorINS6_10device_ptrIS9_EEEENS0_8identityIS9_EEEE10hipError_tT2_T3_mT4_P12ihipStream_tbEUlT_E_NS1_11comp_targetILNS1_3genE5ELNS1_11target_archE942ELNS1_3gpuE9ELNS1_3repE0EEENS1_30default_config_static_selectorELNS0_4arch9wavefront6targetE0EEEvT1_.uses_vcc, 0
	.set _ZN7rocprim17ROCPRIM_400000_NS6detail17trampoline_kernelINS0_14default_configENS1_25transform_config_selectorIN6thrust23THRUST_200600_302600_NS5tupleIffNS6_9null_typeES8_S8_S8_S8_S8_S8_S8_EELb0EEEZNS1_14transform_implILb0ES3_SA_PS9_NS6_6detail15normal_iteratorINS6_10device_ptrIS9_EEEENS0_8identityIS9_EEEE10hipError_tT2_T3_mT4_P12ihipStream_tbEUlT_E_NS1_11comp_targetILNS1_3genE5ELNS1_11target_archE942ELNS1_3gpuE9ELNS1_3repE0EEENS1_30default_config_static_selectorELNS0_4arch9wavefront6targetE0EEEvT1_.uses_flat_scratch, 0
	.set _ZN7rocprim17ROCPRIM_400000_NS6detail17trampoline_kernelINS0_14default_configENS1_25transform_config_selectorIN6thrust23THRUST_200600_302600_NS5tupleIffNS6_9null_typeES8_S8_S8_S8_S8_S8_S8_EELb0EEEZNS1_14transform_implILb0ES3_SA_PS9_NS6_6detail15normal_iteratorINS6_10device_ptrIS9_EEEENS0_8identityIS9_EEEE10hipError_tT2_T3_mT4_P12ihipStream_tbEUlT_E_NS1_11comp_targetILNS1_3genE5ELNS1_11target_archE942ELNS1_3gpuE9ELNS1_3repE0EEENS1_30default_config_static_selectorELNS0_4arch9wavefront6targetE0EEEvT1_.has_dyn_sized_stack, 0
	.set _ZN7rocprim17ROCPRIM_400000_NS6detail17trampoline_kernelINS0_14default_configENS1_25transform_config_selectorIN6thrust23THRUST_200600_302600_NS5tupleIffNS6_9null_typeES8_S8_S8_S8_S8_S8_S8_EELb0EEEZNS1_14transform_implILb0ES3_SA_PS9_NS6_6detail15normal_iteratorINS6_10device_ptrIS9_EEEENS0_8identityIS9_EEEE10hipError_tT2_T3_mT4_P12ihipStream_tbEUlT_E_NS1_11comp_targetILNS1_3genE5ELNS1_11target_archE942ELNS1_3gpuE9ELNS1_3repE0EEENS1_30default_config_static_selectorELNS0_4arch9wavefront6targetE0EEEvT1_.has_recursion, 0
	.set _ZN7rocprim17ROCPRIM_400000_NS6detail17trampoline_kernelINS0_14default_configENS1_25transform_config_selectorIN6thrust23THRUST_200600_302600_NS5tupleIffNS6_9null_typeES8_S8_S8_S8_S8_S8_S8_EELb0EEEZNS1_14transform_implILb0ES3_SA_PS9_NS6_6detail15normal_iteratorINS6_10device_ptrIS9_EEEENS0_8identityIS9_EEEE10hipError_tT2_T3_mT4_P12ihipStream_tbEUlT_E_NS1_11comp_targetILNS1_3genE5ELNS1_11target_archE942ELNS1_3gpuE9ELNS1_3repE0EEENS1_30default_config_static_selectorELNS0_4arch9wavefront6targetE0EEEvT1_.has_indirect_call, 0
	.section	.AMDGPU.csdata,"",@progbits
; Kernel info:
; codeLenInByte = 0
; TotalNumSgprs: 0
; NumVgprs: 0
; ScratchSize: 0
; MemoryBound: 0
; FloatMode: 240
; IeeeMode: 1
; LDSByteSize: 0 bytes/workgroup (compile time only)
; SGPRBlocks: 0
; VGPRBlocks: 0
; NumSGPRsForWavesPerEU: 1
; NumVGPRsForWavesPerEU: 1
; NamedBarCnt: 0
; Occupancy: 16
; WaveLimiterHint : 0
; COMPUTE_PGM_RSRC2:SCRATCH_EN: 0
; COMPUTE_PGM_RSRC2:USER_SGPR: 2
; COMPUTE_PGM_RSRC2:TRAP_HANDLER: 0
; COMPUTE_PGM_RSRC2:TGID_X_EN: 1
; COMPUTE_PGM_RSRC2:TGID_Y_EN: 0
; COMPUTE_PGM_RSRC2:TGID_Z_EN: 0
; COMPUTE_PGM_RSRC2:TIDIG_COMP_CNT: 0
	.section	.text._ZN7rocprim17ROCPRIM_400000_NS6detail17trampoline_kernelINS0_14default_configENS1_25transform_config_selectorIN6thrust23THRUST_200600_302600_NS5tupleIffNS6_9null_typeES8_S8_S8_S8_S8_S8_S8_EELb0EEEZNS1_14transform_implILb0ES3_SA_PS9_NS6_6detail15normal_iteratorINS6_10device_ptrIS9_EEEENS0_8identityIS9_EEEE10hipError_tT2_T3_mT4_P12ihipStream_tbEUlT_E_NS1_11comp_targetILNS1_3genE4ELNS1_11target_archE910ELNS1_3gpuE8ELNS1_3repE0EEENS1_30default_config_static_selectorELNS0_4arch9wavefront6targetE0EEEvT1_,"axG",@progbits,_ZN7rocprim17ROCPRIM_400000_NS6detail17trampoline_kernelINS0_14default_configENS1_25transform_config_selectorIN6thrust23THRUST_200600_302600_NS5tupleIffNS6_9null_typeES8_S8_S8_S8_S8_S8_S8_EELb0EEEZNS1_14transform_implILb0ES3_SA_PS9_NS6_6detail15normal_iteratorINS6_10device_ptrIS9_EEEENS0_8identityIS9_EEEE10hipError_tT2_T3_mT4_P12ihipStream_tbEUlT_E_NS1_11comp_targetILNS1_3genE4ELNS1_11target_archE910ELNS1_3gpuE8ELNS1_3repE0EEENS1_30default_config_static_selectorELNS0_4arch9wavefront6targetE0EEEvT1_,comdat
	.protected	_ZN7rocprim17ROCPRIM_400000_NS6detail17trampoline_kernelINS0_14default_configENS1_25transform_config_selectorIN6thrust23THRUST_200600_302600_NS5tupleIffNS6_9null_typeES8_S8_S8_S8_S8_S8_S8_EELb0EEEZNS1_14transform_implILb0ES3_SA_PS9_NS6_6detail15normal_iteratorINS6_10device_ptrIS9_EEEENS0_8identityIS9_EEEE10hipError_tT2_T3_mT4_P12ihipStream_tbEUlT_E_NS1_11comp_targetILNS1_3genE4ELNS1_11target_archE910ELNS1_3gpuE8ELNS1_3repE0EEENS1_30default_config_static_selectorELNS0_4arch9wavefront6targetE0EEEvT1_ ; -- Begin function _ZN7rocprim17ROCPRIM_400000_NS6detail17trampoline_kernelINS0_14default_configENS1_25transform_config_selectorIN6thrust23THRUST_200600_302600_NS5tupleIffNS6_9null_typeES8_S8_S8_S8_S8_S8_S8_EELb0EEEZNS1_14transform_implILb0ES3_SA_PS9_NS6_6detail15normal_iteratorINS6_10device_ptrIS9_EEEENS0_8identityIS9_EEEE10hipError_tT2_T3_mT4_P12ihipStream_tbEUlT_E_NS1_11comp_targetILNS1_3genE4ELNS1_11target_archE910ELNS1_3gpuE8ELNS1_3repE0EEENS1_30default_config_static_selectorELNS0_4arch9wavefront6targetE0EEEvT1_
	.globl	_ZN7rocprim17ROCPRIM_400000_NS6detail17trampoline_kernelINS0_14default_configENS1_25transform_config_selectorIN6thrust23THRUST_200600_302600_NS5tupleIffNS6_9null_typeES8_S8_S8_S8_S8_S8_S8_EELb0EEEZNS1_14transform_implILb0ES3_SA_PS9_NS6_6detail15normal_iteratorINS6_10device_ptrIS9_EEEENS0_8identityIS9_EEEE10hipError_tT2_T3_mT4_P12ihipStream_tbEUlT_E_NS1_11comp_targetILNS1_3genE4ELNS1_11target_archE910ELNS1_3gpuE8ELNS1_3repE0EEENS1_30default_config_static_selectorELNS0_4arch9wavefront6targetE0EEEvT1_
	.p2align	8
	.type	_ZN7rocprim17ROCPRIM_400000_NS6detail17trampoline_kernelINS0_14default_configENS1_25transform_config_selectorIN6thrust23THRUST_200600_302600_NS5tupleIffNS6_9null_typeES8_S8_S8_S8_S8_S8_S8_EELb0EEEZNS1_14transform_implILb0ES3_SA_PS9_NS6_6detail15normal_iteratorINS6_10device_ptrIS9_EEEENS0_8identityIS9_EEEE10hipError_tT2_T3_mT4_P12ihipStream_tbEUlT_E_NS1_11comp_targetILNS1_3genE4ELNS1_11target_archE910ELNS1_3gpuE8ELNS1_3repE0EEENS1_30default_config_static_selectorELNS0_4arch9wavefront6targetE0EEEvT1_,@function
_ZN7rocprim17ROCPRIM_400000_NS6detail17trampoline_kernelINS0_14default_configENS1_25transform_config_selectorIN6thrust23THRUST_200600_302600_NS5tupleIffNS6_9null_typeES8_S8_S8_S8_S8_S8_S8_EELb0EEEZNS1_14transform_implILb0ES3_SA_PS9_NS6_6detail15normal_iteratorINS6_10device_ptrIS9_EEEENS0_8identityIS9_EEEE10hipError_tT2_T3_mT4_P12ihipStream_tbEUlT_E_NS1_11comp_targetILNS1_3genE4ELNS1_11target_archE910ELNS1_3gpuE8ELNS1_3repE0EEENS1_30default_config_static_selectorELNS0_4arch9wavefront6targetE0EEEvT1_: ; @_ZN7rocprim17ROCPRIM_400000_NS6detail17trampoline_kernelINS0_14default_configENS1_25transform_config_selectorIN6thrust23THRUST_200600_302600_NS5tupleIffNS6_9null_typeES8_S8_S8_S8_S8_S8_S8_EELb0EEEZNS1_14transform_implILb0ES3_SA_PS9_NS6_6detail15normal_iteratorINS6_10device_ptrIS9_EEEENS0_8identityIS9_EEEE10hipError_tT2_T3_mT4_P12ihipStream_tbEUlT_E_NS1_11comp_targetILNS1_3genE4ELNS1_11target_archE910ELNS1_3gpuE8ELNS1_3repE0EEENS1_30default_config_static_selectorELNS0_4arch9wavefront6targetE0EEEvT1_
; %bb.0:
	.section	.rodata,"a",@progbits
	.p2align	6, 0x0
	.amdhsa_kernel _ZN7rocprim17ROCPRIM_400000_NS6detail17trampoline_kernelINS0_14default_configENS1_25transform_config_selectorIN6thrust23THRUST_200600_302600_NS5tupleIffNS6_9null_typeES8_S8_S8_S8_S8_S8_S8_EELb0EEEZNS1_14transform_implILb0ES3_SA_PS9_NS6_6detail15normal_iteratorINS6_10device_ptrIS9_EEEENS0_8identityIS9_EEEE10hipError_tT2_T3_mT4_P12ihipStream_tbEUlT_E_NS1_11comp_targetILNS1_3genE4ELNS1_11target_archE910ELNS1_3gpuE8ELNS1_3repE0EEENS1_30default_config_static_selectorELNS0_4arch9wavefront6targetE0EEEvT1_
		.amdhsa_group_segment_fixed_size 0
		.amdhsa_private_segment_fixed_size 0
		.amdhsa_kernarg_size 40
		.amdhsa_user_sgpr_count 2
		.amdhsa_user_sgpr_dispatch_ptr 0
		.amdhsa_user_sgpr_queue_ptr 0
		.amdhsa_user_sgpr_kernarg_segment_ptr 1
		.amdhsa_user_sgpr_dispatch_id 0
		.amdhsa_user_sgpr_kernarg_preload_length 0
		.amdhsa_user_sgpr_kernarg_preload_offset 0
		.amdhsa_user_sgpr_private_segment_size 0
		.amdhsa_wavefront_size32 1
		.amdhsa_uses_dynamic_stack 0
		.amdhsa_enable_private_segment 0
		.amdhsa_system_sgpr_workgroup_id_x 1
		.amdhsa_system_sgpr_workgroup_id_y 0
		.amdhsa_system_sgpr_workgroup_id_z 0
		.amdhsa_system_sgpr_workgroup_info 0
		.amdhsa_system_vgpr_workitem_id 0
		.amdhsa_next_free_vgpr 1
		.amdhsa_next_free_sgpr 1
		.amdhsa_named_barrier_count 0
		.amdhsa_reserve_vcc 0
		.amdhsa_float_round_mode_32 0
		.amdhsa_float_round_mode_16_64 0
		.amdhsa_float_denorm_mode_32 3
		.amdhsa_float_denorm_mode_16_64 3
		.amdhsa_fp16_overflow 0
		.amdhsa_memory_ordered 1
		.amdhsa_forward_progress 1
		.amdhsa_inst_pref_size 0
		.amdhsa_round_robin_scheduling 0
		.amdhsa_exception_fp_ieee_invalid_op 0
		.amdhsa_exception_fp_denorm_src 0
		.amdhsa_exception_fp_ieee_div_zero 0
		.amdhsa_exception_fp_ieee_overflow 0
		.amdhsa_exception_fp_ieee_underflow 0
		.amdhsa_exception_fp_ieee_inexact 0
		.amdhsa_exception_int_div_zero 0
	.end_amdhsa_kernel
	.section	.text._ZN7rocprim17ROCPRIM_400000_NS6detail17trampoline_kernelINS0_14default_configENS1_25transform_config_selectorIN6thrust23THRUST_200600_302600_NS5tupleIffNS6_9null_typeES8_S8_S8_S8_S8_S8_S8_EELb0EEEZNS1_14transform_implILb0ES3_SA_PS9_NS6_6detail15normal_iteratorINS6_10device_ptrIS9_EEEENS0_8identityIS9_EEEE10hipError_tT2_T3_mT4_P12ihipStream_tbEUlT_E_NS1_11comp_targetILNS1_3genE4ELNS1_11target_archE910ELNS1_3gpuE8ELNS1_3repE0EEENS1_30default_config_static_selectorELNS0_4arch9wavefront6targetE0EEEvT1_,"axG",@progbits,_ZN7rocprim17ROCPRIM_400000_NS6detail17trampoline_kernelINS0_14default_configENS1_25transform_config_selectorIN6thrust23THRUST_200600_302600_NS5tupleIffNS6_9null_typeES8_S8_S8_S8_S8_S8_S8_EELb0EEEZNS1_14transform_implILb0ES3_SA_PS9_NS6_6detail15normal_iteratorINS6_10device_ptrIS9_EEEENS0_8identityIS9_EEEE10hipError_tT2_T3_mT4_P12ihipStream_tbEUlT_E_NS1_11comp_targetILNS1_3genE4ELNS1_11target_archE910ELNS1_3gpuE8ELNS1_3repE0EEENS1_30default_config_static_selectorELNS0_4arch9wavefront6targetE0EEEvT1_,comdat
.Lfunc_end84:
	.size	_ZN7rocprim17ROCPRIM_400000_NS6detail17trampoline_kernelINS0_14default_configENS1_25transform_config_selectorIN6thrust23THRUST_200600_302600_NS5tupleIffNS6_9null_typeES8_S8_S8_S8_S8_S8_S8_EELb0EEEZNS1_14transform_implILb0ES3_SA_PS9_NS6_6detail15normal_iteratorINS6_10device_ptrIS9_EEEENS0_8identityIS9_EEEE10hipError_tT2_T3_mT4_P12ihipStream_tbEUlT_E_NS1_11comp_targetILNS1_3genE4ELNS1_11target_archE910ELNS1_3gpuE8ELNS1_3repE0EEENS1_30default_config_static_selectorELNS0_4arch9wavefront6targetE0EEEvT1_, .Lfunc_end84-_ZN7rocprim17ROCPRIM_400000_NS6detail17trampoline_kernelINS0_14default_configENS1_25transform_config_selectorIN6thrust23THRUST_200600_302600_NS5tupleIffNS6_9null_typeES8_S8_S8_S8_S8_S8_S8_EELb0EEEZNS1_14transform_implILb0ES3_SA_PS9_NS6_6detail15normal_iteratorINS6_10device_ptrIS9_EEEENS0_8identityIS9_EEEE10hipError_tT2_T3_mT4_P12ihipStream_tbEUlT_E_NS1_11comp_targetILNS1_3genE4ELNS1_11target_archE910ELNS1_3gpuE8ELNS1_3repE0EEENS1_30default_config_static_selectorELNS0_4arch9wavefront6targetE0EEEvT1_
                                        ; -- End function
	.set _ZN7rocprim17ROCPRIM_400000_NS6detail17trampoline_kernelINS0_14default_configENS1_25transform_config_selectorIN6thrust23THRUST_200600_302600_NS5tupleIffNS6_9null_typeES8_S8_S8_S8_S8_S8_S8_EELb0EEEZNS1_14transform_implILb0ES3_SA_PS9_NS6_6detail15normal_iteratorINS6_10device_ptrIS9_EEEENS0_8identityIS9_EEEE10hipError_tT2_T3_mT4_P12ihipStream_tbEUlT_E_NS1_11comp_targetILNS1_3genE4ELNS1_11target_archE910ELNS1_3gpuE8ELNS1_3repE0EEENS1_30default_config_static_selectorELNS0_4arch9wavefront6targetE0EEEvT1_.num_vgpr, 0
	.set _ZN7rocprim17ROCPRIM_400000_NS6detail17trampoline_kernelINS0_14default_configENS1_25transform_config_selectorIN6thrust23THRUST_200600_302600_NS5tupleIffNS6_9null_typeES8_S8_S8_S8_S8_S8_S8_EELb0EEEZNS1_14transform_implILb0ES3_SA_PS9_NS6_6detail15normal_iteratorINS6_10device_ptrIS9_EEEENS0_8identityIS9_EEEE10hipError_tT2_T3_mT4_P12ihipStream_tbEUlT_E_NS1_11comp_targetILNS1_3genE4ELNS1_11target_archE910ELNS1_3gpuE8ELNS1_3repE0EEENS1_30default_config_static_selectorELNS0_4arch9wavefront6targetE0EEEvT1_.num_agpr, 0
	.set _ZN7rocprim17ROCPRIM_400000_NS6detail17trampoline_kernelINS0_14default_configENS1_25transform_config_selectorIN6thrust23THRUST_200600_302600_NS5tupleIffNS6_9null_typeES8_S8_S8_S8_S8_S8_S8_EELb0EEEZNS1_14transform_implILb0ES3_SA_PS9_NS6_6detail15normal_iteratorINS6_10device_ptrIS9_EEEENS0_8identityIS9_EEEE10hipError_tT2_T3_mT4_P12ihipStream_tbEUlT_E_NS1_11comp_targetILNS1_3genE4ELNS1_11target_archE910ELNS1_3gpuE8ELNS1_3repE0EEENS1_30default_config_static_selectorELNS0_4arch9wavefront6targetE0EEEvT1_.numbered_sgpr, 0
	.set _ZN7rocprim17ROCPRIM_400000_NS6detail17trampoline_kernelINS0_14default_configENS1_25transform_config_selectorIN6thrust23THRUST_200600_302600_NS5tupleIffNS6_9null_typeES8_S8_S8_S8_S8_S8_S8_EELb0EEEZNS1_14transform_implILb0ES3_SA_PS9_NS6_6detail15normal_iteratorINS6_10device_ptrIS9_EEEENS0_8identityIS9_EEEE10hipError_tT2_T3_mT4_P12ihipStream_tbEUlT_E_NS1_11comp_targetILNS1_3genE4ELNS1_11target_archE910ELNS1_3gpuE8ELNS1_3repE0EEENS1_30default_config_static_selectorELNS0_4arch9wavefront6targetE0EEEvT1_.num_named_barrier, 0
	.set _ZN7rocprim17ROCPRIM_400000_NS6detail17trampoline_kernelINS0_14default_configENS1_25transform_config_selectorIN6thrust23THRUST_200600_302600_NS5tupleIffNS6_9null_typeES8_S8_S8_S8_S8_S8_S8_EELb0EEEZNS1_14transform_implILb0ES3_SA_PS9_NS6_6detail15normal_iteratorINS6_10device_ptrIS9_EEEENS0_8identityIS9_EEEE10hipError_tT2_T3_mT4_P12ihipStream_tbEUlT_E_NS1_11comp_targetILNS1_3genE4ELNS1_11target_archE910ELNS1_3gpuE8ELNS1_3repE0EEENS1_30default_config_static_selectorELNS0_4arch9wavefront6targetE0EEEvT1_.private_seg_size, 0
	.set _ZN7rocprim17ROCPRIM_400000_NS6detail17trampoline_kernelINS0_14default_configENS1_25transform_config_selectorIN6thrust23THRUST_200600_302600_NS5tupleIffNS6_9null_typeES8_S8_S8_S8_S8_S8_S8_EELb0EEEZNS1_14transform_implILb0ES3_SA_PS9_NS6_6detail15normal_iteratorINS6_10device_ptrIS9_EEEENS0_8identityIS9_EEEE10hipError_tT2_T3_mT4_P12ihipStream_tbEUlT_E_NS1_11comp_targetILNS1_3genE4ELNS1_11target_archE910ELNS1_3gpuE8ELNS1_3repE0EEENS1_30default_config_static_selectorELNS0_4arch9wavefront6targetE0EEEvT1_.uses_vcc, 0
	.set _ZN7rocprim17ROCPRIM_400000_NS6detail17trampoline_kernelINS0_14default_configENS1_25transform_config_selectorIN6thrust23THRUST_200600_302600_NS5tupleIffNS6_9null_typeES8_S8_S8_S8_S8_S8_S8_EELb0EEEZNS1_14transform_implILb0ES3_SA_PS9_NS6_6detail15normal_iteratorINS6_10device_ptrIS9_EEEENS0_8identityIS9_EEEE10hipError_tT2_T3_mT4_P12ihipStream_tbEUlT_E_NS1_11comp_targetILNS1_3genE4ELNS1_11target_archE910ELNS1_3gpuE8ELNS1_3repE0EEENS1_30default_config_static_selectorELNS0_4arch9wavefront6targetE0EEEvT1_.uses_flat_scratch, 0
	.set _ZN7rocprim17ROCPRIM_400000_NS6detail17trampoline_kernelINS0_14default_configENS1_25transform_config_selectorIN6thrust23THRUST_200600_302600_NS5tupleIffNS6_9null_typeES8_S8_S8_S8_S8_S8_S8_EELb0EEEZNS1_14transform_implILb0ES3_SA_PS9_NS6_6detail15normal_iteratorINS6_10device_ptrIS9_EEEENS0_8identityIS9_EEEE10hipError_tT2_T3_mT4_P12ihipStream_tbEUlT_E_NS1_11comp_targetILNS1_3genE4ELNS1_11target_archE910ELNS1_3gpuE8ELNS1_3repE0EEENS1_30default_config_static_selectorELNS0_4arch9wavefront6targetE0EEEvT1_.has_dyn_sized_stack, 0
	.set _ZN7rocprim17ROCPRIM_400000_NS6detail17trampoline_kernelINS0_14default_configENS1_25transform_config_selectorIN6thrust23THRUST_200600_302600_NS5tupleIffNS6_9null_typeES8_S8_S8_S8_S8_S8_S8_EELb0EEEZNS1_14transform_implILb0ES3_SA_PS9_NS6_6detail15normal_iteratorINS6_10device_ptrIS9_EEEENS0_8identityIS9_EEEE10hipError_tT2_T3_mT4_P12ihipStream_tbEUlT_E_NS1_11comp_targetILNS1_3genE4ELNS1_11target_archE910ELNS1_3gpuE8ELNS1_3repE0EEENS1_30default_config_static_selectorELNS0_4arch9wavefront6targetE0EEEvT1_.has_recursion, 0
	.set _ZN7rocprim17ROCPRIM_400000_NS6detail17trampoline_kernelINS0_14default_configENS1_25transform_config_selectorIN6thrust23THRUST_200600_302600_NS5tupleIffNS6_9null_typeES8_S8_S8_S8_S8_S8_S8_EELb0EEEZNS1_14transform_implILb0ES3_SA_PS9_NS6_6detail15normal_iteratorINS6_10device_ptrIS9_EEEENS0_8identityIS9_EEEE10hipError_tT2_T3_mT4_P12ihipStream_tbEUlT_E_NS1_11comp_targetILNS1_3genE4ELNS1_11target_archE910ELNS1_3gpuE8ELNS1_3repE0EEENS1_30default_config_static_selectorELNS0_4arch9wavefront6targetE0EEEvT1_.has_indirect_call, 0
	.section	.AMDGPU.csdata,"",@progbits
; Kernel info:
; codeLenInByte = 0
; TotalNumSgprs: 0
; NumVgprs: 0
; ScratchSize: 0
; MemoryBound: 0
; FloatMode: 240
; IeeeMode: 1
; LDSByteSize: 0 bytes/workgroup (compile time only)
; SGPRBlocks: 0
; VGPRBlocks: 0
; NumSGPRsForWavesPerEU: 1
; NumVGPRsForWavesPerEU: 1
; NamedBarCnt: 0
; Occupancy: 16
; WaveLimiterHint : 0
; COMPUTE_PGM_RSRC2:SCRATCH_EN: 0
; COMPUTE_PGM_RSRC2:USER_SGPR: 2
; COMPUTE_PGM_RSRC2:TRAP_HANDLER: 0
; COMPUTE_PGM_RSRC2:TGID_X_EN: 1
; COMPUTE_PGM_RSRC2:TGID_Y_EN: 0
; COMPUTE_PGM_RSRC2:TGID_Z_EN: 0
; COMPUTE_PGM_RSRC2:TIDIG_COMP_CNT: 0
	.section	.text._ZN7rocprim17ROCPRIM_400000_NS6detail17trampoline_kernelINS0_14default_configENS1_25transform_config_selectorIN6thrust23THRUST_200600_302600_NS5tupleIffNS6_9null_typeES8_S8_S8_S8_S8_S8_S8_EELb0EEEZNS1_14transform_implILb0ES3_SA_PS9_NS6_6detail15normal_iteratorINS6_10device_ptrIS9_EEEENS0_8identityIS9_EEEE10hipError_tT2_T3_mT4_P12ihipStream_tbEUlT_E_NS1_11comp_targetILNS1_3genE3ELNS1_11target_archE908ELNS1_3gpuE7ELNS1_3repE0EEENS1_30default_config_static_selectorELNS0_4arch9wavefront6targetE0EEEvT1_,"axG",@progbits,_ZN7rocprim17ROCPRIM_400000_NS6detail17trampoline_kernelINS0_14default_configENS1_25transform_config_selectorIN6thrust23THRUST_200600_302600_NS5tupleIffNS6_9null_typeES8_S8_S8_S8_S8_S8_S8_EELb0EEEZNS1_14transform_implILb0ES3_SA_PS9_NS6_6detail15normal_iteratorINS6_10device_ptrIS9_EEEENS0_8identityIS9_EEEE10hipError_tT2_T3_mT4_P12ihipStream_tbEUlT_E_NS1_11comp_targetILNS1_3genE3ELNS1_11target_archE908ELNS1_3gpuE7ELNS1_3repE0EEENS1_30default_config_static_selectorELNS0_4arch9wavefront6targetE0EEEvT1_,comdat
	.protected	_ZN7rocprim17ROCPRIM_400000_NS6detail17trampoline_kernelINS0_14default_configENS1_25transform_config_selectorIN6thrust23THRUST_200600_302600_NS5tupleIffNS6_9null_typeES8_S8_S8_S8_S8_S8_S8_EELb0EEEZNS1_14transform_implILb0ES3_SA_PS9_NS6_6detail15normal_iteratorINS6_10device_ptrIS9_EEEENS0_8identityIS9_EEEE10hipError_tT2_T3_mT4_P12ihipStream_tbEUlT_E_NS1_11comp_targetILNS1_3genE3ELNS1_11target_archE908ELNS1_3gpuE7ELNS1_3repE0EEENS1_30default_config_static_selectorELNS0_4arch9wavefront6targetE0EEEvT1_ ; -- Begin function _ZN7rocprim17ROCPRIM_400000_NS6detail17trampoline_kernelINS0_14default_configENS1_25transform_config_selectorIN6thrust23THRUST_200600_302600_NS5tupleIffNS6_9null_typeES8_S8_S8_S8_S8_S8_S8_EELb0EEEZNS1_14transform_implILb0ES3_SA_PS9_NS6_6detail15normal_iteratorINS6_10device_ptrIS9_EEEENS0_8identityIS9_EEEE10hipError_tT2_T3_mT4_P12ihipStream_tbEUlT_E_NS1_11comp_targetILNS1_3genE3ELNS1_11target_archE908ELNS1_3gpuE7ELNS1_3repE0EEENS1_30default_config_static_selectorELNS0_4arch9wavefront6targetE0EEEvT1_
	.globl	_ZN7rocprim17ROCPRIM_400000_NS6detail17trampoline_kernelINS0_14default_configENS1_25transform_config_selectorIN6thrust23THRUST_200600_302600_NS5tupleIffNS6_9null_typeES8_S8_S8_S8_S8_S8_S8_EELb0EEEZNS1_14transform_implILb0ES3_SA_PS9_NS6_6detail15normal_iteratorINS6_10device_ptrIS9_EEEENS0_8identityIS9_EEEE10hipError_tT2_T3_mT4_P12ihipStream_tbEUlT_E_NS1_11comp_targetILNS1_3genE3ELNS1_11target_archE908ELNS1_3gpuE7ELNS1_3repE0EEENS1_30default_config_static_selectorELNS0_4arch9wavefront6targetE0EEEvT1_
	.p2align	8
	.type	_ZN7rocprim17ROCPRIM_400000_NS6detail17trampoline_kernelINS0_14default_configENS1_25transform_config_selectorIN6thrust23THRUST_200600_302600_NS5tupleIffNS6_9null_typeES8_S8_S8_S8_S8_S8_S8_EELb0EEEZNS1_14transform_implILb0ES3_SA_PS9_NS6_6detail15normal_iteratorINS6_10device_ptrIS9_EEEENS0_8identityIS9_EEEE10hipError_tT2_T3_mT4_P12ihipStream_tbEUlT_E_NS1_11comp_targetILNS1_3genE3ELNS1_11target_archE908ELNS1_3gpuE7ELNS1_3repE0EEENS1_30default_config_static_selectorELNS0_4arch9wavefront6targetE0EEEvT1_,@function
_ZN7rocprim17ROCPRIM_400000_NS6detail17trampoline_kernelINS0_14default_configENS1_25transform_config_selectorIN6thrust23THRUST_200600_302600_NS5tupleIffNS6_9null_typeES8_S8_S8_S8_S8_S8_S8_EELb0EEEZNS1_14transform_implILb0ES3_SA_PS9_NS6_6detail15normal_iteratorINS6_10device_ptrIS9_EEEENS0_8identityIS9_EEEE10hipError_tT2_T3_mT4_P12ihipStream_tbEUlT_E_NS1_11comp_targetILNS1_3genE3ELNS1_11target_archE908ELNS1_3gpuE7ELNS1_3repE0EEENS1_30default_config_static_selectorELNS0_4arch9wavefront6targetE0EEEvT1_: ; @_ZN7rocprim17ROCPRIM_400000_NS6detail17trampoline_kernelINS0_14default_configENS1_25transform_config_selectorIN6thrust23THRUST_200600_302600_NS5tupleIffNS6_9null_typeES8_S8_S8_S8_S8_S8_S8_EELb0EEEZNS1_14transform_implILb0ES3_SA_PS9_NS6_6detail15normal_iteratorINS6_10device_ptrIS9_EEEENS0_8identityIS9_EEEE10hipError_tT2_T3_mT4_P12ihipStream_tbEUlT_E_NS1_11comp_targetILNS1_3genE3ELNS1_11target_archE908ELNS1_3gpuE7ELNS1_3repE0EEENS1_30default_config_static_selectorELNS0_4arch9wavefront6targetE0EEEvT1_
; %bb.0:
	.section	.rodata,"a",@progbits
	.p2align	6, 0x0
	.amdhsa_kernel _ZN7rocprim17ROCPRIM_400000_NS6detail17trampoline_kernelINS0_14default_configENS1_25transform_config_selectorIN6thrust23THRUST_200600_302600_NS5tupleIffNS6_9null_typeES8_S8_S8_S8_S8_S8_S8_EELb0EEEZNS1_14transform_implILb0ES3_SA_PS9_NS6_6detail15normal_iteratorINS6_10device_ptrIS9_EEEENS0_8identityIS9_EEEE10hipError_tT2_T3_mT4_P12ihipStream_tbEUlT_E_NS1_11comp_targetILNS1_3genE3ELNS1_11target_archE908ELNS1_3gpuE7ELNS1_3repE0EEENS1_30default_config_static_selectorELNS0_4arch9wavefront6targetE0EEEvT1_
		.amdhsa_group_segment_fixed_size 0
		.amdhsa_private_segment_fixed_size 0
		.amdhsa_kernarg_size 40
		.amdhsa_user_sgpr_count 2
		.amdhsa_user_sgpr_dispatch_ptr 0
		.amdhsa_user_sgpr_queue_ptr 0
		.amdhsa_user_sgpr_kernarg_segment_ptr 1
		.amdhsa_user_sgpr_dispatch_id 0
		.amdhsa_user_sgpr_kernarg_preload_length 0
		.amdhsa_user_sgpr_kernarg_preload_offset 0
		.amdhsa_user_sgpr_private_segment_size 0
		.amdhsa_wavefront_size32 1
		.amdhsa_uses_dynamic_stack 0
		.amdhsa_enable_private_segment 0
		.amdhsa_system_sgpr_workgroup_id_x 1
		.amdhsa_system_sgpr_workgroup_id_y 0
		.amdhsa_system_sgpr_workgroup_id_z 0
		.amdhsa_system_sgpr_workgroup_info 0
		.amdhsa_system_vgpr_workitem_id 0
		.amdhsa_next_free_vgpr 1
		.amdhsa_next_free_sgpr 1
		.amdhsa_named_barrier_count 0
		.amdhsa_reserve_vcc 0
		.amdhsa_float_round_mode_32 0
		.amdhsa_float_round_mode_16_64 0
		.amdhsa_float_denorm_mode_32 3
		.amdhsa_float_denorm_mode_16_64 3
		.amdhsa_fp16_overflow 0
		.amdhsa_memory_ordered 1
		.amdhsa_forward_progress 1
		.amdhsa_inst_pref_size 0
		.amdhsa_round_robin_scheduling 0
		.amdhsa_exception_fp_ieee_invalid_op 0
		.amdhsa_exception_fp_denorm_src 0
		.amdhsa_exception_fp_ieee_div_zero 0
		.amdhsa_exception_fp_ieee_overflow 0
		.amdhsa_exception_fp_ieee_underflow 0
		.amdhsa_exception_fp_ieee_inexact 0
		.amdhsa_exception_int_div_zero 0
	.end_amdhsa_kernel
	.section	.text._ZN7rocprim17ROCPRIM_400000_NS6detail17trampoline_kernelINS0_14default_configENS1_25transform_config_selectorIN6thrust23THRUST_200600_302600_NS5tupleIffNS6_9null_typeES8_S8_S8_S8_S8_S8_S8_EELb0EEEZNS1_14transform_implILb0ES3_SA_PS9_NS6_6detail15normal_iteratorINS6_10device_ptrIS9_EEEENS0_8identityIS9_EEEE10hipError_tT2_T3_mT4_P12ihipStream_tbEUlT_E_NS1_11comp_targetILNS1_3genE3ELNS1_11target_archE908ELNS1_3gpuE7ELNS1_3repE0EEENS1_30default_config_static_selectorELNS0_4arch9wavefront6targetE0EEEvT1_,"axG",@progbits,_ZN7rocprim17ROCPRIM_400000_NS6detail17trampoline_kernelINS0_14default_configENS1_25transform_config_selectorIN6thrust23THRUST_200600_302600_NS5tupleIffNS6_9null_typeES8_S8_S8_S8_S8_S8_S8_EELb0EEEZNS1_14transform_implILb0ES3_SA_PS9_NS6_6detail15normal_iteratorINS6_10device_ptrIS9_EEEENS0_8identityIS9_EEEE10hipError_tT2_T3_mT4_P12ihipStream_tbEUlT_E_NS1_11comp_targetILNS1_3genE3ELNS1_11target_archE908ELNS1_3gpuE7ELNS1_3repE0EEENS1_30default_config_static_selectorELNS0_4arch9wavefront6targetE0EEEvT1_,comdat
.Lfunc_end85:
	.size	_ZN7rocprim17ROCPRIM_400000_NS6detail17trampoline_kernelINS0_14default_configENS1_25transform_config_selectorIN6thrust23THRUST_200600_302600_NS5tupleIffNS6_9null_typeES8_S8_S8_S8_S8_S8_S8_EELb0EEEZNS1_14transform_implILb0ES3_SA_PS9_NS6_6detail15normal_iteratorINS6_10device_ptrIS9_EEEENS0_8identityIS9_EEEE10hipError_tT2_T3_mT4_P12ihipStream_tbEUlT_E_NS1_11comp_targetILNS1_3genE3ELNS1_11target_archE908ELNS1_3gpuE7ELNS1_3repE0EEENS1_30default_config_static_selectorELNS0_4arch9wavefront6targetE0EEEvT1_, .Lfunc_end85-_ZN7rocprim17ROCPRIM_400000_NS6detail17trampoline_kernelINS0_14default_configENS1_25transform_config_selectorIN6thrust23THRUST_200600_302600_NS5tupleIffNS6_9null_typeES8_S8_S8_S8_S8_S8_S8_EELb0EEEZNS1_14transform_implILb0ES3_SA_PS9_NS6_6detail15normal_iteratorINS6_10device_ptrIS9_EEEENS0_8identityIS9_EEEE10hipError_tT2_T3_mT4_P12ihipStream_tbEUlT_E_NS1_11comp_targetILNS1_3genE3ELNS1_11target_archE908ELNS1_3gpuE7ELNS1_3repE0EEENS1_30default_config_static_selectorELNS0_4arch9wavefront6targetE0EEEvT1_
                                        ; -- End function
	.set _ZN7rocprim17ROCPRIM_400000_NS6detail17trampoline_kernelINS0_14default_configENS1_25transform_config_selectorIN6thrust23THRUST_200600_302600_NS5tupleIffNS6_9null_typeES8_S8_S8_S8_S8_S8_S8_EELb0EEEZNS1_14transform_implILb0ES3_SA_PS9_NS6_6detail15normal_iteratorINS6_10device_ptrIS9_EEEENS0_8identityIS9_EEEE10hipError_tT2_T3_mT4_P12ihipStream_tbEUlT_E_NS1_11comp_targetILNS1_3genE3ELNS1_11target_archE908ELNS1_3gpuE7ELNS1_3repE0EEENS1_30default_config_static_selectorELNS0_4arch9wavefront6targetE0EEEvT1_.num_vgpr, 0
	.set _ZN7rocprim17ROCPRIM_400000_NS6detail17trampoline_kernelINS0_14default_configENS1_25transform_config_selectorIN6thrust23THRUST_200600_302600_NS5tupleIffNS6_9null_typeES8_S8_S8_S8_S8_S8_S8_EELb0EEEZNS1_14transform_implILb0ES3_SA_PS9_NS6_6detail15normal_iteratorINS6_10device_ptrIS9_EEEENS0_8identityIS9_EEEE10hipError_tT2_T3_mT4_P12ihipStream_tbEUlT_E_NS1_11comp_targetILNS1_3genE3ELNS1_11target_archE908ELNS1_3gpuE7ELNS1_3repE0EEENS1_30default_config_static_selectorELNS0_4arch9wavefront6targetE0EEEvT1_.num_agpr, 0
	.set _ZN7rocprim17ROCPRIM_400000_NS6detail17trampoline_kernelINS0_14default_configENS1_25transform_config_selectorIN6thrust23THRUST_200600_302600_NS5tupleIffNS6_9null_typeES8_S8_S8_S8_S8_S8_S8_EELb0EEEZNS1_14transform_implILb0ES3_SA_PS9_NS6_6detail15normal_iteratorINS6_10device_ptrIS9_EEEENS0_8identityIS9_EEEE10hipError_tT2_T3_mT4_P12ihipStream_tbEUlT_E_NS1_11comp_targetILNS1_3genE3ELNS1_11target_archE908ELNS1_3gpuE7ELNS1_3repE0EEENS1_30default_config_static_selectorELNS0_4arch9wavefront6targetE0EEEvT1_.numbered_sgpr, 0
	.set _ZN7rocprim17ROCPRIM_400000_NS6detail17trampoline_kernelINS0_14default_configENS1_25transform_config_selectorIN6thrust23THRUST_200600_302600_NS5tupleIffNS6_9null_typeES8_S8_S8_S8_S8_S8_S8_EELb0EEEZNS1_14transform_implILb0ES3_SA_PS9_NS6_6detail15normal_iteratorINS6_10device_ptrIS9_EEEENS0_8identityIS9_EEEE10hipError_tT2_T3_mT4_P12ihipStream_tbEUlT_E_NS1_11comp_targetILNS1_3genE3ELNS1_11target_archE908ELNS1_3gpuE7ELNS1_3repE0EEENS1_30default_config_static_selectorELNS0_4arch9wavefront6targetE0EEEvT1_.num_named_barrier, 0
	.set _ZN7rocprim17ROCPRIM_400000_NS6detail17trampoline_kernelINS0_14default_configENS1_25transform_config_selectorIN6thrust23THRUST_200600_302600_NS5tupleIffNS6_9null_typeES8_S8_S8_S8_S8_S8_S8_EELb0EEEZNS1_14transform_implILb0ES3_SA_PS9_NS6_6detail15normal_iteratorINS6_10device_ptrIS9_EEEENS0_8identityIS9_EEEE10hipError_tT2_T3_mT4_P12ihipStream_tbEUlT_E_NS1_11comp_targetILNS1_3genE3ELNS1_11target_archE908ELNS1_3gpuE7ELNS1_3repE0EEENS1_30default_config_static_selectorELNS0_4arch9wavefront6targetE0EEEvT1_.private_seg_size, 0
	.set _ZN7rocprim17ROCPRIM_400000_NS6detail17trampoline_kernelINS0_14default_configENS1_25transform_config_selectorIN6thrust23THRUST_200600_302600_NS5tupleIffNS6_9null_typeES8_S8_S8_S8_S8_S8_S8_EELb0EEEZNS1_14transform_implILb0ES3_SA_PS9_NS6_6detail15normal_iteratorINS6_10device_ptrIS9_EEEENS0_8identityIS9_EEEE10hipError_tT2_T3_mT4_P12ihipStream_tbEUlT_E_NS1_11comp_targetILNS1_3genE3ELNS1_11target_archE908ELNS1_3gpuE7ELNS1_3repE0EEENS1_30default_config_static_selectorELNS0_4arch9wavefront6targetE0EEEvT1_.uses_vcc, 0
	.set _ZN7rocprim17ROCPRIM_400000_NS6detail17trampoline_kernelINS0_14default_configENS1_25transform_config_selectorIN6thrust23THRUST_200600_302600_NS5tupleIffNS6_9null_typeES8_S8_S8_S8_S8_S8_S8_EELb0EEEZNS1_14transform_implILb0ES3_SA_PS9_NS6_6detail15normal_iteratorINS6_10device_ptrIS9_EEEENS0_8identityIS9_EEEE10hipError_tT2_T3_mT4_P12ihipStream_tbEUlT_E_NS1_11comp_targetILNS1_3genE3ELNS1_11target_archE908ELNS1_3gpuE7ELNS1_3repE0EEENS1_30default_config_static_selectorELNS0_4arch9wavefront6targetE0EEEvT1_.uses_flat_scratch, 0
	.set _ZN7rocprim17ROCPRIM_400000_NS6detail17trampoline_kernelINS0_14default_configENS1_25transform_config_selectorIN6thrust23THRUST_200600_302600_NS5tupleIffNS6_9null_typeES8_S8_S8_S8_S8_S8_S8_EELb0EEEZNS1_14transform_implILb0ES3_SA_PS9_NS6_6detail15normal_iteratorINS6_10device_ptrIS9_EEEENS0_8identityIS9_EEEE10hipError_tT2_T3_mT4_P12ihipStream_tbEUlT_E_NS1_11comp_targetILNS1_3genE3ELNS1_11target_archE908ELNS1_3gpuE7ELNS1_3repE0EEENS1_30default_config_static_selectorELNS0_4arch9wavefront6targetE0EEEvT1_.has_dyn_sized_stack, 0
	.set _ZN7rocprim17ROCPRIM_400000_NS6detail17trampoline_kernelINS0_14default_configENS1_25transform_config_selectorIN6thrust23THRUST_200600_302600_NS5tupleIffNS6_9null_typeES8_S8_S8_S8_S8_S8_S8_EELb0EEEZNS1_14transform_implILb0ES3_SA_PS9_NS6_6detail15normal_iteratorINS6_10device_ptrIS9_EEEENS0_8identityIS9_EEEE10hipError_tT2_T3_mT4_P12ihipStream_tbEUlT_E_NS1_11comp_targetILNS1_3genE3ELNS1_11target_archE908ELNS1_3gpuE7ELNS1_3repE0EEENS1_30default_config_static_selectorELNS0_4arch9wavefront6targetE0EEEvT1_.has_recursion, 0
	.set _ZN7rocprim17ROCPRIM_400000_NS6detail17trampoline_kernelINS0_14default_configENS1_25transform_config_selectorIN6thrust23THRUST_200600_302600_NS5tupleIffNS6_9null_typeES8_S8_S8_S8_S8_S8_S8_EELb0EEEZNS1_14transform_implILb0ES3_SA_PS9_NS6_6detail15normal_iteratorINS6_10device_ptrIS9_EEEENS0_8identityIS9_EEEE10hipError_tT2_T3_mT4_P12ihipStream_tbEUlT_E_NS1_11comp_targetILNS1_3genE3ELNS1_11target_archE908ELNS1_3gpuE7ELNS1_3repE0EEENS1_30default_config_static_selectorELNS0_4arch9wavefront6targetE0EEEvT1_.has_indirect_call, 0
	.section	.AMDGPU.csdata,"",@progbits
; Kernel info:
; codeLenInByte = 0
; TotalNumSgprs: 0
; NumVgprs: 0
; ScratchSize: 0
; MemoryBound: 0
; FloatMode: 240
; IeeeMode: 1
; LDSByteSize: 0 bytes/workgroup (compile time only)
; SGPRBlocks: 0
; VGPRBlocks: 0
; NumSGPRsForWavesPerEU: 1
; NumVGPRsForWavesPerEU: 1
; NamedBarCnt: 0
; Occupancy: 16
; WaveLimiterHint : 0
; COMPUTE_PGM_RSRC2:SCRATCH_EN: 0
; COMPUTE_PGM_RSRC2:USER_SGPR: 2
; COMPUTE_PGM_RSRC2:TRAP_HANDLER: 0
; COMPUTE_PGM_RSRC2:TGID_X_EN: 1
; COMPUTE_PGM_RSRC2:TGID_Y_EN: 0
; COMPUTE_PGM_RSRC2:TGID_Z_EN: 0
; COMPUTE_PGM_RSRC2:TIDIG_COMP_CNT: 0
	.section	.text._ZN7rocprim17ROCPRIM_400000_NS6detail17trampoline_kernelINS0_14default_configENS1_25transform_config_selectorIN6thrust23THRUST_200600_302600_NS5tupleIffNS6_9null_typeES8_S8_S8_S8_S8_S8_S8_EELb0EEEZNS1_14transform_implILb0ES3_SA_PS9_NS6_6detail15normal_iteratorINS6_10device_ptrIS9_EEEENS0_8identityIS9_EEEE10hipError_tT2_T3_mT4_P12ihipStream_tbEUlT_E_NS1_11comp_targetILNS1_3genE2ELNS1_11target_archE906ELNS1_3gpuE6ELNS1_3repE0EEENS1_30default_config_static_selectorELNS0_4arch9wavefront6targetE0EEEvT1_,"axG",@progbits,_ZN7rocprim17ROCPRIM_400000_NS6detail17trampoline_kernelINS0_14default_configENS1_25transform_config_selectorIN6thrust23THRUST_200600_302600_NS5tupleIffNS6_9null_typeES8_S8_S8_S8_S8_S8_S8_EELb0EEEZNS1_14transform_implILb0ES3_SA_PS9_NS6_6detail15normal_iteratorINS6_10device_ptrIS9_EEEENS0_8identityIS9_EEEE10hipError_tT2_T3_mT4_P12ihipStream_tbEUlT_E_NS1_11comp_targetILNS1_3genE2ELNS1_11target_archE906ELNS1_3gpuE6ELNS1_3repE0EEENS1_30default_config_static_selectorELNS0_4arch9wavefront6targetE0EEEvT1_,comdat
	.protected	_ZN7rocprim17ROCPRIM_400000_NS6detail17trampoline_kernelINS0_14default_configENS1_25transform_config_selectorIN6thrust23THRUST_200600_302600_NS5tupleIffNS6_9null_typeES8_S8_S8_S8_S8_S8_S8_EELb0EEEZNS1_14transform_implILb0ES3_SA_PS9_NS6_6detail15normal_iteratorINS6_10device_ptrIS9_EEEENS0_8identityIS9_EEEE10hipError_tT2_T3_mT4_P12ihipStream_tbEUlT_E_NS1_11comp_targetILNS1_3genE2ELNS1_11target_archE906ELNS1_3gpuE6ELNS1_3repE0EEENS1_30default_config_static_selectorELNS0_4arch9wavefront6targetE0EEEvT1_ ; -- Begin function _ZN7rocprim17ROCPRIM_400000_NS6detail17trampoline_kernelINS0_14default_configENS1_25transform_config_selectorIN6thrust23THRUST_200600_302600_NS5tupleIffNS6_9null_typeES8_S8_S8_S8_S8_S8_S8_EELb0EEEZNS1_14transform_implILb0ES3_SA_PS9_NS6_6detail15normal_iteratorINS6_10device_ptrIS9_EEEENS0_8identityIS9_EEEE10hipError_tT2_T3_mT4_P12ihipStream_tbEUlT_E_NS1_11comp_targetILNS1_3genE2ELNS1_11target_archE906ELNS1_3gpuE6ELNS1_3repE0EEENS1_30default_config_static_selectorELNS0_4arch9wavefront6targetE0EEEvT1_
	.globl	_ZN7rocprim17ROCPRIM_400000_NS6detail17trampoline_kernelINS0_14default_configENS1_25transform_config_selectorIN6thrust23THRUST_200600_302600_NS5tupleIffNS6_9null_typeES8_S8_S8_S8_S8_S8_S8_EELb0EEEZNS1_14transform_implILb0ES3_SA_PS9_NS6_6detail15normal_iteratorINS6_10device_ptrIS9_EEEENS0_8identityIS9_EEEE10hipError_tT2_T3_mT4_P12ihipStream_tbEUlT_E_NS1_11comp_targetILNS1_3genE2ELNS1_11target_archE906ELNS1_3gpuE6ELNS1_3repE0EEENS1_30default_config_static_selectorELNS0_4arch9wavefront6targetE0EEEvT1_
	.p2align	8
	.type	_ZN7rocprim17ROCPRIM_400000_NS6detail17trampoline_kernelINS0_14default_configENS1_25transform_config_selectorIN6thrust23THRUST_200600_302600_NS5tupleIffNS6_9null_typeES8_S8_S8_S8_S8_S8_S8_EELb0EEEZNS1_14transform_implILb0ES3_SA_PS9_NS6_6detail15normal_iteratorINS6_10device_ptrIS9_EEEENS0_8identityIS9_EEEE10hipError_tT2_T3_mT4_P12ihipStream_tbEUlT_E_NS1_11comp_targetILNS1_3genE2ELNS1_11target_archE906ELNS1_3gpuE6ELNS1_3repE0EEENS1_30default_config_static_selectorELNS0_4arch9wavefront6targetE0EEEvT1_,@function
_ZN7rocprim17ROCPRIM_400000_NS6detail17trampoline_kernelINS0_14default_configENS1_25transform_config_selectorIN6thrust23THRUST_200600_302600_NS5tupleIffNS6_9null_typeES8_S8_S8_S8_S8_S8_S8_EELb0EEEZNS1_14transform_implILb0ES3_SA_PS9_NS6_6detail15normal_iteratorINS6_10device_ptrIS9_EEEENS0_8identityIS9_EEEE10hipError_tT2_T3_mT4_P12ihipStream_tbEUlT_E_NS1_11comp_targetILNS1_3genE2ELNS1_11target_archE906ELNS1_3gpuE6ELNS1_3repE0EEENS1_30default_config_static_selectorELNS0_4arch9wavefront6targetE0EEEvT1_: ; @_ZN7rocprim17ROCPRIM_400000_NS6detail17trampoline_kernelINS0_14default_configENS1_25transform_config_selectorIN6thrust23THRUST_200600_302600_NS5tupleIffNS6_9null_typeES8_S8_S8_S8_S8_S8_S8_EELb0EEEZNS1_14transform_implILb0ES3_SA_PS9_NS6_6detail15normal_iteratorINS6_10device_ptrIS9_EEEENS0_8identityIS9_EEEE10hipError_tT2_T3_mT4_P12ihipStream_tbEUlT_E_NS1_11comp_targetILNS1_3genE2ELNS1_11target_archE906ELNS1_3gpuE6ELNS1_3repE0EEENS1_30default_config_static_selectorELNS0_4arch9wavefront6targetE0EEEvT1_
; %bb.0:
	.section	.rodata,"a",@progbits
	.p2align	6, 0x0
	.amdhsa_kernel _ZN7rocprim17ROCPRIM_400000_NS6detail17trampoline_kernelINS0_14default_configENS1_25transform_config_selectorIN6thrust23THRUST_200600_302600_NS5tupleIffNS6_9null_typeES8_S8_S8_S8_S8_S8_S8_EELb0EEEZNS1_14transform_implILb0ES3_SA_PS9_NS6_6detail15normal_iteratorINS6_10device_ptrIS9_EEEENS0_8identityIS9_EEEE10hipError_tT2_T3_mT4_P12ihipStream_tbEUlT_E_NS1_11comp_targetILNS1_3genE2ELNS1_11target_archE906ELNS1_3gpuE6ELNS1_3repE0EEENS1_30default_config_static_selectorELNS0_4arch9wavefront6targetE0EEEvT1_
		.amdhsa_group_segment_fixed_size 0
		.amdhsa_private_segment_fixed_size 0
		.amdhsa_kernarg_size 40
		.amdhsa_user_sgpr_count 2
		.amdhsa_user_sgpr_dispatch_ptr 0
		.amdhsa_user_sgpr_queue_ptr 0
		.amdhsa_user_sgpr_kernarg_segment_ptr 1
		.amdhsa_user_sgpr_dispatch_id 0
		.amdhsa_user_sgpr_kernarg_preload_length 0
		.amdhsa_user_sgpr_kernarg_preload_offset 0
		.amdhsa_user_sgpr_private_segment_size 0
		.amdhsa_wavefront_size32 1
		.amdhsa_uses_dynamic_stack 0
		.amdhsa_enable_private_segment 0
		.amdhsa_system_sgpr_workgroup_id_x 1
		.amdhsa_system_sgpr_workgroup_id_y 0
		.amdhsa_system_sgpr_workgroup_id_z 0
		.amdhsa_system_sgpr_workgroup_info 0
		.amdhsa_system_vgpr_workitem_id 0
		.amdhsa_next_free_vgpr 1
		.amdhsa_next_free_sgpr 1
		.amdhsa_named_barrier_count 0
		.amdhsa_reserve_vcc 0
		.amdhsa_float_round_mode_32 0
		.amdhsa_float_round_mode_16_64 0
		.amdhsa_float_denorm_mode_32 3
		.amdhsa_float_denorm_mode_16_64 3
		.amdhsa_fp16_overflow 0
		.amdhsa_memory_ordered 1
		.amdhsa_forward_progress 1
		.amdhsa_inst_pref_size 0
		.amdhsa_round_robin_scheduling 0
		.amdhsa_exception_fp_ieee_invalid_op 0
		.amdhsa_exception_fp_denorm_src 0
		.amdhsa_exception_fp_ieee_div_zero 0
		.amdhsa_exception_fp_ieee_overflow 0
		.amdhsa_exception_fp_ieee_underflow 0
		.amdhsa_exception_fp_ieee_inexact 0
		.amdhsa_exception_int_div_zero 0
	.end_amdhsa_kernel
	.section	.text._ZN7rocprim17ROCPRIM_400000_NS6detail17trampoline_kernelINS0_14default_configENS1_25transform_config_selectorIN6thrust23THRUST_200600_302600_NS5tupleIffNS6_9null_typeES8_S8_S8_S8_S8_S8_S8_EELb0EEEZNS1_14transform_implILb0ES3_SA_PS9_NS6_6detail15normal_iteratorINS6_10device_ptrIS9_EEEENS0_8identityIS9_EEEE10hipError_tT2_T3_mT4_P12ihipStream_tbEUlT_E_NS1_11comp_targetILNS1_3genE2ELNS1_11target_archE906ELNS1_3gpuE6ELNS1_3repE0EEENS1_30default_config_static_selectorELNS0_4arch9wavefront6targetE0EEEvT1_,"axG",@progbits,_ZN7rocprim17ROCPRIM_400000_NS6detail17trampoline_kernelINS0_14default_configENS1_25transform_config_selectorIN6thrust23THRUST_200600_302600_NS5tupleIffNS6_9null_typeES8_S8_S8_S8_S8_S8_S8_EELb0EEEZNS1_14transform_implILb0ES3_SA_PS9_NS6_6detail15normal_iteratorINS6_10device_ptrIS9_EEEENS0_8identityIS9_EEEE10hipError_tT2_T3_mT4_P12ihipStream_tbEUlT_E_NS1_11comp_targetILNS1_3genE2ELNS1_11target_archE906ELNS1_3gpuE6ELNS1_3repE0EEENS1_30default_config_static_selectorELNS0_4arch9wavefront6targetE0EEEvT1_,comdat
.Lfunc_end86:
	.size	_ZN7rocprim17ROCPRIM_400000_NS6detail17trampoline_kernelINS0_14default_configENS1_25transform_config_selectorIN6thrust23THRUST_200600_302600_NS5tupleIffNS6_9null_typeES8_S8_S8_S8_S8_S8_S8_EELb0EEEZNS1_14transform_implILb0ES3_SA_PS9_NS6_6detail15normal_iteratorINS6_10device_ptrIS9_EEEENS0_8identityIS9_EEEE10hipError_tT2_T3_mT4_P12ihipStream_tbEUlT_E_NS1_11comp_targetILNS1_3genE2ELNS1_11target_archE906ELNS1_3gpuE6ELNS1_3repE0EEENS1_30default_config_static_selectorELNS0_4arch9wavefront6targetE0EEEvT1_, .Lfunc_end86-_ZN7rocprim17ROCPRIM_400000_NS6detail17trampoline_kernelINS0_14default_configENS1_25transform_config_selectorIN6thrust23THRUST_200600_302600_NS5tupleIffNS6_9null_typeES8_S8_S8_S8_S8_S8_S8_EELb0EEEZNS1_14transform_implILb0ES3_SA_PS9_NS6_6detail15normal_iteratorINS6_10device_ptrIS9_EEEENS0_8identityIS9_EEEE10hipError_tT2_T3_mT4_P12ihipStream_tbEUlT_E_NS1_11comp_targetILNS1_3genE2ELNS1_11target_archE906ELNS1_3gpuE6ELNS1_3repE0EEENS1_30default_config_static_selectorELNS0_4arch9wavefront6targetE0EEEvT1_
                                        ; -- End function
	.set _ZN7rocprim17ROCPRIM_400000_NS6detail17trampoline_kernelINS0_14default_configENS1_25transform_config_selectorIN6thrust23THRUST_200600_302600_NS5tupleIffNS6_9null_typeES8_S8_S8_S8_S8_S8_S8_EELb0EEEZNS1_14transform_implILb0ES3_SA_PS9_NS6_6detail15normal_iteratorINS6_10device_ptrIS9_EEEENS0_8identityIS9_EEEE10hipError_tT2_T3_mT4_P12ihipStream_tbEUlT_E_NS1_11comp_targetILNS1_3genE2ELNS1_11target_archE906ELNS1_3gpuE6ELNS1_3repE0EEENS1_30default_config_static_selectorELNS0_4arch9wavefront6targetE0EEEvT1_.num_vgpr, 0
	.set _ZN7rocprim17ROCPRIM_400000_NS6detail17trampoline_kernelINS0_14default_configENS1_25transform_config_selectorIN6thrust23THRUST_200600_302600_NS5tupleIffNS6_9null_typeES8_S8_S8_S8_S8_S8_S8_EELb0EEEZNS1_14transform_implILb0ES3_SA_PS9_NS6_6detail15normal_iteratorINS6_10device_ptrIS9_EEEENS0_8identityIS9_EEEE10hipError_tT2_T3_mT4_P12ihipStream_tbEUlT_E_NS1_11comp_targetILNS1_3genE2ELNS1_11target_archE906ELNS1_3gpuE6ELNS1_3repE0EEENS1_30default_config_static_selectorELNS0_4arch9wavefront6targetE0EEEvT1_.num_agpr, 0
	.set _ZN7rocprim17ROCPRIM_400000_NS6detail17trampoline_kernelINS0_14default_configENS1_25transform_config_selectorIN6thrust23THRUST_200600_302600_NS5tupleIffNS6_9null_typeES8_S8_S8_S8_S8_S8_S8_EELb0EEEZNS1_14transform_implILb0ES3_SA_PS9_NS6_6detail15normal_iteratorINS6_10device_ptrIS9_EEEENS0_8identityIS9_EEEE10hipError_tT2_T3_mT4_P12ihipStream_tbEUlT_E_NS1_11comp_targetILNS1_3genE2ELNS1_11target_archE906ELNS1_3gpuE6ELNS1_3repE0EEENS1_30default_config_static_selectorELNS0_4arch9wavefront6targetE0EEEvT1_.numbered_sgpr, 0
	.set _ZN7rocprim17ROCPRIM_400000_NS6detail17trampoline_kernelINS0_14default_configENS1_25transform_config_selectorIN6thrust23THRUST_200600_302600_NS5tupleIffNS6_9null_typeES8_S8_S8_S8_S8_S8_S8_EELb0EEEZNS1_14transform_implILb0ES3_SA_PS9_NS6_6detail15normal_iteratorINS6_10device_ptrIS9_EEEENS0_8identityIS9_EEEE10hipError_tT2_T3_mT4_P12ihipStream_tbEUlT_E_NS1_11comp_targetILNS1_3genE2ELNS1_11target_archE906ELNS1_3gpuE6ELNS1_3repE0EEENS1_30default_config_static_selectorELNS0_4arch9wavefront6targetE0EEEvT1_.num_named_barrier, 0
	.set _ZN7rocprim17ROCPRIM_400000_NS6detail17trampoline_kernelINS0_14default_configENS1_25transform_config_selectorIN6thrust23THRUST_200600_302600_NS5tupleIffNS6_9null_typeES8_S8_S8_S8_S8_S8_S8_EELb0EEEZNS1_14transform_implILb0ES3_SA_PS9_NS6_6detail15normal_iteratorINS6_10device_ptrIS9_EEEENS0_8identityIS9_EEEE10hipError_tT2_T3_mT4_P12ihipStream_tbEUlT_E_NS1_11comp_targetILNS1_3genE2ELNS1_11target_archE906ELNS1_3gpuE6ELNS1_3repE0EEENS1_30default_config_static_selectorELNS0_4arch9wavefront6targetE0EEEvT1_.private_seg_size, 0
	.set _ZN7rocprim17ROCPRIM_400000_NS6detail17trampoline_kernelINS0_14default_configENS1_25transform_config_selectorIN6thrust23THRUST_200600_302600_NS5tupleIffNS6_9null_typeES8_S8_S8_S8_S8_S8_S8_EELb0EEEZNS1_14transform_implILb0ES3_SA_PS9_NS6_6detail15normal_iteratorINS6_10device_ptrIS9_EEEENS0_8identityIS9_EEEE10hipError_tT2_T3_mT4_P12ihipStream_tbEUlT_E_NS1_11comp_targetILNS1_3genE2ELNS1_11target_archE906ELNS1_3gpuE6ELNS1_3repE0EEENS1_30default_config_static_selectorELNS0_4arch9wavefront6targetE0EEEvT1_.uses_vcc, 0
	.set _ZN7rocprim17ROCPRIM_400000_NS6detail17trampoline_kernelINS0_14default_configENS1_25transform_config_selectorIN6thrust23THRUST_200600_302600_NS5tupleIffNS6_9null_typeES8_S8_S8_S8_S8_S8_S8_EELb0EEEZNS1_14transform_implILb0ES3_SA_PS9_NS6_6detail15normal_iteratorINS6_10device_ptrIS9_EEEENS0_8identityIS9_EEEE10hipError_tT2_T3_mT4_P12ihipStream_tbEUlT_E_NS1_11comp_targetILNS1_3genE2ELNS1_11target_archE906ELNS1_3gpuE6ELNS1_3repE0EEENS1_30default_config_static_selectorELNS0_4arch9wavefront6targetE0EEEvT1_.uses_flat_scratch, 0
	.set _ZN7rocprim17ROCPRIM_400000_NS6detail17trampoline_kernelINS0_14default_configENS1_25transform_config_selectorIN6thrust23THRUST_200600_302600_NS5tupleIffNS6_9null_typeES8_S8_S8_S8_S8_S8_S8_EELb0EEEZNS1_14transform_implILb0ES3_SA_PS9_NS6_6detail15normal_iteratorINS6_10device_ptrIS9_EEEENS0_8identityIS9_EEEE10hipError_tT2_T3_mT4_P12ihipStream_tbEUlT_E_NS1_11comp_targetILNS1_3genE2ELNS1_11target_archE906ELNS1_3gpuE6ELNS1_3repE0EEENS1_30default_config_static_selectorELNS0_4arch9wavefront6targetE0EEEvT1_.has_dyn_sized_stack, 0
	.set _ZN7rocprim17ROCPRIM_400000_NS6detail17trampoline_kernelINS0_14default_configENS1_25transform_config_selectorIN6thrust23THRUST_200600_302600_NS5tupleIffNS6_9null_typeES8_S8_S8_S8_S8_S8_S8_EELb0EEEZNS1_14transform_implILb0ES3_SA_PS9_NS6_6detail15normal_iteratorINS6_10device_ptrIS9_EEEENS0_8identityIS9_EEEE10hipError_tT2_T3_mT4_P12ihipStream_tbEUlT_E_NS1_11comp_targetILNS1_3genE2ELNS1_11target_archE906ELNS1_3gpuE6ELNS1_3repE0EEENS1_30default_config_static_selectorELNS0_4arch9wavefront6targetE0EEEvT1_.has_recursion, 0
	.set _ZN7rocprim17ROCPRIM_400000_NS6detail17trampoline_kernelINS0_14default_configENS1_25transform_config_selectorIN6thrust23THRUST_200600_302600_NS5tupleIffNS6_9null_typeES8_S8_S8_S8_S8_S8_S8_EELb0EEEZNS1_14transform_implILb0ES3_SA_PS9_NS6_6detail15normal_iteratorINS6_10device_ptrIS9_EEEENS0_8identityIS9_EEEE10hipError_tT2_T3_mT4_P12ihipStream_tbEUlT_E_NS1_11comp_targetILNS1_3genE2ELNS1_11target_archE906ELNS1_3gpuE6ELNS1_3repE0EEENS1_30default_config_static_selectorELNS0_4arch9wavefront6targetE0EEEvT1_.has_indirect_call, 0
	.section	.AMDGPU.csdata,"",@progbits
; Kernel info:
; codeLenInByte = 0
; TotalNumSgprs: 0
; NumVgprs: 0
; ScratchSize: 0
; MemoryBound: 0
; FloatMode: 240
; IeeeMode: 1
; LDSByteSize: 0 bytes/workgroup (compile time only)
; SGPRBlocks: 0
; VGPRBlocks: 0
; NumSGPRsForWavesPerEU: 1
; NumVGPRsForWavesPerEU: 1
; NamedBarCnt: 0
; Occupancy: 16
; WaveLimiterHint : 0
; COMPUTE_PGM_RSRC2:SCRATCH_EN: 0
; COMPUTE_PGM_RSRC2:USER_SGPR: 2
; COMPUTE_PGM_RSRC2:TRAP_HANDLER: 0
; COMPUTE_PGM_RSRC2:TGID_X_EN: 1
; COMPUTE_PGM_RSRC2:TGID_Y_EN: 0
; COMPUTE_PGM_RSRC2:TGID_Z_EN: 0
; COMPUTE_PGM_RSRC2:TIDIG_COMP_CNT: 0
	.section	.text._ZN7rocprim17ROCPRIM_400000_NS6detail17trampoline_kernelINS0_14default_configENS1_25transform_config_selectorIN6thrust23THRUST_200600_302600_NS5tupleIffNS6_9null_typeES8_S8_S8_S8_S8_S8_S8_EELb0EEEZNS1_14transform_implILb0ES3_SA_PS9_NS6_6detail15normal_iteratorINS6_10device_ptrIS9_EEEENS0_8identityIS9_EEEE10hipError_tT2_T3_mT4_P12ihipStream_tbEUlT_E_NS1_11comp_targetILNS1_3genE10ELNS1_11target_archE1201ELNS1_3gpuE5ELNS1_3repE0EEENS1_30default_config_static_selectorELNS0_4arch9wavefront6targetE0EEEvT1_,"axG",@progbits,_ZN7rocprim17ROCPRIM_400000_NS6detail17trampoline_kernelINS0_14default_configENS1_25transform_config_selectorIN6thrust23THRUST_200600_302600_NS5tupleIffNS6_9null_typeES8_S8_S8_S8_S8_S8_S8_EELb0EEEZNS1_14transform_implILb0ES3_SA_PS9_NS6_6detail15normal_iteratorINS6_10device_ptrIS9_EEEENS0_8identityIS9_EEEE10hipError_tT2_T3_mT4_P12ihipStream_tbEUlT_E_NS1_11comp_targetILNS1_3genE10ELNS1_11target_archE1201ELNS1_3gpuE5ELNS1_3repE0EEENS1_30default_config_static_selectorELNS0_4arch9wavefront6targetE0EEEvT1_,comdat
	.protected	_ZN7rocprim17ROCPRIM_400000_NS6detail17trampoline_kernelINS0_14default_configENS1_25transform_config_selectorIN6thrust23THRUST_200600_302600_NS5tupleIffNS6_9null_typeES8_S8_S8_S8_S8_S8_S8_EELb0EEEZNS1_14transform_implILb0ES3_SA_PS9_NS6_6detail15normal_iteratorINS6_10device_ptrIS9_EEEENS0_8identityIS9_EEEE10hipError_tT2_T3_mT4_P12ihipStream_tbEUlT_E_NS1_11comp_targetILNS1_3genE10ELNS1_11target_archE1201ELNS1_3gpuE5ELNS1_3repE0EEENS1_30default_config_static_selectorELNS0_4arch9wavefront6targetE0EEEvT1_ ; -- Begin function _ZN7rocprim17ROCPRIM_400000_NS6detail17trampoline_kernelINS0_14default_configENS1_25transform_config_selectorIN6thrust23THRUST_200600_302600_NS5tupleIffNS6_9null_typeES8_S8_S8_S8_S8_S8_S8_EELb0EEEZNS1_14transform_implILb0ES3_SA_PS9_NS6_6detail15normal_iteratorINS6_10device_ptrIS9_EEEENS0_8identityIS9_EEEE10hipError_tT2_T3_mT4_P12ihipStream_tbEUlT_E_NS1_11comp_targetILNS1_3genE10ELNS1_11target_archE1201ELNS1_3gpuE5ELNS1_3repE0EEENS1_30default_config_static_selectorELNS0_4arch9wavefront6targetE0EEEvT1_
	.globl	_ZN7rocprim17ROCPRIM_400000_NS6detail17trampoline_kernelINS0_14default_configENS1_25transform_config_selectorIN6thrust23THRUST_200600_302600_NS5tupleIffNS6_9null_typeES8_S8_S8_S8_S8_S8_S8_EELb0EEEZNS1_14transform_implILb0ES3_SA_PS9_NS6_6detail15normal_iteratorINS6_10device_ptrIS9_EEEENS0_8identityIS9_EEEE10hipError_tT2_T3_mT4_P12ihipStream_tbEUlT_E_NS1_11comp_targetILNS1_3genE10ELNS1_11target_archE1201ELNS1_3gpuE5ELNS1_3repE0EEENS1_30default_config_static_selectorELNS0_4arch9wavefront6targetE0EEEvT1_
	.p2align	8
	.type	_ZN7rocprim17ROCPRIM_400000_NS6detail17trampoline_kernelINS0_14default_configENS1_25transform_config_selectorIN6thrust23THRUST_200600_302600_NS5tupleIffNS6_9null_typeES8_S8_S8_S8_S8_S8_S8_EELb0EEEZNS1_14transform_implILb0ES3_SA_PS9_NS6_6detail15normal_iteratorINS6_10device_ptrIS9_EEEENS0_8identityIS9_EEEE10hipError_tT2_T3_mT4_P12ihipStream_tbEUlT_E_NS1_11comp_targetILNS1_3genE10ELNS1_11target_archE1201ELNS1_3gpuE5ELNS1_3repE0EEENS1_30default_config_static_selectorELNS0_4arch9wavefront6targetE0EEEvT1_,@function
_ZN7rocprim17ROCPRIM_400000_NS6detail17trampoline_kernelINS0_14default_configENS1_25transform_config_selectorIN6thrust23THRUST_200600_302600_NS5tupleIffNS6_9null_typeES8_S8_S8_S8_S8_S8_S8_EELb0EEEZNS1_14transform_implILb0ES3_SA_PS9_NS6_6detail15normal_iteratorINS6_10device_ptrIS9_EEEENS0_8identityIS9_EEEE10hipError_tT2_T3_mT4_P12ihipStream_tbEUlT_E_NS1_11comp_targetILNS1_3genE10ELNS1_11target_archE1201ELNS1_3gpuE5ELNS1_3repE0EEENS1_30default_config_static_selectorELNS0_4arch9wavefront6targetE0EEEvT1_: ; @_ZN7rocprim17ROCPRIM_400000_NS6detail17trampoline_kernelINS0_14default_configENS1_25transform_config_selectorIN6thrust23THRUST_200600_302600_NS5tupleIffNS6_9null_typeES8_S8_S8_S8_S8_S8_S8_EELb0EEEZNS1_14transform_implILb0ES3_SA_PS9_NS6_6detail15normal_iteratorINS6_10device_ptrIS9_EEEENS0_8identityIS9_EEEE10hipError_tT2_T3_mT4_P12ihipStream_tbEUlT_E_NS1_11comp_targetILNS1_3genE10ELNS1_11target_archE1201ELNS1_3gpuE5ELNS1_3repE0EEENS1_30default_config_static_selectorELNS0_4arch9wavefront6targetE0EEEvT1_
; %bb.0:
	.section	.rodata,"a",@progbits
	.p2align	6, 0x0
	.amdhsa_kernel _ZN7rocprim17ROCPRIM_400000_NS6detail17trampoline_kernelINS0_14default_configENS1_25transform_config_selectorIN6thrust23THRUST_200600_302600_NS5tupleIffNS6_9null_typeES8_S8_S8_S8_S8_S8_S8_EELb0EEEZNS1_14transform_implILb0ES3_SA_PS9_NS6_6detail15normal_iteratorINS6_10device_ptrIS9_EEEENS0_8identityIS9_EEEE10hipError_tT2_T3_mT4_P12ihipStream_tbEUlT_E_NS1_11comp_targetILNS1_3genE10ELNS1_11target_archE1201ELNS1_3gpuE5ELNS1_3repE0EEENS1_30default_config_static_selectorELNS0_4arch9wavefront6targetE0EEEvT1_
		.amdhsa_group_segment_fixed_size 0
		.amdhsa_private_segment_fixed_size 0
		.amdhsa_kernarg_size 40
		.amdhsa_user_sgpr_count 2
		.amdhsa_user_sgpr_dispatch_ptr 0
		.amdhsa_user_sgpr_queue_ptr 0
		.amdhsa_user_sgpr_kernarg_segment_ptr 1
		.amdhsa_user_sgpr_dispatch_id 0
		.amdhsa_user_sgpr_kernarg_preload_length 0
		.amdhsa_user_sgpr_kernarg_preload_offset 0
		.amdhsa_user_sgpr_private_segment_size 0
		.amdhsa_wavefront_size32 1
		.amdhsa_uses_dynamic_stack 0
		.amdhsa_enable_private_segment 0
		.amdhsa_system_sgpr_workgroup_id_x 1
		.amdhsa_system_sgpr_workgroup_id_y 0
		.amdhsa_system_sgpr_workgroup_id_z 0
		.amdhsa_system_sgpr_workgroup_info 0
		.amdhsa_system_vgpr_workitem_id 0
		.amdhsa_next_free_vgpr 1
		.amdhsa_next_free_sgpr 1
		.amdhsa_named_barrier_count 0
		.amdhsa_reserve_vcc 0
		.amdhsa_float_round_mode_32 0
		.amdhsa_float_round_mode_16_64 0
		.amdhsa_float_denorm_mode_32 3
		.amdhsa_float_denorm_mode_16_64 3
		.amdhsa_fp16_overflow 0
		.amdhsa_memory_ordered 1
		.amdhsa_forward_progress 1
		.amdhsa_inst_pref_size 0
		.amdhsa_round_robin_scheduling 0
		.amdhsa_exception_fp_ieee_invalid_op 0
		.amdhsa_exception_fp_denorm_src 0
		.amdhsa_exception_fp_ieee_div_zero 0
		.amdhsa_exception_fp_ieee_overflow 0
		.amdhsa_exception_fp_ieee_underflow 0
		.amdhsa_exception_fp_ieee_inexact 0
		.amdhsa_exception_int_div_zero 0
	.end_amdhsa_kernel
	.section	.text._ZN7rocprim17ROCPRIM_400000_NS6detail17trampoline_kernelINS0_14default_configENS1_25transform_config_selectorIN6thrust23THRUST_200600_302600_NS5tupleIffNS6_9null_typeES8_S8_S8_S8_S8_S8_S8_EELb0EEEZNS1_14transform_implILb0ES3_SA_PS9_NS6_6detail15normal_iteratorINS6_10device_ptrIS9_EEEENS0_8identityIS9_EEEE10hipError_tT2_T3_mT4_P12ihipStream_tbEUlT_E_NS1_11comp_targetILNS1_3genE10ELNS1_11target_archE1201ELNS1_3gpuE5ELNS1_3repE0EEENS1_30default_config_static_selectorELNS0_4arch9wavefront6targetE0EEEvT1_,"axG",@progbits,_ZN7rocprim17ROCPRIM_400000_NS6detail17trampoline_kernelINS0_14default_configENS1_25transform_config_selectorIN6thrust23THRUST_200600_302600_NS5tupleIffNS6_9null_typeES8_S8_S8_S8_S8_S8_S8_EELb0EEEZNS1_14transform_implILb0ES3_SA_PS9_NS6_6detail15normal_iteratorINS6_10device_ptrIS9_EEEENS0_8identityIS9_EEEE10hipError_tT2_T3_mT4_P12ihipStream_tbEUlT_E_NS1_11comp_targetILNS1_3genE10ELNS1_11target_archE1201ELNS1_3gpuE5ELNS1_3repE0EEENS1_30default_config_static_selectorELNS0_4arch9wavefront6targetE0EEEvT1_,comdat
.Lfunc_end87:
	.size	_ZN7rocprim17ROCPRIM_400000_NS6detail17trampoline_kernelINS0_14default_configENS1_25transform_config_selectorIN6thrust23THRUST_200600_302600_NS5tupleIffNS6_9null_typeES8_S8_S8_S8_S8_S8_S8_EELb0EEEZNS1_14transform_implILb0ES3_SA_PS9_NS6_6detail15normal_iteratorINS6_10device_ptrIS9_EEEENS0_8identityIS9_EEEE10hipError_tT2_T3_mT4_P12ihipStream_tbEUlT_E_NS1_11comp_targetILNS1_3genE10ELNS1_11target_archE1201ELNS1_3gpuE5ELNS1_3repE0EEENS1_30default_config_static_selectorELNS0_4arch9wavefront6targetE0EEEvT1_, .Lfunc_end87-_ZN7rocprim17ROCPRIM_400000_NS6detail17trampoline_kernelINS0_14default_configENS1_25transform_config_selectorIN6thrust23THRUST_200600_302600_NS5tupleIffNS6_9null_typeES8_S8_S8_S8_S8_S8_S8_EELb0EEEZNS1_14transform_implILb0ES3_SA_PS9_NS6_6detail15normal_iteratorINS6_10device_ptrIS9_EEEENS0_8identityIS9_EEEE10hipError_tT2_T3_mT4_P12ihipStream_tbEUlT_E_NS1_11comp_targetILNS1_3genE10ELNS1_11target_archE1201ELNS1_3gpuE5ELNS1_3repE0EEENS1_30default_config_static_selectorELNS0_4arch9wavefront6targetE0EEEvT1_
                                        ; -- End function
	.set _ZN7rocprim17ROCPRIM_400000_NS6detail17trampoline_kernelINS0_14default_configENS1_25transform_config_selectorIN6thrust23THRUST_200600_302600_NS5tupleIffNS6_9null_typeES8_S8_S8_S8_S8_S8_S8_EELb0EEEZNS1_14transform_implILb0ES3_SA_PS9_NS6_6detail15normal_iteratorINS6_10device_ptrIS9_EEEENS0_8identityIS9_EEEE10hipError_tT2_T3_mT4_P12ihipStream_tbEUlT_E_NS1_11comp_targetILNS1_3genE10ELNS1_11target_archE1201ELNS1_3gpuE5ELNS1_3repE0EEENS1_30default_config_static_selectorELNS0_4arch9wavefront6targetE0EEEvT1_.num_vgpr, 0
	.set _ZN7rocprim17ROCPRIM_400000_NS6detail17trampoline_kernelINS0_14default_configENS1_25transform_config_selectorIN6thrust23THRUST_200600_302600_NS5tupleIffNS6_9null_typeES8_S8_S8_S8_S8_S8_S8_EELb0EEEZNS1_14transform_implILb0ES3_SA_PS9_NS6_6detail15normal_iteratorINS6_10device_ptrIS9_EEEENS0_8identityIS9_EEEE10hipError_tT2_T3_mT4_P12ihipStream_tbEUlT_E_NS1_11comp_targetILNS1_3genE10ELNS1_11target_archE1201ELNS1_3gpuE5ELNS1_3repE0EEENS1_30default_config_static_selectorELNS0_4arch9wavefront6targetE0EEEvT1_.num_agpr, 0
	.set _ZN7rocprim17ROCPRIM_400000_NS6detail17trampoline_kernelINS0_14default_configENS1_25transform_config_selectorIN6thrust23THRUST_200600_302600_NS5tupleIffNS6_9null_typeES8_S8_S8_S8_S8_S8_S8_EELb0EEEZNS1_14transform_implILb0ES3_SA_PS9_NS6_6detail15normal_iteratorINS6_10device_ptrIS9_EEEENS0_8identityIS9_EEEE10hipError_tT2_T3_mT4_P12ihipStream_tbEUlT_E_NS1_11comp_targetILNS1_3genE10ELNS1_11target_archE1201ELNS1_3gpuE5ELNS1_3repE0EEENS1_30default_config_static_selectorELNS0_4arch9wavefront6targetE0EEEvT1_.numbered_sgpr, 0
	.set _ZN7rocprim17ROCPRIM_400000_NS6detail17trampoline_kernelINS0_14default_configENS1_25transform_config_selectorIN6thrust23THRUST_200600_302600_NS5tupleIffNS6_9null_typeES8_S8_S8_S8_S8_S8_S8_EELb0EEEZNS1_14transform_implILb0ES3_SA_PS9_NS6_6detail15normal_iteratorINS6_10device_ptrIS9_EEEENS0_8identityIS9_EEEE10hipError_tT2_T3_mT4_P12ihipStream_tbEUlT_E_NS1_11comp_targetILNS1_3genE10ELNS1_11target_archE1201ELNS1_3gpuE5ELNS1_3repE0EEENS1_30default_config_static_selectorELNS0_4arch9wavefront6targetE0EEEvT1_.num_named_barrier, 0
	.set _ZN7rocprim17ROCPRIM_400000_NS6detail17trampoline_kernelINS0_14default_configENS1_25transform_config_selectorIN6thrust23THRUST_200600_302600_NS5tupleIffNS6_9null_typeES8_S8_S8_S8_S8_S8_S8_EELb0EEEZNS1_14transform_implILb0ES3_SA_PS9_NS6_6detail15normal_iteratorINS6_10device_ptrIS9_EEEENS0_8identityIS9_EEEE10hipError_tT2_T3_mT4_P12ihipStream_tbEUlT_E_NS1_11comp_targetILNS1_3genE10ELNS1_11target_archE1201ELNS1_3gpuE5ELNS1_3repE0EEENS1_30default_config_static_selectorELNS0_4arch9wavefront6targetE0EEEvT1_.private_seg_size, 0
	.set _ZN7rocprim17ROCPRIM_400000_NS6detail17trampoline_kernelINS0_14default_configENS1_25transform_config_selectorIN6thrust23THRUST_200600_302600_NS5tupleIffNS6_9null_typeES8_S8_S8_S8_S8_S8_S8_EELb0EEEZNS1_14transform_implILb0ES3_SA_PS9_NS6_6detail15normal_iteratorINS6_10device_ptrIS9_EEEENS0_8identityIS9_EEEE10hipError_tT2_T3_mT4_P12ihipStream_tbEUlT_E_NS1_11comp_targetILNS1_3genE10ELNS1_11target_archE1201ELNS1_3gpuE5ELNS1_3repE0EEENS1_30default_config_static_selectorELNS0_4arch9wavefront6targetE0EEEvT1_.uses_vcc, 0
	.set _ZN7rocprim17ROCPRIM_400000_NS6detail17trampoline_kernelINS0_14default_configENS1_25transform_config_selectorIN6thrust23THRUST_200600_302600_NS5tupleIffNS6_9null_typeES8_S8_S8_S8_S8_S8_S8_EELb0EEEZNS1_14transform_implILb0ES3_SA_PS9_NS6_6detail15normal_iteratorINS6_10device_ptrIS9_EEEENS0_8identityIS9_EEEE10hipError_tT2_T3_mT4_P12ihipStream_tbEUlT_E_NS1_11comp_targetILNS1_3genE10ELNS1_11target_archE1201ELNS1_3gpuE5ELNS1_3repE0EEENS1_30default_config_static_selectorELNS0_4arch9wavefront6targetE0EEEvT1_.uses_flat_scratch, 0
	.set _ZN7rocprim17ROCPRIM_400000_NS6detail17trampoline_kernelINS0_14default_configENS1_25transform_config_selectorIN6thrust23THRUST_200600_302600_NS5tupleIffNS6_9null_typeES8_S8_S8_S8_S8_S8_S8_EELb0EEEZNS1_14transform_implILb0ES3_SA_PS9_NS6_6detail15normal_iteratorINS6_10device_ptrIS9_EEEENS0_8identityIS9_EEEE10hipError_tT2_T3_mT4_P12ihipStream_tbEUlT_E_NS1_11comp_targetILNS1_3genE10ELNS1_11target_archE1201ELNS1_3gpuE5ELNS1_3repE0EEENS1_30default_config_static_selectorELNS0_4arch9wavefront6targetE0EEEvT1_.has_dyn_sized_stack, 0
	.set _ZN7rocprim17ROCPRIM_400000_NS6detail17trampoline_kernelINS0_14default_configENS1_25transform_config_selectorIN6thrust23THRUST_200600_302600_NS5tupleIffNS6_9null_typeES8_S8_S8_S8_S8_S8_S8_EELb0EEEZNS1_14transform_implILb0ES3_SA_PS9_NS6_6detail15normal_iteratorINS6_10device_ptrIS9_EEEENS0_8identityIS9_EEEE10hipError_tT2_T3_mT4_P12ihipStream_tbEUlT_E_NS1_11comp_targetILNS1_3genE10ELNS1_11target_archE1201ELNS1_3gpuE5ELNS1_3repE0EEENS1_30default_config_static_selectorELNS0_4arch9wavefront6targetE0EEEvT1_.has_recursion, 0
	.set _ZN7rocprim17ROCPRIM_400000_NS6detail17trampoline_kernelINS0_14default_configENS1_25transform_config_selectorIN6thrust23THRUST_200600_302600_NS5tupleIffNS6_9null_typeES8_S8_S8_S8_S8_S8_S8_EELb0EEEZNS1_14transform_implILb0ES3_SA_PS9_NS6_6detail15normal_iteratorINS6_10device_ptrIS9_EEEENS0_8identityIS9_EEEE10hipError_tT2_T3_mT4_P12ihipStream_tbEUlT_E_NS1_11comp_targetILNS1_3genE10ELNS1_11target_archE1201ELNS1_3gpuE5ELNS1_3repE0EEENS1_30default_config_static_selectorELNS0_4arch9wavefront6targetE0EEEvT1_.has_indirect_call, 0
	.section	.AMDGPU.csdata,"",@progbits
; Kernel info:
; codeLenInByte = 0
; TotalNumSgprs: 0
; NumVgprs: 0
; ScratchSize: 0
; MemoryBound: 0
; FloatMode: 240
; IeeeMode: 1
; LDSByteSize: 0 bytes/workgroup (compile time only)
; SGPRBlocks: 0
; VGPRBlocks: 0
; NumSGPRsForWavesPerEU: 1
; NumVGPRsForWavesPerEU: 1
; NamedBarCnt: 0
; Occupancy: 16
; WaveLimiterHint : 0
; COMPUTE_PGM_RSRC2:SCRATCH_EN: 0
; COMPUTE_PGM_RSRC2:USER_SGPR: 2
; COMPUTE_PGM_RSRC2:TRAP_HANDLER: 0
; COMPUTE_PGM_RSRC2:TGID_X_EN: 1
; COMPUTE_PGM_RSRC2:TGID_Y_EN: 0
; COMPUTE_PGM_RSRC2:TGID_Z_EN: 0
; COMPUTE_PGM_RSRC2:TIDIG_COMP_CNT: 0
	.section	.text._ZN7rocprim17ROCPRIM_400000_NS6detail17trampoline_kernelINS0_14default_configENS1_25transform_config_selectorIN6thrust23THRUST_200600_302600_NS5tupleIffNS6_9null_typeES8_S8_S8_S8_S8_S8_S8_EELb0EEEZNS1_14transform_implILb0ES3_SA_PS9_NS6_6detail15normal_iteratorINS6_10device_ptrIS9_EEEENS0_8identityIS9_EEEE10hipError_tT2_T3_mT4_P12ihipStream_tbEUlT_E_NS1_11comp_targetILNS1_3genE10ELNS1_11target_archE1200ELNS1_3gpuE4ELNS1_3repE0EEENS1_30default_config_static_selectorELNS0_4arch9wavefront6targetE0EEEvT1_,"axG",@progbits,_ZN7rocprim17ROCPRIM_400000_NS6detail17trampoline_kernelINS0_14default_configENS1_25transform_config_selectorIN6thrust23THRUST_200600_302600_NS5tupleIffNS6_9null_typeES8_S8_S8_S8_S8_S8_S8_EELb0EEEZNS1_14transform_implILb0ES3_SA_PS9_NS6_6detail15normal_iteratorINS6_10device_ptrIS9_EEEENS0_8identityIS9_EEEE10hipError_tT2_T3_mT4_P12ihipStream_tbEUlT_E_NS1_11comp_targetILNS1_3genE10ELNS1_11target_archE1200ELNS1_3gpuE4ELNS1_3repE0EEENS1_30default_config_static_selectorELNS0_4arch9wavefront6targetE0EEEvT1_,comdat
	.protected	_ZN7rocprim17ROCPRIM_400000_NS6detail17trampoline_kernelINS0_14default_configENS1_25transform_config_selectorIN6thrust23THRUST_200600_302600_NS5tupleIffNS6_9null_typeES8_S8_S8_S8_S8_S8_S8_EELb0EEEZNS1_14transform_implILb0ES3_SA_PS9_NS6_6detail15normal_iteratorINS6_10device_ptrIS9_EEEENS0_8identityIS9_EEEE10hipError_tT2_T3_mT4_P12ihipStream_tbEUlT_E_NS1_11comp_targetILNS1_3genE10ELNS1_11target_archE1200ELNS1_3gpuE4ELNS1_3repE0EEENS1_30default_config_static_selectorELNS0_4arch9wavefront6targetE0EEEvT1_ ; -- Begin function _ZN7rocprim17ROCPRIM_400000_NS6detail17trampoline_kernelINS0_14default_configENS1_25transform_config_selectorIN6thrust23THRUST_200600_302600_NS5tupleIffNS6_9null_typeES8_S8_S8_S8_S8_S8_S8_EELb0EEEZNS1_14transform_implILb0ES3_SA_PS9_NS6_6detail15normal_iteratorINS6_10device_ptrIS9_EEEENS0_8identityIS9_EEEE10hipError_tT2_T3_mT4_P12ihipStream_tbEUlT_E_NS1_11comp_targetILNS1_3genE10ELNS1_11target_archE1200ELNS1_3gpuE4ELNS1_3repE0EEENS1_30default_config_static_selectorELNS0_4arch9wavefront6targetE0EEEvT1_
	.globl	_ZN7rocprim17ROCPRIM_400000_NS6detail17trampoline_kernelINS0_14default_configENS1_25transform_config_selectorIN6thrust23THRUST_200600_302600_NS5tupleIffNS6_9null_typeES8_S8_S8_S8_S8_S8_S8_EELb0EEEZNS1_14transform_implILb0ES3_SA_PS9_NS6_6detail15normal_iteratorINS6_10device_ptrIS9_EEEENS0_8identityIS9_EEEE10hipError_tT2_T3_mT4_P12ihipStream_tbEUlT_E_NS1_11comp_targetILNS1_3genE10ELNS1_11target_archE1200ELNS1_3gpuE4ELNS1_3repE0EEENS1_30default_config_static_selectorELNS0_4arch9wavefront6targetE0EEEvT1_
	.p2align	8
	.type	_ZN7rocprim17ROCPRIM_400000_NS6detail17trampoline_kernelINS0_14default_configENS1_25transform_config_selectorIN6thrust23THRUST_200600_302600_NS5tupleIffNS6_9null_typeES8_S8_S8_S8_S8_S8_S8_EELb0EEEZNS1_14transform_implILb0ES3_SA_PS9_NS6_6detail15normal_iteratorINS6_10device_ptrIS9_EEEENS0_8identityIS9_EEEE10hipError_tT2_T3_mT4_P12ihipStream_tbEUlT_E_NS1_11comp_targetILNS1_3genE10ELNS1_11target_archE1200ELNS1_3gpuE4ELNS1_3repE0EEENS1_30default_config_static_selectorELNS0_4arch9wavefront6targetE0EEEvT1_,@function
_ZN7rocprim17ROCPRIM_400000_NS6detail17trampoline_kernelINS0_14default_configENS1_25transform_config_selectorIN6thrust23THRUST_200600_302600_NS5tupleIffNS6_9null_typeES8_S8_S8_S8_S8_S8_S8_EELb0EEEZNS1_14transform_implILb0ES3_SA_PS9_NS6_6detail15normal_iteratorINS6_10device_ptrIS9_EEEENS0_8identityIS9_EEEE10hipError_tT2_T3_mT4_P12ihipStream_tbEUlT_E_NS1_11comp_targetILNS1_3genE10ELNS1_11target_archE1200ELNS1_3gpuE4ELNS1_3repE0EEENS1_30default_config_static_selectorELNS0_4arch9wavefront6targetE0EEEvT1_: ; @_ZN7rocprim17ROCPRIM_400000_NS6detail17trampoline_kernelINS0_14default_configENS1_25transform_config_selectorIN6thrust23THRUST_200600_302600_NS5tupleIffNS6_9null_typeES8_S8_S8_S8_S8_S8_S8_EELb0EEEZNS1_14transform_implILb0ES3_SA_PS9_NS6_6detail15normal_iteratorINS6_10device_ptrIS9_EEEENS0_8identityIS9_EEEE10hipError_tT2_T3_mT4_P12ihipStream_tbEUlT_E_NS1_11comp_targetILNS1_3genE10ELNS1_11target_archE1200ELNS1_3gpuE4ELNS1_3repE0EEENS1_30default_config_static_selectorELNS0_4arch9wavefront6targetE0EEEvT1_
; %bb.0:
	.section	.rodata,"a",@progbits
	.p2align	6, 0x0
	.amdhsa_kernel _ZN7rocprim17ROCPRIM_400000_NS6detail17trampoline_kernelINS0_14default_configENS1_25transform_config_selectorIN6thrust23THRUST_200600_302600_NS5tupleIffNS6_9null_typeES8_S8_S8_S8_S8_S8_S8_EELb0EEEZNS1_14transform_implILb0ES3_SA_PS9_NS6_6detail15normal_iteratorINS6_10device_ptrIS9_EEEENS0_8identityIS9_EEEE10hipError_tT2_T3_mT4_P12ihipStream_tbEUlT_E_NS1_11comp_targetILNS1_3genE10ELNS1_11target_archE1200ELNS1_3gpuE4ELNS1_3repE0EEENS1_30default_config_static_selectorELNS0_4arch9wavefront6targetE0EEEvT1_
		.amdhsa_group_segment_fixed_size 0
		.amdhsa_private_segment_fixed_size 0
		.amdhsa_kernarg_size 40
		.amdhsa_user_sgpr_count 2
		.amdhsa_user_sgpr_dispatch_ptr 0
		.amdhsa_user_sgpr_queue_ptr 0
		.amdhsa_user_sgpr_kernarg_segment_ptr 1
		.amdhsa_user_sgpr_dispatch_id 0
		.amdhsa_user_sgpr_kernarg_preload_length 0
		.amdhsa_user_sgpr_kernarg_preload_offset 0
		.amdhsa_user_sgpr_private_segment_size 0
		.amdhsa_wavefront_size32 1
		.amdhsa_uses_dynamic_stack 0
		.amdhsa_enable_private_segment 0
		.amdhsa_system_sgpr_workgroup_id_x 1
		.amdhsa_system_sgpr_workgroup_id_y 0
		.amdhsa_system_sgpr_workgroup_id_z 0
		.amdhsa_system_sgpr_workgroup_info 0
		.amdhsa_system_vgpr_workitem_id 0
		.amdhsa_next_free_vgpr 1
		.amdhsa_next_free_sgpr 1
		.amdhsa_named_barrier_count 0
		.amdhsa_reserve_vcc 0
		.amdhsa_float_round_mode_32 0
		.amdhsa_float_round_mode_16_64 0
		.amdhsa_float_denorm_mode_32 3
		.amdhsa_float_denorm_mode_16_64 3
		.amdhsa_fp16_overflow 0
		.amdhsa_memory_ordered 1
		.amdhsa_forward_progress 1
		.amdhsa_inst_pref_size 0
		.amdhsa_round_robin_scheduling 0
		.amdhsa_exception_fp_ieee_invalid_op 0
		.amdhsa_exception_fp_denorm_src 0
		.amdhsa_exception_fp_ieee_div_zero 0
		.amdhsa_exception_fp_ieee_overflow 0
		.amdhsa_exception_fp_ieee_underflow 0
		.amdhsa_exception_fp_ieee_inexact 0
		.amdhsa_exception_int_div_zero 0
	.end_amdhsa_kernel
	.section	.text._ZN7rocprim17ROCPRIM_400000_NS6detail17trampoline_kernelINS0_14default_configENS1_25transform_config_selectorIN6thrust23THRUST_200600_302600_NS5tupleIffNS6_9null_typeES8_S8_S8_S8_S8_S8_S8_EELb0EEEZNS1_14transform_implILb0ES3_SA_PS9_NS6_6detail15normal_iteratorINS6_10device_ptrIS9_EEEENS0_8identityIS9_EEEE10hipError_tT2_T3_mT4_P12ihipStream_tbEUlT_E_NS1_11comp_targetILNS1_3genE10ELNS1_11target_archE1200ELNS1_3gpuE4ELNS1_3repE0EEENS1_30default_config_static_selectorELNS0_4arch9wavefront6targetE0EEEvT1_,"axG",@progbits,_ZN7rocprim17ROCPRIM_400000_NS6detail17trampoline_kernelINS0_14default_configENS1_25transform_config_selectorIN6thrust23THRUST_200600_302600_NS5tupleIffNS6_9null_typeES8_S8_S8_S8_S8_S8_S8_EELb0EEEZNS1_14transform_implILb0ES3_SA_PS9_NS6_6detail15normal_iteratorINS6_10device_ptrIS9_EEEENS0_8identityIS9_EEEE10hipError_tT2_T3_mT4_P12ihipStream_tbEUlT_E_NS1_11comp_targetILNS1_3genE10ELNS1_11target_archE1200ELNS1_3gpuE4ELNS1_3repE0EEENS1_30default_config_static_selectorELNS0_4arch9wavefront6targetE0EEEvT1_,comdat
.Lfunc_end88:
	.size	_ZN7rocprim17ROCPRIM_400000_NS6detail17trampoline_kernelINS0_14default_configENS1_25transform_config_selectorIN6thrust23THRUST_200600_302600_NS5tupleIffNS6_9null_typeES8_S8_S8_S8_S8_S8_S8_EELb0EEEZNS1_14transform_implILb0ES3_SA_PS9_NS6_6detail15normal_iteratorINS6_10device_ptrIS9_EEEENS0_8identityIS9_EEEE10hipError_tT2_T3_mT4_P12ihipStream_tbEUlT_E_NS1_11comp_targetILNS1_3genE10ELNS1_11target_archE1200ELNS1_3gpuE4ELNS1_3repE0EEENS1_30default_config_static_selectorELNS0_4arch9wavefront6targetE0EEEvT1_, .Lfunc_end88-_ZN7rocprim17ROCPRIM_400000_NS6detail17trampoline_kernelINS0_14default_configENS1_25transform_config_selectorIN6thrust23THRUST_200600_302600_NS5tupleIffNS6_9null_typeES8_S8_S8_S8_S8_S8_S8_EELb0EEEZNS1_14transform_implILb0ES3_SA_PS9_NS6_6detail15normal_iteratorINS6_10device_ptrIS9_EEEENS0_8identityIS9_EEEE10hipError_tT2_T3_mT4_P12ihipStream_tbEUlT_E_NS1_11comp_targetILNS1_3genE10ELNS1_11target_archE1200ELNS1_3gpuE4ELNS1_3repE0EEENS1_30default_config_static_selectorELNS0_4arch9wavefront6targetE0EEEvT1_
                                        ; -- End function
	.set _ZN7rocprim17ROCPRIM_400000_NS6detail17trampoline_kernelINS0_14default_configENS1_25transform_config_selectorIN6thrust23THRUST_200600_302600_NS5tupleIffNS6_9null_typeES8_S8_S8_S8_S8_S8_S8_EELb0EEEZNS1_14transform_implILb0ES3_SA_PS9_NS6_6detail15normal_iteratorINS6_10device_ptrIS9_EEEENS0_8identityIS9_EEEE10hipError_tT2_T3_mT4_P12ihipStream_tbEUlT_E_NS1_11comp_targetILNS1_3genE10ELNS1_11target_archE1200ELNS1_3gpuE4ELNS1_3repE0EEENS1_30default_config_static_selectorELNS0_4arch9wavefront6targetE0EEEvT1_.num_vgpr, 0
	.set _ZN7rocprim17ROCPRIM_400000_NS6detail17trampoline_kernelINS0_14default_configENS1_25transform_config_selectorIN6thrust23THRUST_200600_302600_NS5tupleIffNS6_9null_typeES8_S8_S8_S8_S8_S8_S8_EELb0EEEZNS1_14transform_implILb0ES3_SA_PS9_NS6_6detail15normal_iteratorINS6_10device_ptrIS9_EEEENS0_8identityIS9_EEEE10hipError_tT2_T3_mT4_P12ihipStream_tbEUlT_E_NS1_11comp_targetILNS1_3genE10ELNS1_11target_archE1200ELNS1_3gpuE4ELNS1_3repE0EEENS1_30default_config_static_selectorELNS0_4arch9wavefront6targetE0EEEvT1_.num_agpr, 0
	.set _ZN7rocprim17ROCPRIM_400000_NS6detail17trampoline_kernelINS0_14default_configENS1_25transform_config_selectorIN6thrust23THRUST_200600_302600_NS5tupleIffNS6_9null_typeES8_S8_S8_S8_S8_S8_S8_EELb0EEEZNS1_14transform_implILb0ES3_SA_PS9_NS6_6detail15normal_iteratorINS6_10device_ptrIS9_EEEENS0_8identityIS9_EEEE10hipError_tT2_T3_mT4_P12ihipStream_tbEUlT_E_NS1_11comp_targetILNS1_3genE10ELNS1_11target_archE1200ELNS1_3gpuE4ELNS1_3repE0EEENS1_30default_config_static_selectorELNS0_4arch9wavefront6targetE0EEEvT1_.numbered_sgpr, 0
	.set _ZN7rocprim17ROCPRIM_400000_NS6detail17trampoline_kernelINS0_14default_configENS1_25transform_config_selectorIN6thrust23THRUST_200600_302600_NS5tupleIffNS6_9null_typeES8_S8_S8_S8_S8_S8_S8_EELb0EEEZNS1_14transform_implILb0ES3_SA_PS9_NS6_6detail15normal_iteratorINS6_10device_ptrIS9_EEEENS0_8identityIS9_EEEE10hipError_tT2_T3_mT4_P12ihipStream_tbEUlT_E_NS1_11comp_targetILNS1_3genE10ELNS1_11target_archE1200ELNS1_3gpuE4ELNS1_3repE0EEENS1_30default_config_static_selectorELNS0_4arch9wavefront6targetE0EEEvT1_.num_named_barrier, 0
	.set _ZN7rocprim17ROCPRIM_400000_NS6detail17trampoline_kernelINS0_14default_configENS1_25transform_config_selectorIN6thrust23THRUST_200600_302600_NS5tupleIffNS6_9null_typeES8_S8_S8_S8_S8_S8_S8_EELb0EEEZNS1_14transform_implILb0ES3_SA_PS9_NS6_6detail15normal_iteratorINS6_10device_ptrIS9_EEEENS0_8identityIS9_EEEE10hipError_tT2_T3_mT4_P12ihipStream_tbEUlT_E_NS1_11comp_targetILNS1_3genE10ELNS1_11target_archE1200ELNS1_3gpuE4ELNS1_3repE0EEENS1_30default_config_static_selectorELNS0_4arch9wavefront6targetE0EEEvT1_.private_seg_size, 0
	.set _ZN7rocprim17ROCPRIM_400000_NS6detail17trampoline_kernelINS0_14default_configENS1_25transform_config_selectorIN6thrust23THRUST_200600_302600_NS5tupleIffNS6_9null_typeES8_S8_S8_S8_S8_S8_S8_EELb0EEEZNS1_14transform_implILb0ES3_SA_PS9_NS6_6detail15normal_iteratorINS6_10device_ptrIS9_EEEENS0_8identityIS9_EEEE10hipError_tT2_T3_mT4_P12ihipStream_tbEUlT_E_NS1_11comp_targetILNS1_3genE10ELNS1_11target_archE1200ELNS1_3gpuE4ELNS1_3repE0EEENS1_30default_config_static_selectorELNS0_4arch9wavefront6targetE0EEEvT1_.uses_vcc, 0
	.set _ZN7rocprim17ROCPRIM_400000_NS6detail17trampoline_kernelINS0_14default_configENS1_25transform_config_selectorIN6thrust23THRUST_200600_302600_NS5tupleIffNS6_9null_typeES8_S8_S8_S8_S8_S8_S8_EELb0EEEZNS1_14transform_implILb0ES3_SA_PS9_NS6_6detail15normal_iteratorINS6_10device_ptrIS9_EEEENS0_8identityIS9_EEEE10hipError_tT2_T3_mT4_P12ihipStream_tbEUlT_E_NS1_11comp_targetILNS1_3genE10ELNS1_11target_archE1200ELNS1_3gpuE4ELNS1_3repE0EEENS1_30default_config_static_selectorELNS0_4arch9wavefront6targetE0EEEvT1_.uses_flat_scratch, 0
	.set _ZN7rocprim17ROCPRIM_400000_NS6detail17trampoline_kernelINS0_14default_configENS1_25transform_config_selectorIN6thrust23THRUST_200600_302600_NS5tupleIffNS6_9null_typeES8_S8_S8_S8_S8_S8_S8_EELb0EEEZNS1_14transform_implILb0ES3_SA_PS9_NS6_6detail15normal_iteratorINS6_10device_ptrIS9_EEEENS0_8identityIS9_EEEE10hipError_tT2_T3_mT4_P12ihipStream_tbEUlT_E_NS1_11comp_targetILNS1_3genE10ELNS1_11target_archE1200ELNS1_3gpuE4ELNS1_3repE0EEENS1_30default_config_static_selectorELNS0_4arch9wavefront6targetE0EEEvT1_.has_dyn_sized_stack, 0
	.set _ZN7rocprim17ROCPRIM_400000_NS6detail17trampoline_kernelINS0_14default_configENS1_25transform_config_selectorIN6thrust23THRUST_200600_302600_NS5tupleIffNS6_9null_typeES8_S8_S8_S8_S8_S8_S8_EELb0EEEZNS1_14transform_implILb0ES3_SA_PS9_NS6_6detail15normal_iteratorINS6_10device_ptrIS9_EEEENS0_8identityIS9_EEEE10hipError_tT2_T3_mT4_P12ihipStream_tbEUlT_E_NS1_11comp_targetILNS1_3genE10ELNS1_11target_archE1200ELNS1_3gpuE4ELNS1_3repE0EEENS1_30default_config_static_selectorELNS0_4arch9wavefront6targetE0EEEvT1_.has_recursion, 0
	.set _ZN7rocprim17ROCPRIM_400000_NS6detail17trampoline_kernelINS0_14default_configENS1_25transform_config_selectorIN6thrust23THRUST_200600_302600_NS5tupleIffNS6_9null_typeES8_S8_S8_S8_S8_S8_S8_EELb0EEEZNS1_14transform_implILb0ES3_SA_PS9_NS6_6detail15normal_iteratorINS6_10device_ptrIS9_EEEENS0_8identityIS9_EEEE10hipError_tT2_T3_mT4_P12ihipStream_tbEUlT_E_NS1_11comp_targetILNS1_3genE10ELNS1_11target_archE1200ELNS1_3gpuE4ELNS1_3repE0EEENS1_30default_config_static_selectorELNS0_4arch9wavefront6targetE0EEEvT1_.has_indirect_call, 0
	.section	.AMDGPU.csdata,"",@progbits
; Kernel info:
; codeLenInByte = 0
; TotalNumSgprs: 0
; NumVgprs: 0
; ScratchSize: 0
; MemoryBound: 0
; FloatMode: 240
; IeeeMode: 1
; LDSByteSize: 0 bytes/workgroup (compile time only)
; SGPRBlocks: 0
; VGPRBlocks: 0
; NumSGPRsForWavesPerEU: 1
; NumVGPRsForWavesPerEU: 1
; NamedBarCnt: 0
; Occupancy: 16
; WaveLimiterHint : 0
; COMPUTE_PGM_RSRC2:SCRATCH_EN: 0
; COMPUTE_PGM_RSRC2:USER_SGPR: 2
; COMPUTE_PGM_RSRC2:TRAP_HANDLER: 0
; COMPUTE_PGM_RSRC2:TGID_X_EN: 1
; COMPUTE_PGM_RSRC2:TGID_Y_EN: 0
; COMPUTE_PGM_RSRC2:TGID_Z_EN: 0
; COMPUTE_PGM_RSRC2:TIDIG_COMP_CNT: 0
	.section	.text._ZN7rocprim17ROCPRIM_400000_NS6detail17trampoline_kernelINS0_14default_configENS1_25transform_config_selectorIN6thrust23THRUST_200600_302600_NS5tupleIffNS6_9null_typeES8_S8_S8_S8_S8_S8_S8_EELb0EEEZNS1_14transform_implILb0ES3_SA_PS9_NS6_6detail15normal_iteratorINS6_10device_ptrIS9_EEEENS0_8identityIS9_EEEE10hipError_tT2_T3_mT4_P12ihipStream_tbEUlT_E_NS1_11comp_targetILNS1_3genE9ELNS1_11target_archE1100ELNS1_3gpuE3ELNS1_3repE0EEENS1_30default_config_static_selectorELNS0_4arch9wavefront6targetE0EEEvT1_,"axG",@progbits,_ZN7rocprim17ROCPRIM_400000_NS6detail17trampoline_kernelINS0_14default_configENS1_25transform_config_selectorIN6thrust23THRUST_200600_302600_NS5tupleIffNS6_9null_typeES8_S8_S8_S8_S8_S8_S8_EELb0EEEZNS1_14transform_implILb0ES3_SA_PS9_NS6_6detail15normal_iteratorINS6_10device_ptrIS9_EEEENS0_8identityIS9_EEEE10hipError_tT2_T3_mT4_P12ihipStream_tbEUlT_E_NS1_11comp_targetILNS1_3genE9ELNS1_11target_archE1100ELNS1_3gpuE3ELNS1_3repE0EEENS1_30default_config_static_selectorELNS0_4arch9wavefront6targetE0EEEvT1_,comdat
	.protected	_ZN7rocprim17ROCPRIM_400000_NS6detail17trampoline_kernelINS0_14default_configENS1_25transform_config_selectorIN6thrust23THRUST_200600_302600_NS5tupleIffNS6_9null_typeES8_S8_S8_S8_S8_S8_S8_EELb0EEEZNS1_14transform_implILb0ES3_SA_PS9_NS6_6detail15normal_iteratorINS6_10device_ptrIS9_EEEENS0_8identityIS9_EEEE10hipError_tT2_T3_mT4_P12ihipStream_tbEUlT_E_NS1_11comp_targetILNS1_3genE9ELNS1_11target_archE1100ELNS1_3gpuE3ELNS1_3repE0EEENS1_30default_config_static_selectorELNS0_4arch9wavefront6targetE0EEEvT1_ ; -- Begin function _ZN7rocprim17ROCPRIM_400000_NS6detail17trampoline_kernelINS0_14default_configENS1_25transform_config_selectorIN6thrust23THRUST_200600_302600_NS5tupleIffNS6_9null_typeES8_S8_S8_S8_S8_S8_S8_EELb0EEEZNS1_14transform_implILb0ES3_SA_PS9_NS6_6detail15normal_iteratorINS6_10device_ptrIS9_EEEENS0_8identityIS9_EEEE10hipError_tT2_T3_mT4_P12ihipStream_tbEUlT_E_NS1_11comp_targetILNS1_3genE9ELNS1_11target_archE1100ELNS1_3gpuE3ELNS1_3repE0EEENS1_30default_config_static_selectorELNS0_4arch9wavefront6targetE0EEEvT1_
	.globl	_ZN7rocprim17ROCPRIM_400000_NS6detail17trampoline_kernelINS0_14default_configENS1_25transform_config_selectorIN6thrust23THRUST_200600_302600_NS5tupleIffNS6_9null_typeES8_S8_S8_S8_S8_S8_S8_EELb0EEEZNS1_14transform_implILb0ES3_SA_PS9_NS6_6detail15normal_iteratorINS6_10device_ptrIS9_EEEENS0_8identityIS9_EEEE10hipError_tT2_T3_mT4_P12ihipStream_tbEUlT_E_NS1_11comp_targetILNS1_3genE9ELNS1_11target_archE1100ELNS1_3gpuE3ELNS1_3repE0EEENS1_30default_config_static_selectorELNS0_4arch9wavefront6targetE0EEEvT1_
	.p2align	8
	.type	_ZN7rocprim17ROCPRIM_400000_NS6detail17trampoline_kernelINS0_14default_configENS1_25transform_config_selectorIN6thrust23THRUST_200600_302600_NS5tupleIffNS6_9null_typeES8_S8_S8_S8_S8_S8_S8_EELb0EEEZNS1_14transform_implILb0ES3_SA_PS9_NS6_6detail15normal_iteratorINS6_10device_ptrIS9_EEEENS0_8identityIS9_EEEE10hipError_tT2_T3_mT4_P12ihipStream_tbEUlT_E_NS1_11comp_targetILNS1_3genE9ELNS1_11target_archE1100ELNS1_3gpuE3ELNS1_3repE0EEENS1_30default_config_static_selectorELNS0_4arch9wavefront6targetE0EEEvT1_,@function
_ZN7rocprim17ROCPRIM_400000_NS6detail17trampoline_kernelINS0_14default_configENS1_25transform_config_selectorIN6thrust23THRUST_200600_302600_NS5tupleIffNS6_9null_typeES8_S8_S8_S8_S8_S8_S8_EELb0EEEZNS1_14transform_implILb0ES3_SA_PS9_NS6_6detail15normal_iteratorINS6_10device_ptrIS9_EEEENS0_8identityIS9_EEEE10hipError_tT2_T3_mT4_P12ihipStream_tbEUlT_E_NS1_11comp_targetILNS1_3genE9ELNS1_11target_archE1100ELNS1_3gpuE3ELNS1_3repE0EEENS1_30default_config_static_selectorELNS0_4arch9wavefront6targetE0EEEvT1_: ; @_ZN7rocprim17ROCPRIM_400000_NS6detail17trampoline_kernelINS0_14default_configENS1_25transform_config_selectorIN6thrust23THRUST_200600_302600_NS5tupleIffNS6_9null_typeES8_S8_S8_S8_S8_S8_S8_EELb0EEEZNS1_14transform_implILb0ES3_SA_PS9_NS6_6detail15normal_iteratorINS6_10device_ptrIS9_EEEENS0_8identityIS9_EEEE10hipError_tT2_T3_mT4_P12ihipStream_tbEUlT_E_NS1_11comp_targetILNS1_3genE9ELNS1_11target_archE1100ELNS1_3gpuE3ELNS1_3repE0EEENS1_30default_config_static_selectorELNS0_4arch9wavefront6targetE0EEEvT1_
; %bb.0:
	.section	.rodata,"a",@progbits
	.p2align	6, 0x0
	.amdhsa_kernel _ZN7rocprim17ROCPRIM_400000_NS6detail17trampoline_kernelINS0_14default_configENS1_25transform_config_selectorIN6thrust23THRUST_200600_302600_NS5tupleIffNS6_9null_typeES8_S8_S8_S8_S8_S8_S8_EELb0EEEZNS1_14transform_implILb0ES3_SA_PS9_NS6_6detail15normal_iteratorINS6_10device_ptrIS9_EEEENS0_8identityIS9_EEEE10hipError_tT2_T3_mT4_P12ihipStream_tbEUlT_E_NS1_11comp_targetILNS1_3genE9ELNS1_11target_archE1100ELNS1_3gpuE3ELNS1_3repE0EEENS1_30default_config_static_selectorELNS0_4arch9wavefront6targetE0EEEvT1_
		.amdhsa_group_segment_fixed_size 0
		.amdhsa_private_segment_fixed_size 0
		.amdhsa_kernarg_size 40
		.amdhsa_user_sgpr_count 2
		.amdhsa_user_sgpr_dispatch_ptr 0
		.amdhsa_user_sgpr_queue_ptr 0
		.amdhsa_user_sgpr_kernarg_segment_ptr 1
		.amdhsa_user_sgpr_dispatch_id 0
		.amdhsa_user_sgpr_kernarg_preload_length 0
		.amdhsa_user_sgpr_kernarg_preload_offset 0
		.amdhsa_user_sgpr_private_segment_size 0
		.amdhsa_wavefront_size32 1
		.amdhsa_uses_dynamic_stack 0
		.amdhsa_enable_private_segment 0
		.amdhsa_system_sgpr_workgroup_id_x 1
		.amdhsa_system_sgpr_workgroup_id_y 0
		.amdhsa_system_sgpr_workgroup_id_z 0
		.amdhsa_system_sgpr_workgroup_info 0
		.amdhsa_system_vgpr_workitem_id 0
		.amdhsa_next_free_vgpr 1
		.amdhsa_next_free_sgpr 1
		.amdhsa_named_barrier_count 0
		.amdhsa_reserve_vcc 0
		.amdhsa_float_round_mode_32 0
		.amdhsa_float_round_mode_16_64 0
		.amdhsa_float_denorm_mode_32 3
		.amdhsa_float_denorm_mode_16_64 3
		.amdhsa_fp16_overflow 0
		.amdhsa_memory_ordered 1
		.amdhsa_forward_progress 1
		.amdhsa_inst_pref_size 0
		.amdhsa_round_robin_scheduling 0
		.amdhsa_exception_fp_ieee_invalid_op 0
		.amdhsa_exception_fp_denorm_src 0
		.amdhsa_exception_fp_ieee_div_zero 0
		.amdhsa_exception_fp_ieee_overflow 0
		.amdhsa_exception_fp_ieee_underflow 0
		.amdhsa_exception_fp_ieee_inexact 0
		.amdhsa_exception_int_div_zero 0
	.end_amdhsa_kernel
	.section	.text._ZN7rocprim17ROCPRIM_400000_NS6detail17trampoline_kernelINS0_14default_configENS1_25transform_config_selectorIN6thrust23THRUST_200600_302600_NS5tupleIffNS6_9null_typeES8_S8_S8_S8_S8_S8_S8_EELb0EEEZNS1_14transform_implILb0ES3_SA_PS9_NS6_6detail15normal_iteratorINS6_10device_ptrIS9_EEEENS0_8identityIS9_EEEE10hipError_tT2_T3_mT4_P12ihipStream_tbEUlT_E_NS1_11comp_targetILNS1_3genE9ELNS1_11target_archE1100ELNS1_3gpuE3ELNS1_3repE0EEENS1_30default_config_static_selectorELNS0_4arch9wavefront6targetE0EEEvT1_,"axG",@progbits,_ZN7rocprim17ROCPRIM_400000_NS6detail17trampoline_kernelINS0_14default_configENS1_25transform_config_selectorIN6thrust23THRUST_200600_302600_NS5tupleIffNS6_9null_typeES8_S8_S8_S8_S8_S8_S8_EELb0EEEZNS1_14transform_implILb0ES3_SA_PS9_NS6_6detail15normal_iteratorINS6_10device_ptrIS9_EEEENS0_8identityIS9_EEEE10hipError_tT2_T3_mT4_P12ihipStream_tbEUlT_E_NS1_11comp_targetILNS1_3genE9ELNS1_11target_archE1100ELNS1_3gpuE3ELNS1_3repE0EEENS1_30default_config_static_selectorELNS0_4arch9wavefront6targetE0EEEvT1_,comdat
.Lfunc_end89:
	.size	_ZN7rocprim17ROCPRIM_400000_NS6detail17trampoline_kernelINS0_14default_configENS1_25transform_config_selectorIN6thrust23THRUST_200600_302600_NS5tupleIffNS6_9null_typeES8_S8_S8_S8_S8_S8_S8_EELb0EEEZNS1_14transform_implILb0ES3_SA_PS9_NS6_6detail15normal_iteratorINS6_10device_ptrIS9_EEEENS0_8identityIS9_EEEE10hipError_tT2_T3_mT4_P12ihipStream_tbEUlT_E_NS1_11comp_targetILNS1_3genE9ELNS1_11target_archE1100ELNS1_3gpuE3ELNS1_3repE0EEENS1_30default_config_static_selectorELNS0_4arch9wavefront6targetE0EEEvT1_, .Lfunc_end89-_ZN7rocprim17ROCPRIM_400000_NS6detail17trampoline_kernelINS0_14default_configENS1_25transform_config_selectorIN6thrust23THRUST_200600_302600_NS5tupleIffNS6_9null_typeES8_S8_S8_S8_S8_S8_S8_EELb0EEEZNS1_14transform_implILb0ES3_SA_PS9_NS6_6detail15normal_iteratorINS6_10device_ptrIS9_EEEENS0_8identityIS9_EEEE10hipError_tT2_T3_mT4_P12ihipStream_tbEUlT_E_NS1_11comp_targetILNS1_3genE9ELNS1_11target_archE1100ELNS1_3gpuE3ELNS1_3repE0EEENS1_30default_config_static_selectorELNS0_4arch9wavefront6targetE0EEEvT1_
                                        ; -- End function
	.set _ZN7rocprim17ROCPRIM_400000_NS6detail17trampoline_kernelINS0_14default_configENS1_25transform_config_selectorIN6thrust23THRUST_200600_302600_NS5tupleIffNS6_9null_typeES8_S8_S8_S8_S8_S8_S8_EELb0EEEZNS1_14transform_implILb0ES3_SA_PS9_NS6_6detail15normal_iteratorINS6_10device_ptrIS9_EEEENS0_8identityIS9_EEEE10hipError_tT2_T3_mT4_P12ihipStream_tbEUlT_E_NS1_11comp_targetILNS1_3genE9ELNS1_11target_archE1100ELNS1_3gpuE3ELNS1_3repE0EEENS1_30default_config_static_selectorELNS0_4arch9wavefront6targetE0EEEvT1_.num_vgpr, 0
	.set _ZN7rocprim17ROCPRIM_400000_NS6detail17trampoline_kernelINS0_14default_configENS1_25transform_config_selectorIN6thrust23THRUST_200600_302600_NS5tupleIffNS6_9null_typeES8_S8_S8_S8_S8_S8_S8_EELb0EEEZNS1_14transform_implILb0ES3_SA_PS9_NS6_6detail15normal_iteratorINS6_10device_ptrIS9_EEEENS0_8identityIS9_EEEE10hipError_tT2_T3_mT4_P12ihipStream_tbEUlT_E_NS1_11comp_targetILNS1_3genE9ELNS1_11target_archE1100ELNS1_3gpuE3ELNS1_3repE0EEENS1_30default_config_static_selectorELNS0_4arch9wavefront6targetE0EEEvT1_.num_agpr, 0
	.set _ZN7rocprim17ROCPRIM_400000_NS6detail17trampoline_kernelINS0_14default_configENS1_25transform_config_selectorIN6thrust23THRUST_200600_302600_NS5tupleIffNS6_9null_typeES8_S8_S8_S8_S8_S8_S8_EELb0EEEZNS1_14transform_implILb0ES3_SA_PS9_NS6_6detail15normal_iteratorINS6_10device_ptrIS9_EEEENS0_8identityIS9_EEEE10hipError_tT2_T3_mT4_P12ihipStream_tbEUlT_E_NS1_11comp_targetILNS1_3genE9ELNS1_11target_archE1100ELNS1_3gpuE3ELNS1_3repE0EEENS1_30default_config_static_selectorELNS0_4arch9wavefront6targetE0EEEvT1_.numbered_sgpr, 0
	.set _ZN7rocprim17ROCPRIM_400000_NS6detail17trampoline_kernelINS0_14default_configENS1_25transform_config_selectorIN6thrust23THRUST_200600_302600_NS5tupleIffNS6_9null_typeES8_S8_S8_S8_S8_S8_S8_EELb0EEEZNS1_14transform_implILb0ES3_SA_PS9_NS6_6detail15normal_iteratorINS6_10device_ptrIS9_EEEENS0_8identityIS9_EEEE10hipError_tT2_T3_mT4_P12ihipStream_tbEUlT_E_NS1_11comp_targetILNS1_3genE9ELNS1_11target_archE1100ELNS1_3gpuE3ELNS1_3repE0EEENS1_30default_config_static_selectorELNS0_4arch9wavefront6targetE0EEEvT1_.num_named_barrier, 0
	.set _ZN7rocprim17ROCPRIM_400000_NS6detail17trampoline_kernelINS0_14default_configENS1_25transform_config_selectorIN6thrust23THRUST_200600_302600_NS5tupleIffNS6_9null_typeES8_S8_S8_S8_S8_S8_S8_EELb0EEEZNS1_14transform_implILb0ES3_SA_PS9_NS6_6detail15normal_iteratorINS6_10device_ptrIS9_EEEENS0_8identityIS9_EEEE10hipError_tT2_T3_mT4_P12ihipStream_tbEUlT_E_NS1_11comp_targetILNS1_3genE9ELNS1_11target_archE1100ELNS1_3gpuE3ELNS1_3repE0EEENS1_30default_config_static_selectorELNS0_4arch9wavefront6targetE0EEEvT1_.private_seg_size, 0
	.set _ZN7rocprim17ROCPRIM_400000_NS6detail17trampoline_kernelINS0_14default_configENS1_25transform_config_selectorIN6thrust23THRUST_200600_302600_NS5tupleIffNS6_9null_typeES8_S8_S8_S8_S8_S8_S8_EELb0EEEZNS1_14transform_implILb0ES3_SA_PS9_NS6_6detail15normal_iteratorINS6_10device_ptrIS9_EEEENS0_8identityIS9_EEEE10hipError_tT2_T3_mT4_P12ihipStream_tbEUlT_E_NS1_11comp_targetILNS1_3genE9ELNS1_11target_archE1100ELNS1_3gpuE3ELNS1_3repE0EEENS1_30default_config_static_selectorELNS0_4arch9wavefront6targetE0EEEvT1_.uses_vcc, 0
	.set _ZN7rocprim17ROCPRIM_400000_NS6detail17trampoline_kernelINS0_14default_configENS1_25transform_config_selectorIN6thrust23THRUST_200600_302600_NS5tupleIffNS6_9null_typeES8_S8_S8_S8_S8_S8_S8_EELb0EEEZNS1_14transform_implILb0ES3_SA_PS9_NS6_6detail15normal_iteratorINS6_10device_ptrIS9_EEEENS0_8identityIS9_EEEE10hipError_tT2_T3_mT4_P12ihipStream_tbEUlT_E_NS1_11comp_targetILNS1_3genE9ELNS1_11target_archE1100ELNS1_3gpuE3ELNS1_3repE0EEENS1_30default_config_static_selectorELNS0_4arch9wavefront6targetE0EEEvT1_.uses_flat_scratch, 0
	.set _ZN7rocprim17ROCPRIM_400000_NS6detail17trampoline_kernelINS0_14default_configENS1_25transform_config_selectorIN6thrust23THRUST_200600_302600_NS5tupleIffNS6_9null_typeES8_S8_S8_S8_S8_S8_S8_EELb0EEEZNS1_14transform_implILb0ES3_SA_PS9_NS6_6detail15normal_iteratorINS6_10device_ptrIS9_EEEENS0_8identityIS9_EEEE10hipError_tT2_T3_mT4_P12ihipStream_tbEUlT_E_NS1_11comp_targetILNS1_3genE9ELNS1_11target_archE1100ELNS1_3gpuE3ELNS1_3repE0EEENS1_30default_config_static_selectorELNS0_4arch9wavefront6targetE0EEEvT1_.has_dyn_sized_stack, 0
	.set _ZN7rocprim17ROCPRIM_400000_NS6detail17trampoline_kernelINS0_14default_configENS1_25transform_config_selectorIN6thrust23THRUST_200600_302600_NS5tupleIffNS6_9null_typeES8_S8_S8_S8_S8_S8_S8_EELb0EEEZNS1_14transform_implILb0ES3_SA_PS9_NS6_6detail15normal_iteratorINS6_10device_ptrIS9_EEEENS0_8identityIS9_EEEE10hipError_tT2_T3_mT4_P12ihipStream_tbEUlT_E_NS1_11comp_targetILNS1_3genE9ELNS1_11target_archE1100ELNS1_3gpuE3ELNS1_3repE0EEENS1_30default_config_static_selectorELNS0_4arch9wavefront6targetE0EEEvT1_.has_recursion, 0
	.set _ZN7rocprim17ROCPRIM_400000_NS6detail17trampoline_kernelINS0_14default_configENS1_25transform_config_selectorIN6thrust23THRUST_200600_302600_NS5tupleIffNS6_9null_typeES8_S8_S8_S8_S8_S8_S8_EELb0EEEZNS1_14transform_implILb0ES3_SA_PS9_NS6_6detail15normal_iteratorINS6_10device_ptrIS9_EEEENS0_8identityIS9_EEEE10hipError_tT2_T3_mT4_P12ihipStream_tbEUlT_E_NS1_11comp_targetILNS1_3genE9ELNS1_11target_archE1100ELNS1_3gpuE3ELNS1_3repE0EEENS1_30default_config_static_selectorELNS0_4arch9wavefront6targetE0EEEvT1_.has_indirect_call, 0
	.section	.AMDGPU.csdata,"",@progbits
; Kernel info:
; codeLenInByte = 0
; TotalNumSgprs: 0
; NumVgprs: 0
; ScratchSize: 0
; MemoryBound: 0
; FloatMode: 240
; IeeeMode: 1
; LDSByteSize: 0 bytes/workgroup (compile time only)
; SGPRBlocks: 0
; VGPRBlocks: 0
; NumSGPRsForWavesPerEU: 1
; NumVGPRsForWavesPerEU: 1
; NamedBarCnt: 0
; Occupancy: 16
; WaveLimiterHint : 0
; COMPUTE_PGM_RSRC2:SCRATCH_EN: 0
; COMPUTE_PGM_RSRC2:USER_SGPR: 2
; COMPUTE_PGM_RSRC2:TRAP_HANDLER: 0
; COMPUTE_PGM_RSRC2:TGID_X_EN: 1
; COMPUTE_PGM_RSRC2:TGID_Y_EN: 0
; COMPUTE_PGM_RSRC2:TGID_Z_EN: 0
; COMPUTE_PGM_RSRC2:TIDIG_COMP_CNT: 0
	.section	.text._ZN7rocprim17ROCPRIM_400000_NS6detail17trampoline_kernelINS0_14default_configENS1_25transform_config_selectorIN6thrust23THRUST_200600_302600_NS5tupleIffNS6_9null_typeES8_S8_S8_S8_S8_S8_S8_EELb0EEEZNS1_14transform_implILb0ES3_SA_PS9_NS6_6detail15normal_iteratorINS6_10device_ptrIS9_EEEENS0_8identityIS9_EEEE10hipError_tT2_T3_mT4_P12ihipStream_tbEUlT_E_NS1_11comp_targetILNS1_3genE8ELNS1_11target_archE1030ELNS1_3gpuE2ELNS1_3repE0EEENS1_30default_config_static_selectorELNS0_4arch9wavefront6targetE0EEEvT1_,"axG",@progbits,_ZN7rocprim17ROCPRIM_400000_NS6detail17trampoline_kernelINS0_14default_configENS1_25transform_config_selectorIN6thrust23THRUST_200600_302600_NS5tupleIffNS6_9null_typeES8_S8_S8_S8_S8_S8_S8_EELb0EEEZNS1_14transform_implILb0ES3_SA_PS9_NS6_6detail15normal_iteratorINS6_10device_ptrIS9_EEEENS0_8identityIS9_EEEE10hipError_tT2_T3_mT4_P12ihipStream_tbEUlT_E_NS1_11comp_targetILNS1_3genE8ELNS1_11target_archE1030ELNS1_3gpuE2ELNS1_3repE0EEENS1_30default_config_static_selectorELNS0_4arch9wavefront6targetE0EEEvT1_,comdat
	.protected	_ZN7rocprim17ROCPRIM_400000_NS6detail17trampoline_kernelINS0_14default_configENS1_25transform_config_selectorIN6thrust23THRUST_200600_302600_NS5tupleIffNS6_9null_typeES8_S8_S8_S8_S8_S8_S8_EELb0EEEZNS1_14transform_implILb0ES3_SA_PS9_NS6_6detail15normal_iteratorINS6_10device_ptrIS9_EEEENS0_8identityIS9_EEEE10hipError_tT2_T3_mT4_P12ihipStream_tbEUlT_E_NS1_11comp_targetILNS1_3genE8ELNS1_11target_archE1030ELNS1_3gpuE2ELNS1_3repE0EEENS1_30default_config_static_selectorELNS0_4arch9wavefront6targetE0EEEvT1_ ; -- Begin function _ZN7rocprim17ROCPRIM_400000_NS6detail17trampoline_kernelINS0_14default_configENS1_25transform_config_selectorIN6thrust23THRUST_200600_302600_NS5tupleIffNS6_9null_typeES8_S8_S8_S8_S8_S8_S8_EELb0EEEZNS1_14transform_implILb0ES3_SA_PS9_NS6_6detail15normal_iteratorINS6_10device_ptrIS9_EEEENS0_8identityIS9_EEEE10hipError_tT2_T3_mT4_P12ihipStream_tbEUlT_E_NS1_11comp_targetILNS1_3genE8ELNS1_11target_archE1030ELNS1_3gpuE2ELNS1_3repE0EEENS1_30default_config_static_selectorELNS0_4arch9wavefront6targetE0EEEvT1_
	.globl	_ZN7rocprim17ROCPRIM_400000_NS6detail17trampoline_kernelINS0_14default_configENS1_25transform_config_selectorIN6thrust23THRUST_200600_302600_NS5tupleIffNS6_9null_typeES8_S8_S8_S8_S8_S8_S8_EELb0EEEZNS1_14transform_implILb0ES3_SA_PS9_NS6_6detail15normal_iteratorINS6_10device_ptrIS9_EEEENS0_8identityIS9_EEEE10hipError_tT2_T3_mT4_P12ihipStream_tbEUlT_E_NS1_11comp_targetILNS1_3genE8ELNS1_11target_archE1030ELNS1_3gpuE2ELNS1_3repE0EEENS1_30default_config_static_selectorELNS0_4arch9wavefront6targetE0EEEvT1_
	.p2align	8
	.type	_ZN7rocprim17ROCPRIM_400000_NS6detail17trampoline_kernelINS0_14default_configENS1_25transform_config_selectorIN6thrust23THRUST_200600_302600_NS5tupleIffNS6_9null_typeES8_S8_S8_S8_S8_S8_S8_EELb0EEEZNS1_14transform_implILb0ES3_SA_PS9_NS6_6detail15normal_iteratorINS6_10device_ptrIS9_EEEENS0_8identityIS9_EEEE10hipError_tT2_T3_mT4_P12ihipStream_tbEUlT_E_NS1_11comp_targetILNS1_3genE8ELNS1_11target_archE1030ELNS1_3gpuE2ELNS1_3repE0EEENS1_30default_config_static_selectorELNS0_4arch9wavefront6targetE0EEEvT1_,@function
_ZN7rocprim17ROCPRIM_400000_NS6detail17trampoline_kernelINS0_14default_configENS1_25transform_config_selectorIN6thrust23THRUST_200600_302600_NS5tupleIffNS6_9null_typeES8_S8_S8_S8_S8_S8_S8_EELb0EEEZNS1_14transform_implILb0ES3_SA_PS9_NS6_6detail15normal_iteratorINS6_10device_ptrIS9_EEEENS0_8identityIS9_EEEE10hipError_tT2_T3_mT4_P12ihipStream_tbEUlT_E_NS1_11comp_targetILNS1_3genE8ELNS1_11target_archE1030ELNS1_3gpuE2ELNS1_3repE0EEENS1_30default_config_static_selectorELNS0_4arch9wavefront6targetE0EEEvT1_: ; @_ZN7rocprim17ROCPRIM_400000_NS6detail17trampoline_kernelINS0_14default_configENS1_25transform_config_selectorIN6thrust23THRUST_200600_302600_NS5tupleIffNS6_9null_typeES8_S8_S8_S8_S8_S8_S8_EELb0EEEZNS1_14transform_implILb0ES3_SA_PS9_NS6_6detail15normal_iteratorINS6_10device_ptrIS9_EEEENS0_8identityIS9_EEEE10hipError_tT2_T3_mT4_P12ihipStream_tbEUlT_E_NS1_11comp_targetILNS1_3genE8ELNS1_11target_archE1030ELNS1_3gpuE2ELNS1_3repE0EEENS1_30default_config_static_selectorELNS0_4arch9wavefront6targetE0EEEvT1_
; %bb.0:
	.section	.rodata,"a",@progbits
	.p2align	6, 0x0
	.amdhsa_kernel _ZN7rocprim17ROCPRIM_400000_NS6detail17trampoline_kernelINS0_14default_configENS1_25transform_config_selectorIN6thrust23THRUST_200600_302600_NS5tupleIffNS6_9null_typeES8_S8_S8_S8_S8_S8_S8_EELb0EEEZNS1_14transform_implILb0ES3_SA_PS9_NS6_6detail15normal_iteratorINS6_10device_ptrIS9_EEEENS0_8identityIS9_EEEE10hipError_tT2_T3_mT4_P12ihipStream_tbEUlT_E_NS1_11comp_targetILNS1_3genE8ELNS1_11target_archE1030ELNS1_3gpuE2ELNS1_3repE0EEENS1_30default_config_static_selectorELNS0_4arch9wavefront6targetE0EEEvT1_
		.amdhsa_group_segment_fixed_size 0
		.amdhsa_private_segment_fixed_size 0
		.amdhsa_kernarg_size 40
		.amdhsa_user_sgpr_count 2
		.amdhsa_user_sgpr_dispatch_ptr 0
		.amdhsa_user_sgpr_queue_ptr 0
		.amdhsa_user_sgpr_kernarg_segment_ptr 1
		.amdhsa_user_sgpr_dispatch_id 0
		.amdhsa_user_sgpr_kernarg_preload_length 0
		.amdhsa_user_sgpr_kernarg_preload_offset 0
		.amdhsa_user_sgpr_private_segment_size 0
		.amdhsa_wavefront_size32 1
		.amdhsa_uses_dynamic_stack 0
		.amdhsa_enable_private_segment 0
		.amdhsa_system_sgpr_workgroup_id_x 1
		.amdhsa_system_sgpr_workgroup_id_y 0
		.amdhsa_system_sgpr_workgroup_id_z 0
		.amdhsa_system_sgpr_workgroup_info 0
		.amdhsa_system_vgpr_workitem_id 0
		.amdhsa_next_free_vgpr 1
		.amdhsa_next_free_sgpr 1
		.amdhsa_named_barrier_count 0
		.amdhsa_reserve_vcc 0
		.amdhsa_float_round_mode_32 0
		.amdhsa_float_round_mode_16_64 0
		.amdhsa_float_denorm_mode_32 3
		.amdhsa_float_denorm_mode_16_64 3
		.amdhsa_fp16_overflow 0
		.amdhsa_memory_ordered 1
		.amdhsa_forward_progress 1
		.amdhsa_inst_pref_size 0
		.amdhsa_round_robin_scheduling 0
		.amdhsa_exception_fp_ieee_invalid_op 0
		.amdhsa_exception_fp_denorm_src 0
		.amdhsa_exception_fp_ieee_div_zero 0
		.amdhsa_exception_fp_ieee_overflow 0
		.amdhsa_exception_fp_ieee_underflow 0
		.amdhsa_exception_fp_ieee_inexact 0
		.amdhsa_exception_int_div_zero 0
	.end_amdhsa_kernel
	.section	.text._ZN7rocprim17ROCPRIM_400000_NS6detail17trampoline_kernelINS0_14default_configENS1_25transform_config_selectorIN6thrust23THRUST_200600_302600_NS5tupleIffNS6_9null_typeES8_S8_S8_S8_S8_S8_S8_EELb0EEEZNS1_14transform_implILb0ES3_SA_PS9_NS6_6detail15normal_iteratorINS6_10device_ptrIS9_EEEENS0_8identityIS9_EEEE10hipError_tT2_T3_mT4_P12ihipStream_tbEUlT_E_NS1_11comp_targetILNS1_3genE8ELNS1_11target_archE1030ELNS1_3gpuE2ELNS1_3repE0EEENS1_30default_config_static_selectorELNS0_4arch9wavefront6targetE0EEEvT1_,"axG",@progbits,_ZN7rocprim17ROCPRIM_400000_NS6detail17trampoline_kernelINS0_14default_configENS1_25transform_config_selectorIN6thrust23THRUST_200600_302600_NS5tupleIffNS6_9null_typeES8_S8_S8_S8_S8_S8_S8_EELb0EEEZNS1_14transform_implILb0ES3_SA_PS9_NS6_6detail15normal_iteratorINS6_10device_ptrIS9_EEEENS0_8identityIS9_EEEE10hipError_tT2_T3_mT4_P12ihipStream_tbEUlT_E_NS1_11comp_targetILNS1_3genE8ELNS1_11target_archE1030ELNS1_3gpuE2ELNS1_3repE0EEENS1_30default_config_static_selectorELNS0_4arch9wavefront6targetE0EEEvT1_,comdat
.Lfunc_end90:
	.size	_ZN7rocprim17ROCPRIM_400000_NS6detail17trampoline_kernelINS0_14default_configENS1_25transform_config_selectorIN6thrust23THRUST_200600_302600_NS5tupleIffNS6_9null_typeES8_S8_S8_S8_S8_S8_S8_EELb0EEEZNS1_14transform_implILb0ES3_SA_PS9_NS6_6detail15normal_iteratorINS6_10device_ptrIS9_EEEENS0_8identityIS9_EEEE10hipError_tT2_T3_mT4_P12ihipStream_tbEUlT_E_NS1_11comp_targetILNS1_3genE8ELNS1_11target_archE1030ELNS1_3gpuE2ELNS1_3repE0EEENS1_30default_config_static_selectorELNS0_4arch9wavefront6targetE0EEEvT1_, .Lfunc_end90-_ZN7rocprim17ROCPRIM_400000_NS6detail17trampoline_kernelINS0_14default_configENS1_25transform_config_selectorIN6thrust23THRUST_200600_302600_NS5tupleIffNS6_9null_typeES8_S8_S8_S8_S8_S8_S8_EELb0EEEZNS1_14transform_implILb0ES3_SA_PS9_NS6_6detail15normal_iteratorINS6_10device_ptrIS9_EEEENS0_8identityIS9_EEEE10hipError_tT2_T3_mT4_P12ihipStream_tbEUlT_E_NS1_11comp_targetILNS1_3genE8ELNS1_11target_archE1030ELNS1_3gpuE2ELNS1_3repE0EEENS1_30default_config_static_selectorELNS0_4arch9wavefront6targetE0EEEvT1_
                                        ; -- End function
	.set _ZN7rocprim17ROCPRIM_400000_NS6detail17trampoline_kernelINS0_14default_configENS1_25transform_config_selectorIN6thrust23THRUST_200600_302600_NS5tupleIffNS6_9null_typeES8_S8_S8_S8_S8_S8_S8_EELb0EEEZNS1_14transform_implILb0ES3_SA_PS9_NS6_6detail15normal_iteratorINS6_10device_ptrIS9_EEEENS0_8identityIS9_EEEE10hipError_tT2_T3_mT4_P12ihipStream_tbEUlT_E_NS1_11comp_targetILNS1_3genE8ELNS1_11target_archE1030ELNS1_3gpuE2ELNS1_3repE0EEENS1_30default_config_static_selectorELNS0_4arch9wavefront6targetE0EEEvT1_.num_vgpr, 0
	.set _ZN7rocprim17ROCPRIM_400000_NS6detail17trampoline_kernelINS0_14default_configENS1_25transform_config_selectorIN6thrust23THRUST_200600_302600_NS5tupleIffNS6_9null_typeES8_S8_S8_S8_S8_S8_S8_EELb0EEEZNS1_14transform_implILb0ES3_SA_PS9_NS6_6detail15normal_iteratorINS6_10device_ptrIS9_EEEENS0_8identityIS9_EEEE10hipError_tT2_T3_mT4_P12ihipStream_tbEUlT_E_NS1_11comp_targetILNS1_3genE8ELNS1_11target_archE1030ELNS1_3gpuE2ELNS1_3repE0EEENS1_30default_config_static_selectorELNS0_4arch9wavefront6targetE0EEEvT1_.num_agpr, 0
	.set _ZN7rocprim17ROCPRIM_400000_NS6detail17trampoline_kernelINS0_14default_configENS1_25transform_config_selectorIN6thrust23THRUST_200600_302600_NS5tupleIffNS6_9null_typeES8_S8_S8_S8_S8_S8_S8_EELb0EEEZNS1_14transform_implILb0ES3_SA_PS9_NS6_6detail15normal_iteratorINS6_10device_ptrIS9_EEEENS0_8identityIS9_EEEE10hipError_tT2_T3_mT4_P12ihipStream_tbEUlT_E_NS1_11comp_targetILNS1_3genE8ELNS1_11target_archE1030ELNS1_3gpuE2ELNS1_3repE0EEENS1_30default_config_static_selectorELNS0_4arch9wavefront6targetE0EEEvT1_.numbered_sgpr, 0
	.set _ZN7rocprim17ROCPRIM_400000_NS6detail17trampoline_kernelINS0_14default_configENS1_25transform_config_selectorIN6thrust23THRUST_200600_302600_NS5tupleIffNS6_9null_typeES8_S8_S8_S8_S8_S8_S8_EELb0EEEZNS1_14transform_implILb0ES3_SA_PS9_NS6_6detail15normal_iteratorINS6_10device_ptrIS9_EEEENS0_8identityIS9_EEEE10hipError_tT2_T3_mT4_P12ihipStream_tbEUlT_E_NS1_11comp_targetILNS1_3genE8ELNS1_11target_archE1030ELNS1_3gpuE2ELNS1_3repE0EEENS1_30default_config_static_selectorELNS0_4arch9wavefront6targetE0EEEvT1_.num_named_barrier, 0
	.set _ZN7rocprim17ROCPRIM_400000_NS6detail17trampoline_kernelINS0_14default_configENS1_25transform_config_selectorIN6thrust23THRUST_200600_302600_NS5tupleIffNS6_9null_typeES8_S8_S8_S8_S8_S8_S8_EELb0EEEZNS1_14transform_implILb0ES3_SA_PS9_NS6_6detail15normal_iteratorINS6_10device_ptrIS9_EEEENS0_8identityIS9_EEEE10hipError_tT2_T3_mT4_P12ihipStream_tbEUlT_E_NS1_11comp_targetILNS1_3genE8ELNS1_11target_archE1030ELNS1_3gpuE2ELNS1_3repE0EEENS1_30default_config_static_selectorELNS0_4arch9wavefront6targetE0EEEvT1_.private_seg_size, 0
	.set _ZN7rocprim17ROCPRIM_400000_NS6detail17trampoline_kernelINS0_14default_configENS1_25transform_config_selectorIN6thrust23THRUST_200600_302600_NS5tupleIffNS6_9null_typeES8_S8_S8_S8_S8_S8_S8_EELb0EEEZNS1_14transform_implILb0ES3_SA_PS9_NS6_6detail15normal_iteratorINS6_10device_ptrIS9_EEEENS0_8identityIS9_EEEE10hipError_tT2_T3_mT4_P12ihipStream_tbEUlT_E_NS1_11comp_targetILNS1_3genE8ELNS1_11target_archE1030ELNS1_3gpuE2ELNS1_3repE0EEENS1_30default_config_static_selectorELNS0_4arch9wavefront6targetE0EEEvT1_.uses_vcc, 0
	.set _ZN7rocprim17ROCPRIM_400000_NS6detail17trampoline_kernelINS0_14default_configENS1_25transform_config_selectorIN6thrust23THRUST_200600_302600_NS5tupleIffNS6_9null_typeES8_S8_S8_S8_S8_S8_S8_EELb0EEEZNS1_14transform_implILb0ES3_SA_PS9_NS6_6detail15normal_iteratorINS6_10device_ptrIS9_EEEENS0_8identityIS9_EEEE10hipError_tT2_T3_mT4_P12ihipStream_tbEUlT_E_NS1_11comp_targetILNS1_3genE8ELNS1_11target_archE1030ELNS1_3gpuE2ELNS1_3repE0EEENS1_30default_config_static_selectorELNS0_4arch9wavefront6targetE0EEEvT1_.uses_flat_scratch, 0
	.set _ZN7rocprim17ROCPRIM_400000_NS6detail17trampoline_kernelINS0_14default_configENS1_25transform_config_selectorIN6thrust23THRUST_200600_302600_NS5tupleIffNS6_9null_typeES8_S8_S8_S8_S8_S8_S8_EELb0EEEZNS1_14transform_implILb0ES3_SA_PS9_NS6_6detail15normal_iteratorINS6_10device_ptrIS9_EEEENS0_8identityIS9_EEEE10hipError_tT2_T3_mT4_P12ihipStream_tbEUlT_E_NS1_11comp_targetILNS1_3genE8ELNS1_11target_archE1030ELNS1_3gpuE2ELNS1_3repE0EEENS1_30default_config_static_selectorELNS0_4arch9wavefront6targetE0EEEvT1_.has_dyn_sized_stack, 0
	.set _ZN7rocprim17ROCPRIM_400000_NS6detail17trampoline_kernelINS0_14default_configENS1_25transform_config_selectorIN6thrust23THRUST_200600_302600_NS5tupleIffNS6_9null_typeES8_S8_S8_S8_S8_S8_S8_EELb0EEEZNS1_14transform_implILb0ES3_SA_PS9_NS6_6detail15normal_iteratorINS6_10device_ptrIS9_EEEENS0_8identityIS9_EEEE10hipError_tT2_T3_mT4_P12ihipStream_tbEUlT_E_NS1_11comp_targetILNS1_3genE8ELNS1_11target_archE1030ELNS1_3gpuE2ELNS1_3repE0EEENS1_30default_config_static_selectorELNS0_4arch9wavefront6targetE0EEEvT1_.has_recursion, 0
	.set _ZN7rocprim17ROCPRIM_400000_NS6detail17trampoline_kernelINS0_14default_configENS1_25transform_config_selectorIN6thrust23THRUST_200600_302600_NS5tupleIffNS6_9null_typeES8_S8_S8_S8_S8_S8_S8_EELb0EEEZNS1_14transform_implILb0ES3_SA_PS9_NS6_6detail15normal_iteratorINS6_10device_ptrIS9_EEEENS0_8identityIS9_EEEE10hipError_tT2_T3_mT4_P12ihipStream_tbEUlT_E_NS1_11comp_targetILNS1_3genE8ELNS1_11target_archE1030ELNS1_3gpuE2ELNS1_3repE0EEENS1_30default_config_static_selectorELNS0_4arch9wavefront6targetE0EEEvT1_.has_indirect_call, 0
	.section	.AMDGPU.csdata,"",@progbits
; Kernel info:
; codeLenInByte = 0
; TotalNumSgprs: 0
; NumVgprs: 0
; ScratchSize: 0
; MemoryBound: 0
; FloatMode: 240
; IeeeMode: 1
; LDSByteSize: 0 bytes/workgroup (compile time only)
; SGPRBlocks: 0
; VGPRBlocks: 0
; NumSGPRsForWavesPerEU: 1
; NumVGPRsForWavesPerEU: 1
; NamedBarCnt: 0
; Occupancy: 16
; WaveLimiterHint : 0
; COMPUTE_PGM_RSRC2:SCRATCH_EN: 0
; COMPUTE_PGM_RSRC2:USER_SGPR: 2
; COMPUTE_PGM_RSRC2:TRAP_HANDLER: 0
; COMPUTE_PGM_RSRC2:TGID_X_EN: 1
; COMPUTE_PGM_RSRC2:TGID_Y_EN: 0
; COMPUTE_PGM_RSRC2:TGID_Z_EN: 0
; COMPUTE_PGM_RSRC2:TIDIG_COMP_CNT: 0
	.section	.text._ZN7rocprim17ROCPRIM_400000_NS6detail17trampoline_kernelINS0_14default_configENS1_38merge_sort_block_merge_config_selectorIjN6thrust23THRUST_200600_302600_NS5tupleIffNS6_9null_typeES8_S8_S8_S8_S8_S8_S8_EEEEZZNS1_27merge_sort_block_merge_implIS3_NS6_6detail15normal_iteratorINS6_10device_ptrIjEEEENSD_INSE_IS9_EEEEjNS1_19radix_merge_compareILb0ELb1EjNS0_19identity_decomposerEEEEE10hipError_tT0_T1_T2_jT3_P12ihipStream_tbPNSt15iterator_traitsISN_E10value_typeEPNST_ISO_E10value_typeEPSP_NS1_7vsmem_tEENKUlT_SN_SO_SP_E_clIPjSG_PS9_SI_EESM_S12_SN_SO_SP_EUlS12_E_NS1_11comp_targetILNS1_3genE0ELNS1_11target_archE4294967295ELNS1_3gpuE0ELNS1_3repE0EEENS1_48merge_mergepath_partition_config_static_selectorELNS0_4arch9wavefront6targetE0EEEvSO_,"axG",@progbits,_ZN7rocprim17ROCPRIM_400000_NS6detail17trampoline_kernelINS0_14default_configENS1_38merge_sort_block_merge_config_selectorIjN6thrust23THRUST_200600_302600_NS5tupleIffNS6_9null_typeES8_S8_S8_S8_S8_S8_S8_EEEEZZNS1_27merge_sort_block_merge_implIS3_NS6_6detail15normal_iteratorINS6_10device_ptrIjEEEENSD_INSE_IS9_EEEEjNS1_19radix_merge_compareILb0ELb1EjNS0_19identity_decomposerEEEEE10hipError_tT0_T1_T2_jT3_P12ihipStream_tbPNSt15iterator_traitsISN_E10value_typeEPNST_ISO_E10value_typeEPSP_NS1_7vsmem_tEENKUlT_SN_SO_SP_E_clIPjSG_PS9_SI_EESM_S12_SN_SO_SP_EUlS12_E_NS1_11comp_targetILNS1_3genE0ELNS1_11target_archE4294967295ELNS1_3gpuE0ELNS1_3repE0EEENS1_48merge_mergepath_partition_config_static_selectorELNS0_4arch9wavefront6targetE0EEEvSO_,comdat
	.protected	_ZN7rocprim17ROCPRIM_400000_NS6detail17trampoline_kernelINS0_14default_configENS1_38merge_sort_block_merge_config_selectorIjN6thrust23THRUST_200600_302600_NS5tupleIffNS6_9null_typeES8_S8_S8_S8_S8_S8_S8_EEEEZZNS1_27merge_sort_block_merge_implIS3_NS6_6detail15normal_iteratorINS6_10device_ptrIjEEEENSD_INSE_IS9_EEEEjNS1_19radix_merge_compareILb0ELb1EjNS0_19identity_decomposerEEEEE10hipError_tT0_T1_T2_jT3_P12ihipStream_tbPNSt15iterator_traitsISN_E10value_typeEPNST_ISO_E10value_typeEPSP_NS1_7vsmem_tEENKUlT_SN_SO_SP_E_clIPjSG_PS9_SI_EESM_S12_SN_SO_SP_EUlS12_E_NS1_11comp_targetILNS1_3genE0ELNS1_11target_archE4294967295ELNS1_3gpuE0ELNS1_3repE0EEENS1_48merge_mergepath_partition_config_static_selectorELNS0_4arch9wavefront6targetE0EEEvSO_ ; -- Begin function _ZN7rocprim17ROCPRIM_400000_NS6detail17trampoline_kernelINS0_14default_configENS1_38merge_sort_block_merge_config_selectorIjN6thrust23THRUST_200600_302600_NS5tupleIffNS6_9null_typeES8_S8_S8_S8_S8_S8_S8_EEEEZZNS1_27merge_sort_block_merge_implIS3_NS6_6detail15normal_iteratorINS6_10device_ptrIjEEEENSD_INSE_IS9_EEEEjNS1_19radix_merge_compareILb0ELb1EjNS0_19identity_decomposerEEEEE10hipError_tT0_T1_T2_jT3_P12ihipStream_tbPNSt15iterator_traitsISN_E10value_typeEPNST_ISO_E10value_typeEPSP_NS1_7vsmem_tEENKUlT_SN_SO_SP_E_clIPjSG_PS9_SI_EESM_S12_SN_SO_SP_EUlS12_E_NS1_11comp_targetILNS1_3genE0ELNS1_11target_archE4294967295ELNS1_3gpuE0ELNS1_3repE0EEENS1_48merge_mergepath_partition_config_static_selectorELNS0_4arch9wavefront6targetE0EEEvSO_
	.globl	_ZN7rocprim17ROCPRIM_400000_NS6detail17trampoline_kernelINS0_14default_configENS1_38merge_sort_block_merge_config_selectorIjN6thrust23THRUST_200600_302600_NS5tupleIffNS6_9null_typeES8_S8_S8_S8_S8_S8_S8_EEEEZZNS1_27merge_sort_block_merge_implIS3_NS6_6detail15normal_iteratorINS6_10device_ptrIjEEEENSD_INSE_IS9_EEEEjNS1_19radix_merge_compareILb0ELb1EjNS0_19identity_decomposerEEEEE10hipError_tT0_T1_T2_jT3_P12ihipStream_tbPNSt15iterator_traitsISN_E10value_typeEPNST_ISO_E10value_typeEPSP_NS1_7vsmem_tEENKUlT_SN_SO_SP_E_clIPjSG_PS9_SI_EESM_S12_SN_SO_SP_EUlS12_E_NS1_11comp_targetILNS1_3genE0ELNS1_11target_archE4294967295ELNS1_3gpuE0ELNS1_3repE0EEENS1_48merge_mergepath_partition_config_static_selectorELNS0_4arch9wavefront6targetE0EEEvSO_
	.p2align	8
	.type	_ZN7rocprim17ROCPRIM_400000_NS6detail17trampoline_kernelINS0_14default_configENS1_38merge_sort_block_merge_config_selectorIjN6thrust23THRUST_200600_302600_NS5tupleIffNS6_9null_typeES8_S8_S8_S8_S8_S8_S8_EEEEZZNS1_27merge_sort_block_merge_implIS3_NS6_6detail15normal_iteratorINS6_10device_ptrIjEEEENSD_INSE_IS9_EEEEjNS1_19radix_merge_compareILb0ELb1EjNS0_19identity_decomposerEEEEE10hipError_tT0_T1_T2_jT3_P12ihipStream_tbPNSt15iterator_traitsISN_E10value_typeEPNST_ISO_E10value_typeEPSP_NS1_7vsmem_tEENKUlT_SN_SO_SP_E_clIPjSG_PS9_SI_EESM_S12_SN_SO_SP_EUlS12_E_NS1_11comp_targetILNS1_3genE0ELNS1_11target_archE4294967295ELNS1_3gpuE0ELNS1_3repE0EEENS1_48merge_mergepath_partition_config_static_selectorELNS0_4arch9wavefront6targetE0EEEvSO_,@function
_ZN7rocprim17ROCPRIM_400000_NS6detail17trampoline_kernelINS0_14default_configENS1_38merge_sort_block_merge_config_selectorIjN6thrust23THRUST_200600_302600_NS5tupleIffNS6_9null_typeES8_S8_S8_S8_S8_S8_S8_EEEEZZNS1_27merge_sort_block_merge_implIS3_NS6_6detail15normal_iteratorINS6_10device_ptrIjEEEENSD_INSE_IS9_EEEEjNS1_19radix_merge_compareILb0ELb1EjNS0_19identity_decomposerEEEEE10hipError_tT0_T1_T2_jT3_P12ihipStream_tbPNSt15iterator_traitsISN_E10value_typeEPNST_ISO_E10value_typeEPSP_NS1_7vsmem_tEENKUlT_SN_SO_SP_E_clIPjSG_PS9_SI_EESM_S12_SN_SO_SP_EUlS12_E_NS1_11comp_targetILNS1_3genE0ELNS1_11target_archE4294967295ELNS1_3gpuE0ELNS1_3repE0EEENS1_48merge_mergepath_partition_config_static_selectorELNS0_4arch9wavefront6targetE0EEEvSO_: ; @_ZN7rocprim17ROCPRIM_400000_NS6detail17trampoline_kernelINS0_14default_configENS1_38merge_sort_block_merge_config_selectorIjN6thrust23THRUST_200600_302600_NS5tupleIffNS6_9null_typeES8_S8_S8_S8_S8_S8_S8_EEEEZZNS1_27merge_sort_block_merge_implIS3_NS6_6detail15normal_iteratorINS6_10device_ptrIjEEEENSD_INSE_IS9_EEEEjNS1_19radix_merge_compareILb0ELb1EjNS0_19identity_decomposerEEEEE10hipError_tT0_T1_T2_jT3_P12ihipStream_tbPNSt15iterator_traitsISN_E10value_typeEPNST_ISO_E10value_typeEPSP_NS1_7vsmem_tEENKUlT_SN_SO_SP_E_clIPjSG_PS9_SI_EESM_S12_SN_SO_SP_EUlS12_E_NS1_11comp_targetILNS1_3genE0ELNS1_11target_archE4294967295ELNS1_3gpuE0ELNS1_3repE0EEENS1_48merge_mergepath_partition_config_static_selectorELNS0_4arch9wavefront6targetE0EEEvSO_
; %bb.0:
	s_load_b32 s2, s[0:1], 0x0
	s_bfe_u32 s3, ttmp6, 0x4000c
	s_and_b32 s4, ttmp6, 15
	s_add_co_i32 s3, s3, 1
	s_getreg_b32 s5, hwreg(HW_REG_IB_STS2, 6, 4)
	s_mul_i32 s3, ttmp9, s3
	s_delay_alu instid0(SALU_CYCLE_1) | instskip(SKIP_2) | instid1(SALU_CYCLE_1)
	s_add_co_i32 s4, s4, s3
	s_cmp_eq_u32 s5, 0
	s_cselect_b32 s3, ttmp9, s4
	v_lshl_or_b32 v8, s3, 7, v0
	s_wait_kmcnt 0x0
	s_delay_alu instid0(VALU_DEP_1)
	v_cmp_gt_u32_e32 vcc_lo, s2, v8
	s_and_saveexec_b32 s2, vcc_lo
	s_cbranch_execz .LBB91_6
; %bb.1:
	s_load_b64 s[2:3], s[0:1], 0x4
	s_mov_b32 s7, exec_lo
	s_wait_kmcnt 0x0
	s_lshr_b32 s4, s2, 9
	s_delay_alu instid0(SALU_CYCLE_1) | instskip(NEXT) | instid1(SALU_CYCLE_1)
	s_and_b32 s4, s4, 0x7ffffe
	s_sub_co_i32 s5, 0, s4
	s_add_co_i32 s4, s4, -1
	s_delay_alu instid0(SALU_CYCLE_1) | instskip(NEXT) | instid1(VALU_DEP_1)
	v_and_b32_e32 v1, s4, v8
	v_dual_lshlrev_b32 v1, 10, v1 :: v_dual_bitop2_b32 v0, s5, v8 bitop3:0x40
	s_delay_alu instid0(VALU_DEP_1) | instskip(NEXT) | instid1(VALU_DEP_1)
	v_lshlrev_b32_e32 v0, 10, v0
	v_add_min_u32_e64 v2, v0, s2, s3
	v_min_u32_e32 v0, s3, v0
	s_delay_alu instid0(VALU_DEP_2) | instskip(SKIP_1) | instid1(VALU_DEP_1)
	v_add_min_u32_e64 v3, v2, s2, s3
	s_load_b64 s[2:3], s[0:1], 0x20
	v_dual_sub_nc_u32 v4, v3, v0 :: v_dual_sub_nc_u32 v3, v3, v2
	s_delay_alu instid0(VALU_DEP_1) | instskip(SKIP_1) | instid1(VALU_DEP_2)
	v_min_u32_e32 v10, v4, v1
	v_sub_nc_u32_e32 v1, v2, v0
	v_sub_nc_u32_e64 v9, v10, v3 clamp
	s_delay_alu instid0(VALU_DEP_2) | instskip(NEXT) | instid1(VALU_DEP_1)
	v_min_u32_e32 v11, v10, v1
	v_cmpx_lt_u32_e64 v9, v11
	s_cbranch_execz .LBB91_5
; %bb.2:
	s_load_b96 s[4:6], s[0:1], 0x10
	v_mov_b32_e32 v3, 0
	s_wait_xcnt 0x0
	s_mov_b32 s0, 0
	s_delay_alu instid0(VALU_DEP_1) | instskip(SKIP_1) | instid1(VALU_DEP_1)
	v_mov_b32_e32 v1, v3
	s_wait_kmcnt 0x0
	v_lshl_add_u64 v[4:5], v[0:1], 2, s[4:5]
	v_lshl_add_u64 v[6:7], v[2:3], 2, s[4:5]
.LBB91_3:                               ; =>This Inner Loop Header: Depth=1
	v_add_nc_u32_e32 v1, v11, v9
	s_delay_alu instid0(VALU_DEP_1) | instskip(NEXT) | instid1(VALU_DEP_1)
	v_dual_mov_b32 v13, v3 :: v_dual_lshrrev_b32 v2, 1, v1
	v_xad_u32 v12, v2, -1, v10
	v_lshl_add_u64 v[14:15], v[2:3], 2, v[4:5]
	s_delay_alu instid0(VALU_DEP_2)
	v_lshl_add_u64 v[12:13], v[12:13], 2, v[6:7]
	s_clause 0x1
	global_load_b32 v1, v[14:15], off
	global_load_b32 v16, v[12:13], off
	s_wait_loadcnt 0x1
	s_wait_xcnt 0x0
	v_dual_add_nc_u32 v13, 1, v2 :: v_dual_bitop2_b32 v1, s6, v1 bitop3:0x40
	s_wait_loadcnt 0x0
	v_and_b32_e32 v12, s6, v16
	s_delay_alu instid0(VALU_DEP_1) | instskip(NEXT) | instid1(VALU_DEP_3)
	v_cmp_gt_u32_e32 vcc_lo, v1, v12
	v_dual_cndmask_b32 v11, v11, v2, vcc_lo :: v_dual_cndmask_b32 v9, v13, v9, vcc_lo
	s_delay_alu instid0(VALU_DEP_1) | instskip(SKIP_1) | instid1(SALU_CYCLE_1)
	v_cmp_ge_u32_e32 vcc_lo, v9, v11
	s_or_b32 s0, vcc_lo, s0
	s_and_not1_b32 exec_lo, exec_lo, s0
	s_cbranch_execnz .LBB91_3
; %bb.4:
	s_or_b32 exec_lo, exec_lo, s0
.LBB91_5:
	s_delay_alu instid0(SALU_CYCLE_1)
	s_or_b32 exec_lo, exec_lo, s7
	v_add_nc_u32_e32 v0, v9, v0
	s_wait_kmcnt 0x0
	global_store_b32 v8, v0, s[2:3] scale_offset
.LBB91_6:
	s_endpgm
	.section	.rodata,"a",@progbits
	.p2align	6, 0x0
	.amdhsa_kernel _ZN7rocprim17ROCPRIM_400000_NS6detail17trampoline_kernelINS0_14default_configENS1_38merge_sort_block_merge_config_selectorIjN6thrust23THRUST_200600_302600_NS5tupleIffNS6_9null_typeES8_S8_S8_S8_S8_S8_S8_EEEEZZNS1_27merge_sort_block_merge_implIS3_NS6_6detail15normal_iteratorINS6_10device_ptrIjEEEENSD_INSE_IS9_EEEEjNS1_19radix_merge_compareILb0ELb1EjNS0_19identity_decomposerEEEEE10hipError_tT0_T1_T2_jT3_P12ihipStream_tbPNSt15iterator_traitsISN_E10value_typeEPNST_ISO_E10value_typeEPSP_NS1_7vsmem_tEENKUlT_SN_SO_SP_E_clIPjSG_PS9_SI_EESM_S12_SN_SO_SP_EUlS12_E_NS1_11comp_targetILNS1_3genE0ELNS1_11target_archE4294967295ELNS1_3gpuE0ELNS1_3repE0EEENS1_48merge_mergepath_partition_config_static_selectorELNS0_4arch9wavefront6targetE0EEEvSO_
		.amdhsa_group_segment_fixed_size 0
		.amdhsa_private_segment_fixed_size 0
		.amdhsa_kernarg_size 40
		.amdhsa_user_sgpr_count 2
		.amdhsa_user_sgpr_dispatch_ptr 0
		.amdhsa_user_sgpr_queue_ptr 0
		.amdhsa_user_sgpr_kernarg_segment_ptr 1
		.amdhsa_user_sgpr_dispatch_id 0
		.amdhsa_user_sgpr_kernarg_preload_length 0
		.amdhsa_user_sgpr_kernarg_preload_offset 0
		.amdhsa_user_sgpr_private_segment_size 0
		.amdhsa_wavefront_size32 1
		.amdhsa_uses_dynamic_stack 0
		.amdhsa_enable_private_segment 0
		.amdhsa_system_sgpr_workgroup_id_x 1
		.amdhsa_system_sgpr_workgroup_id_y 0
		.amdhsa_system_sgpr_workgroup_id_z 0
		.amdhsa_system_sgpr_workgroup_info 0
		.amdhsa_system_vgpr_workitem_id 0
		.amdhsa_next_free_vgpr 17
		.amdhsa_next_free_sgpr 8
		.amdhsa_named_barrier_count 0
		.amdhsa_reserve_vcc 1
		.amdhsa_float_round_mode_32 0
		.amdhsa_float_round_mode_16_64 0
		.amdhsa_float_denorm_mode_32 3
		.amdhsa_float_denorm_mode_16_64 3
		.amdhsa_fp16_overflow 0
		.amdhsa_memory_ordered 1
		.amdhsa_forward_progress 1
		.amdhsa_inst_pref_size 4
		.amdhsa_round_robin_scheduling 0
		.amdhsa_exception_fp_ieee_invalid_op 0
		.amdhsa_exception_fp_denorm_src 0
		.amdhsa_exception_fp_ieee_div_zero 0
		.amdhsa_exception_fp_ieee_overflow 0
		.amdhsa_exception_fp_ieee_underflow 0
		.amdhsa_exception_fp_ieee_inexact 0
		.amdhsa_exception_int_div_zero 0
	.end_amdhsa_kernel
	.section	.text._ZN7rocprim17ROCPRIM_400000_NS6detail17trampoline_kernelINS0_14default_configENS1_38merge_sort_block_merge_config_selectorIjN6thrust23THRUST_200600_302600_NS5tupleIffNS6_9null_typeES8_S8_S8_S8_S8_S8_S8_EEEEZZNS1_27merge_sort_block_merge_implIS3_NS6_6detail15normal_iteratorINS6_10device_ptrIjEEEENSD_INSE_IS9_EEEEjNS1_19radix_merge_compareILb0ELb1EjNS0_19identity_decomposerEEEEE10hipError_tT0_T1_T2_jT3_P12ihipStream_tbPNSt15iterator_traitsISN_E10value_typeEPNST_ISO_E10value_typeEPSP_NS1_7vsmem_tEENKUlT_SN_SO_SP_E_clIPjSG_PS9_SI_EESM_S12_SN_SO_SP_EUlS12_E_NS1_11comp_targetILNS1_3genE0ELNS1_11target_archE4294967295ELNS1_3gpuE0ELNS1_3repE0EEENS1_48merge_mergepath_partition_config_static_selectorELNS0_4arch9wavefront6targetE0EEEvSO_,"axG",@progbits,_ZN7rocprim17ROCPRIM_400000_NS6detail17trampoline_kernelINS0_14default_configENS1_38merge_sort_block_merge_config_selectorIjN6thrust23THRUST_200600_302600_NS5tupleIffNS6_9null_typeES8_S8_S8_S8_S8_S8_S8_EEEEZZNS1_27merge_sort_block_merge_implIS3_NS6_6detail15normal_iteratorINS6_10device_ptrIjEEEENSD_INSE_IS9_EEEEjNS1_19radix_merge_compareILb0ELb1EjNS0_19identity_decomposerEEEEE10hipError_tT0_T1_T2_jT3_P12ihipStream_tbPNSt15iterator_traitsISN_E10value_typeEPNST_ISO_E10value_typeEPSP_NS1_7vsmem_tEENKUlT_SN_SO_SP_E_clIPjSG_PS9_SI_EESM_S12_SN_SO_SP_EUlS12_E_NS1_11comp_targetILNS1_3genE0ELNS1_11target_archE4294967295ELNS1_3gpuE0ELNS1_3repE0EEENS1_48merge_mergepath_partition_config_static_selectorELNS0_4arch9wavefront6targetE0EEEvSO_,comdat
.Lfunc_end91:
	.size	_ZN7rocprim17ROCPRIM_400000_NS6detail17trampoline_kernelINS0_14default_configENS1_38merge_sort_block_merge_config_selectorIjN6thrust23THRUST_200600_302600_NS5tupleIffNS6_9null_typeES8_S8_S8_S8_S8_S8_S8_EEEEZZNS1_27merge_sort_block_merge_implIS3_NS6_6detail15normal_iteratorINS6_10device_ptrIjEEEENSD_INSE_IS9_EEEEjNS1_19radix_merge_compareILb0ELb1EjNS0_19identity_decomposerEEEEE10hipError_tT0_T1_T2_jT3_P12ihipStream_tbPNSt15iterator_traitsISN_E10value_typeEPNST_ISO_E10value_typeEPSP_NS1_7vsmem_tEENKUlT_SN_SO_SP_E_clIPjSG_PS9_SI_EESM_S12_SN_SO_SP_EUlS12_E_NS1_11comp_targetILNS1_3genE0ELNS1_11target_archE4294967295ELNS1_3gpuE0ELNS1_3repE0EEENS1_48merge_mergepath_partition_config_static_selectorELNS0_4arch9wavefront6targetE0EEEvSO_, .Lfunc_end91-_ZN7rocprim17ROCPRIM_400000_NS6detail17trampoline_kernelINS0_14default_configENS1_38merge_sort_block_merge_config_selectorIjN6thrust23THRUST_200600_302600_NS5tupleIffNS6_9null_typeES8_S8_S8_S8_S8_S8_S8_EEEEZZNS1_27merge_sort_block_merge_implIS3_NS6_6detail15normal_iteratorINS6_10device_ptrIjEEEENSD_INSE_IS9_EEEEjNS1_19radix_merge_compareILb0ELb1EjNS0_19identity_decomposerEEEEE10hipError_tT0_T1_T2_jT3_P12ihipStream_tbPNSt15iterator_traitsISN_E10value_typeEPNST_ISO_E10value_typeEPSP_NS1_7vsmem_tEENKUlT_SN_SO_SP_E_clIPjSG_PS9_SI_EESM_S12_SN_SO_SP_EUlS12_E_NS1_11comp_targetILNS1_3genE0ELNS1_11target_archE4294967295ELNS1_3gpuE0ELNS1_3repE0EEENS1_48merge_mergepath_partition_config_static_selectorELNS0_4arch9wavefront6targetE0EEEvSO_
                                        ; -- End function
	.set _ZN7rocprim17ROCPRIM_400000_NS6detail17trampoline_kernelINS0_14default_configENS1_38merge_sort_block_merge_config_selectorIjN6thrust23THRUST_200600_302600_NS5tupleIffNS6_9null_typeES8_S8_S8_S8_S8_S8_S8_EEEEZZNS1_27merge_sort_block_merge_implIS3_NS6_6detail15normal_iteratorINS6_10device_ptrIjEEEENSD_INSE_IS9_EEEEjNS1_19radix_merge_compareILb0ELb1EjNS0_19identity_decomposerEEEEE10hipError_tT0_T1_T2_jT3_P12ihipStream_tbPNSt15iterator_traitsISN_E10value_typeEPNST_ISO_E10value_typeEPSP_NS1_7vsmem_tEENKUlT_SN_SO_SP_E_clIPjSG_PS9_SI_EESM_S12_SN_SO_SP_EUlS12_E_NS1_11comp_targetILNS1_3genE0ELNS1_11target_archE4294967295ELNS1_3gpuE0ELNS1_3repE0EEENS1_48merge_mergepath_partition_config_static_selectorELNS0_4arch9wavefront6targetE0EEEvSO_.num_vgpr, 17
	.set _ZN7rocprim17ROCPRIM_400000_NS6detail17trampoline_kernelINS0_14default_configENS1_38merge_sort_block_merge_config_selectorIjN6thrust23THRUST_200600_302600_NS5tupleIffNS6_9null_typeES8_S8_S8_S8_S8_S8_S8_EEEEZZNS1_27merge_sort_block_merge_implIS3_NS6_6detail15normal_iteratorINS6_10device_ptrIjEEEENSD_INSE_IS9_EEEEjNS1_19radix_merge_compareILb0ELb1EjNS0_19identity_decomposerEEEEE10hipError_tT0_T1_T2_jT3_P12ihipStream_tbPNSt15iterator_traitsISN_E10value_typeEPNST_ISO_E10value_typeEPSP_NS1_7vsmem_tEENKUlT_SN_SO_SP_E_clIPjSG_PS9_SI_EESM_S12_SN_SO_SP_EUlS12_E_NS1_11comp_targetILNS1_3genE0ELNS1_11target_archE4294967295ELNS1_3gpuE0ELNS1_3repE0EEENS1_48merge_mergepath_partition_config_static_selectorELNS0_4arch9wavefront6targetE0EEEvSO_.num_agpr, 0
	.set _ZN7rocprim17ROCPRIM_400000_NS6detail17trampoline_kernelINS0_14default_configENS1_38merge_sort_block_merge_config_selectorIjN6thrust23THRUST_200600_302600_NS5tupleIffNS6_9null_typeES8_S8_S8_S8_S8_S8_S8_EEEEZZNS1_27merge_sort_block_merge_implIS3_NS6_6detail15normal_iteratorINS6_10device_ptrIjEEEENSD_INSE_IS9_EEEEjNS1_19radix_merge_compareILb0ELb1EjNS0_19identity_decomposerEEEEE10hipError_tT0_T1_T2_jT3_P12ihipStream_tbPNSt15iterator_traitsISN_E10value_typeEPNST_ISO_E10value_typeEPSP_NS1_7vsmem_tEENKUlT_SN_SO_SP_E_clIPjSG_PS9_SI_EESM_S12_SN_SO_SP_EUlS12_E_NS1_11comp_targetILNS1_3genE0ELNS1_11target_archE4294967295ELNS1_3gpuE0ELNS1_3repE0EEENS1_48merge_mergepath_partition_config_static_selectorELNS0_4arch9wavefront6targetE0EEEvSO_.numbered_sgpr, 8
	.set _ZN7rocprim17ROCPRIM_400000_NS6detail17trampoline_kernelINS0_14default_configENS1_38merge_sort_block_merge_config_selectorIjN6thrust23THRUST_200600_302600_NS5tupleIffNS6_9null_typeES8_S8_S8_S8_S8_S8_S8_EEEEZZNS1_27merge_sort_block_merge_implIS3_NS6_6detail15normal_iteratorINS6_10device_ptrIjEEEENSD_INSE_IS9_EEEEjNS1_19radix_merge_compareILb0ELb1EjNS0_19identity_decomposerEEEEE10hipError_tT0_T1_T2_jT3_P12ihipStream_tbPNSt15iterator_traitsISN_E10value_typeEPNST_ISO_E10value_typeEPSP_NS1_7vsmem_tEENKUlT_SN_SO_SP_E_clIPjSG_PS9_SI_EESM_S12_SN_SO_SP_EUlS12_E_NS1_11comp_targetILNS1_3genE0ELNS1_11target_archE4294967295ELNS1_3gpuE0ELNS1_3repE0EEENS1_48merge_mergepath_partition_config_static_selectorELNS0_4arch9wavefront6targetE0EEEvSO_.num_named_barrier, 0
	.set _ZN7rocprim17ROCPRIM_400000_NS6detail17trampoline_kernelINS0_14default_configENS1_38merge_sort_block_merge_config_selectorIjN6thrust23THRUST_200600_302600_NS5tupleIffNS6_9null_typeES8_S8_S8_S8_S8_S8_S8_EEEEZZNS1_27merge_sort_block_merge_implIS3_NS6_6detail15normal_iteratorINS6_10device_ptrIjEEEENSD_INSE_IS9_EEEEjNS1_19radix_merge_compareILb0ELb1EjNS0_19identity_decomposerEEEEE10hipError_tT0_T1_T2_jT3_P12ihipStream_tbPNSt15iterator_traitsISN_E10value_typeEPNST_ISO_E10value_typeEPSP_NS1_7vsmem_tEENKUlT_SN_SO_SP_E_clIPjSG_PS9_SI_EESM_S12_SN_SO_SP_EUlS12_E_NS1_11comp_targetILNS1_3genE0ELNS1_11target_archE4294967295ELNS1_3gpuE0ELNS1_3repE0EEENS1_48merge_mergepath_partition_config_static_selectorELNS0_4arch9wavefront6targetE0EEEvSO_.private_seg_size, 0
	.set _ZN7rocprim17ROCPRIM_400000_NS6detail17trampoline_kernelINS0_14default_configENS1_38merge_sort_block_merge_config_selectorIjN6thrust23THRUST_200600_302600_NS5tupleIffNS6_9null_typeES8_S8_S8_S8_S8_S8_S8_EEEEZZNS1_27merge_sort_block_merge_implIS3_NS6_6detail15normal_iteratorINS6_10device_ptrIjEEEENSD_INSE_IS9_EEEEjNS1_19radix_merge_compareILb0ELb1EjNS0_19identity_decomposerEEEEE10hipError_tT0_T1_T2_jT3_P12ihipStream_tbPNSt15iterator_traitsISN_E10value_typeEPNST_ISO_E10value_typeEPSP_NS1_7vsmem_tEENKUlT_SN_SO_SP_E_clIPjSG_PS9_SI_EESM_S12_SN_SO_SP_EUlS12_E_NS1_11comp_targetILNS1_3genE0ELNS1_11target_archE4294967295ELNS1_3gpuE0ELNS1_3repE0EEENS1_48merge_mergepath_partition_config_static_selectorELNS0_4arch9wavefront6targetE0EEEvSO_.uses_vcc, 1
	.set _ZN7rocprim17ROCPRIM_400000_NS6detail17trampoline_kernelINS0_14default_configENS1_38merge_sort_block_merge_config_selectorIjN6thrust23THRUST_200600_302600_NS5tupleIffNS6_9null_typeES8_S8_S8_S8_S8_S8_S8_EEEEZZNS1_27merge_sort_block_merge_implIS3_NS6_6detail15normal_iteratorINS6_10device_ptrIjEEEENSD_INSE_IS9_EEEEjNS1_19radix_merge_compareILb0ELb1EjNS0_19identity_decomposerEEEEE10hipError_tT0_T1_T2_jT3_P12ihipStream_tbPNSt15iterator_traitsISN_E10value_typeEPNST_ISO_E10value_typeEPSP_NS1_7vsmem_tEENKUlT_SN_SO_SP_E_clIPjSG_PS9_SI_EESM_S12_SN_SO_SP_EUlS12_E_NS1_11comp_targetILNS1_3genE0ELNS1_11target_archE4294967295ELNS1_3gpuE0ELNS1_3repE0EEENS1_48merge_mergepath_partition_config_static_selectorELNS0_4arch9wavefront6targetE0EEEvSO_.uses_flat_scratch, 0
	.set _ZN7rocprim17ROCPRIM_400000_NS6detail17trampoline_kernelINS0_14default_configENS1_38merge_sort_block_merge_config_selectorIjN6thrust23THRUST_200600_302600_NS5tupleIffNS6_9null_typeES8_S8_S8_S8_S8_S8_S8_EEEEZZNS1_27merge_sort_block_merge_implIS3_NS6_6detail15normal_iteratorINS6_10device_ptrIjEEEENSD_INSE_IS9_EEEEjNS1_19radix_merge_compareILb0ELb1EjNS0_19identity_decomposerEEEEE10hipError_tT0_T1_T2_jT3_P12ihipStream_tbPNSt15iterator_traitsISN_E10value_typeEPNST_ISO_E10value_typeEPSP_NS1_7vsmem_tEENKUlT_SN_SO_SP_E_clIPjSG_PS9_SI_EESM_S12_SN_SO_SP_EUlS12_E_NS1_11comp_targetILNS1_3genE0ELNS1_11target_archE4294967295ELNS1_3gpuE0ELNS1_3repE0EEENS1_48merge_mergepath_partition_config_static_selectorELNS0_4arch9wavefront6targetE0EEEvSO_.has_dyn_sized_stack, 0
	.set _ZN7rocprim17ROCPRIM_400000_NS6detail17trampoline_kernelINS0_14default_configENS1_38merge_sort_block_merge_config_selectorIjN6thrust23THRUST_200600_302600_NS5tupleIffNS6_9null_typeES8_S8_S8_S8_S8_S8_S8_EEEEZZNS1_27merge_sort_block_merge_implIS3_NS6_6detail15normal_iteratorINS6_10device_ptrIjEEEENSD_INSE_IS9_EEEEjNS1_19radix_merge_compareILb0ELb1EjNS0_19identity_decomposerEEEEE10hipError_tT0_T1_T2_jT3_P12ihipStream_tbPNSt15iterator_traitsISN_E10value_typeEPNST_ISO_E10value_typeEPSP_NS1_7vsmem_tEENKUlT_SN_SO_SP_E_clIPjSG_PS9_SI_EESM_S12_SN_SO_SP_EUlS12_E_NS1_11comp_targetILNS1_3genE0ELNS1_11target_archE4294967295ELNS1_3gpuE0ELNS1_3repE0EEENS1_48merge_mergepath_partition_config_static_selectorELNS0_4arch9wavefront6targetE0EEEvSO_.has_recursion, 0
	.set _ZN7rocprim17ROCPRIM_400000_NS6detail17trampoline_kernelINS0_14default_configENS1_38merge_sort_block_merge_config_selectorIjN6thrust23THRUST_200600_302600_NS5tupleIffNS6_9null_typeES8_S8_S8_S8_S8_S8_S8_EEEEZZNS1_27merge_sort_block_merge_implIS3_NS6_6detail15normal_iteratorINS6_10device_ptrIjEEEENSD_INSE_IS9_EEEEjNS1_19radix_merge_compareILb0ELb1EjNS0_19identity_decomposerEEEEE10hipError_tT0_T1_T2_jT3_P12ihipStream_tbPNSt15iterator_traitsISN_E10value_typeEPNST_ISO_E10value_typeEPSP_NS1_7vsmem_tEENKUlT_SN_SO_SP_E_clIPjSG_PS9_SI_EESM_S12_SN_SO_SP_EUlS12_E_NS1_11comp_targetILNS1_3genE0ELNS1_11target_archE4294967295ELNS1_3gpuE0ELNS1_3repE0EEENS1_48merge_mergepath_partition_config_static_selectorELNS0_4arch9wavefront6targetE0EEEvSO_.has_indirect_call, 0
	.section	.AMDGPU.csdata,"",@progbits
; Kernel info:
; codeLenInByte = 452
; TotalNumSgprs: 10
; NumVgprs: 17
; ScratchSize: 0
; MemoryBound: 0
; FloatMode: 240
; IeeeMode: 1
; LDSByteSize: 0 bytes/workgroup (compile time only)
; SGPRBlocks: 0
; VGPRBlocks: 1
; NumSGPRsForWavesPerEU: 10
; NumVGPRsForWavesPerEU: 17
; NamedBarCnt: 0
; Occupancy: 16
; WaveLimiterHint : 0
; COMPUTE_PGM_RSRC2:SCRATCH_EN: 0
; COMPUTE_PGM_RSRC2:USER_SGPR: 2
; COMPUTE_PGM_RSRC2:TRAP_HANDLER: 0
; COMPUTE_PGM_RSRC2:TGID_X_EN: 1
; COMPUTE_PGM_RSRC2:TGID_Y_EN: 0
; COMPUTE_PGM_RSRC2:TGID_Z_EN: 0
; COMPUTE_PGM_RSRC2:TIDIG_COMP_CNT: 0
	.section	.text._ZN7rocprim17ROCPRIM_400000_NS6detail17trampoline_kernelINS0_14default_configENS1_38merge_sort_block_merge_config_selectorIjN6thrust23THRUST_200600_302600_NS5tupleIffNS6_9null_typeES8_S8_S8_S8_S8_S8_S8_EEEEZZNS1_27merge_sort_block_merge_implIS3_NS6_6detail15normal_iteratorINS6_10device_ptrIjEEEENSD_INSE_IS9_EEEEjNS1_19radix_merge_compareILb0ELb1EjNS0_19identity_decomposerEEEEE10hipError_tT0_T1_T2_jT3_P12ihipStream_tbPNSt15iterator_traitsISN_E10value_typeEPNST_ISO_E10value_typeEPSP_NS1_7vsmem_tEENKUlT_SN_SO_SP_E_clIPjSG_PS9_SI_EESM_S12_SN_SO_SP_EUlS12_E_NS1_11comp_targetILNS1_3genE10ELNS1_11target_archE1201ELNS1_3gpuE5ELNS1_3repE0EEENS1_48merge_mergepath_partition_config_static_selectorELNS0_4arch9wavefront6targetE0EEEvSO_,"axG",@progbits,_ZN7rocprim17ROCPRIM_400000_NS6detail17trampoline_kernelINS0_14default_configENS1_38merge_sort_block_merge_config_selectorIjN6thrust23THRUST_200600_302600_NS5tupleIffNS6_9null_typeES8_S8_S8_S8_S8_S8_S8_EEEEZZNS1_27merge_sort_block_merge_implIS3_NS6_6detail15normal_iteratorINS6_10device_ptrIjEEEENSD_INSE_IS9_EEEEjNS1_19radix_merge_compareILb0ELb1EjNS0_19identity_decomposerEEEEE10hipError_tT0_T1_T2_jT3_P12ihipStream_tbPNSt15iterator_traitsISN_E10value_typeEPNST_ISO_E10value_typeEPSP_NS1_7vsmem_tEENKUlT_SN_SO_SP_E_clIPjSG_PS9_SI_EESM_S12_SN_SO_SP_EUlS12_E_NS1_11comp_targetILNS1_3genE10ELNS1_11target_archE1201ELNS1_3gpuE5ELNS1_3repE0EEENS1_48merge_mergepath_partition_config_static_selectorELNS0_4arch9wavefront6targetE0EEEvSO_,comdat
	.protected	_ZN7rocprim17ROCPRIM_400000_NS6detail17trampoline_kernelINS0_14default_configENS1_38merge_sort_block_merge_config_selectorIjN6thrust23THRUST_200600_302600_NS5tupleIffNS6_9null_typeES8_S8_S8_S8_S8_S8_S8_EEEEZZNS1_27merge_sort_block_merge_implIS3_NS6_6detail15normal_iteratorINS6_10device_ptrIjEEEENSD_INSE_IS9_EEEEjNS1_19radix_merge_compareILb0ELb1EjNS0_19identity_decomposerEEEEE10hipError_tT0_T1_T2_jT3_P12ihipStream_tbPNSt15iterator_traitsISN_E10value_typeEPNST_ISO_E10value_typeEPSP_NS1_7vsmem_tEENKUlT_SN_SO_SP_E_clIPjSG_PS9_SI_EESM_S12_SN_SO_SP_EUlS12_E_NS1_11comp_targetILNS1_3genE10ELNS1_11target_archE1201ELNS1_3gpuE5ELNS1_3repE0EEENS1_48merge_mergepath_partition_config_static_selectorELNS0_4arch9wavefront6targetE0EEEvSO_ ; -- Begin function _ZN7rocprim17ROCPRIM_400000_NS6detail17trampoline_kernelINS0_14default_configENS1_38merge_sort_block_merge_config_selectorIjN6thrust23THRUST_200600_302600_NS5tupleIffNS6_9null_typeES8_S8_S8_S8_S8_S8_S8_EEEEZZNS1_27merge_sort_block_merge_implIS3_NS6_6detail15normal_iteratorINS6_10device_ptrIjEEEENSD_INSE_IS9_EEEEjNS1_19radix_merge_compareILb0ELb1EjNS0_19identity_decomposerEEEEE10hipError_tT0_T1_T2_jT3_P12ihipStream_tbPNSt15iterator_traitsISN_E10value_typeEPNST_ISO_E10value_typeEPSP_NS1_7vsmem_tEENKUlT_SN_SO_SP_E_clIPjSG_PS9_SI_EESM_S12_SN_SO_SP_EUlS12_E_NS1_11comp_targetILNS1_3genE10ELNS1_11target_archE1201ELNS1_3gpuE5ELNS1_3repE0EEENS1_48merge_mergepath_partition_config_static_selectorELNS0_4arch9wavefront6targetE0EEEvSO_
	.globl	_ZN7rocprim17ROCPRIM_400000_NS6detail17trampoline_kernelINS0_14default_configENS1_38merge_sort_block_merge_config_selectorIjN6thrust23THRUST_200600_302600_NS5tupleIffNS6_9null_typeES8_S8_S8_S8_S8_S8_S8_EEEEZZNS1_27merge_sort_block_merge_implIS3_NS6_6detail15normal_iteratorINS6_10device_ptrIjEEEENSD_INSE_IS9_EEEEjNS1_19radix_merge_compareILb0ELb1EjNS0_19identity_decomposerEEEEE10hipError_tT0_T1_T2_jT3_P12ihipStream_tbPNSt15iterator_traitsISN_E10value_typeEPNST_ISO_E10value_typeEPSP_NS1_7vsmem_tEENKUlT_SN_SO_SP_E_clIPjSG_PS9_SI_EESM_S12_SN_SO_SP_EUlS12_E_NS1_11comp_targetILNS1_3genE10ELNS1_11target_archE1201ELNS1_3gpuE5ELNS1_3repE0EEENS1_48merge_mergepath_partition_config_static_selectorELNS0_4arch9wavefront6targetE0EEEvSO_
	.p2align	8
	.type	_ZN7rocprim17ROCPRIM_400000_NS6detail17trampoline_kernelINS0_14default_configENS1_38merge_sort_block_merge_config_selectorIjN6thrust23THRUST_200600_302600_NS5tupleIffNS6_9null_typeES8_S8_S8_S8_S8_S8_S8_EEEEZZNS1_27merge_sort_block_merge_implIS3_NS6_6detail15normal_iteratorINS6_10device_ptrIjEEEENSD_INSE_IS9_EEEEjNS1_19radix_merge_compareILb0ELb1EjNS0_19identity_decomposerEEEEE10hipError_tT0_T1_T2_jT3_P12ihipStream_tbPNSt15iterator_traitsISN_E10value_typeEPNST_ISO_E10value_typeEPSP_NS1_7vsmem_tEENKUlT_SN_SO_SP_E_clIPjSG_PS9_SI_EESM_S12_SN_SO_SP_EUlS12_E_NS1_11comp_targetILNS1_3genE10ELNS1_11target_archE1201ELNS1_3gpuE5ELNS1_3repE0EEENS1_48merge_mergepath_partition_config_static_selectorELNS0_4arch9wavefront6targetE0EEEvSO_,@function
_ZN7rocprim17ROCPRIM_400000_NS6detail17trampoline_kernelINS0_14default_configENS1_38merge_sort_block_merge_config_selectorIjN6thrust23THRUST_200600_302600_NS5tupleIffNS6_9null_typeES8_S8_S8_S8_S8_S8_S8_EEEEZZNS1_27merge_sort_block_merge_implIS3_NS6_6detail15normal_iteratorINS6_10device_ptrIjEEEENSD_INSE_IS9_EEEEjNS1_19radix_merge_compareILb0ELb1EjNS0_19identity_decomposerEEEEE10hipError_tT0_T1_T2_jT3_P12ihipStream_tbPNSt15iterator_traitsISN_E10value_typeEPNST_ISO_E10value_typeEPSP_NS1_7vsmem_tEENKUlT_SN_SO_SP_E_clIPjSG_PS9_SI_EESM_S12_SN_SO_SP_EUlS12_E_NS1_11comp_targetILNS1_3genE10ELNS1_11target_archE1201ELNS1_3gpuE5ELNS1_3repE0EEENS1_48merge_mergepath_partition_config_static_selectorELNS0_4arch9wavefront6targetE0EEEvSO_: ; @_ZN7rocprim17ROCPRIM_400000_NS6detail17trampoline_kernelINS0_14default_configENS1_38merge_sort_block_merge_config_selectorIjN6thrust23THRUST_200600_302600_NS5tupleIffNS6_9null_typeES8_S8_S8_S8_S8_S8_S8_EEEEZZNS1_27merge_sort_block_merge_implIS3_NS6_6detail15normal_iteratorINS6_10device_ptrIjEEEENSD_INSE_IS9_EEEEjNS1_19radix_merge_compareILb0ELb1EjNS0_19identity_decomposerEEEEE10hipError_tT0_T1_T2_jT3_P12ihipStream_tbPNSt15iterator_traitsISN_E10value_typeEPNST_ISO_E10value_typeEPSP_NS1_7vsmem_tEENKUlT_SN_SO_SP_E_clIPjSG_PS9_SI_EESM_S12_SN_SO_SP_EUlS12_E_NS1_11comp_targetILNS1_3genE10ELNS1_11target_archE1201ELNS1_3gpuE5ELNS1_3repE0EEENS1_48merge_mergepath_partition_config_static_selectorELNS0_4arch9wavefront6targetE0EEEvSO_
; %bb.0:
	.section	.rodata,"a",@progbits
	.p2align	6, 0x0
	.amdhsa_kernel _ZN7rocprim17ROCPRIM_400000_NS6detail17trampoline_kernelINS0_14default_configENS1_38merge_sort_block_merge_config_selectorIjN6thrust23THRUST_200600_302600_NS5tupleIffNS6_9null_typeES8_S8_S8_S8_S8_S8_S8_EEEEZZNS1_27merge_sort_block_merge_implIS3_NS6_6detail15normal_iteratorINS6_10device_ptrIjEEEENSD_INSE_IS9_EEEEjNS1_19radix_merge_compareILb0ELb1EjNS0_19identity_decomposerEEEEE10hipError_tT0_T1_T2_jT3_P12ihipStream_tbPNSt15iterator_traitsISN_E10value_typeEPNST_ISO_E10value_typeEPSP_NS1_7vsmem_tEENKUlT_SN_SO_SP_E_clIPjSG_PS9_SI_EESM_S12_SN_SO_SP_EUlS12_E_NS1_11comp_targetILNS1_3genE10ELNS1_11target_archE1201ELNS1_3gpuE5ELNS1_3repE0EEENS1_48merge_mergepath_partition_config_static_selectorELNS0_4arch9wavefront6targetE0EEEvSO_
		.amdhsa_group_segment_fixed_size 0
		.amdhsa_private_segment_fixed_size 0
		.amdhsa_kernarg_size 40
		.amdhsa_user_sgpr_count 2
		.amdhsa_user_sgpr_dispatch_ptr 0
		.amdhsa_user_sgpr_queue_ptr 0
		.amdhsa_user_sgpr_kernarg_segment_ptr 1
		.amdhsa_user_sgpr_dispatch_id 0
		.amdhsa_user_sgpr_kernarg_preload_length 0
		.amdhsa_user_sgpr_kernarg_preload_offset 0
		.amdhsa_user_sgpr_private_segment_size 0
		.amdhsa_wavefront_size32 1
		.amdhsa_uses_dynamic_stack 0
		.amdhsa_enable_private_segment 0
		.amdhsa_system_sgpr_workgroup_id_x 1
		.amdhsa_system_sgpr_workgroup_id_y 0
		.amdhsa_system_sgpr_workgroup_id_z 0
		.amdhsa_system_sgpr_workgroup_info 0
		.amdhsa_system_vgpr_workitem_id 0
		.amdhsa_next_free_vgpr 1
		.amdhsa_next_free_sgpr 1
		.amdhsa_named_barrier_count 0
		.amdhsa_reserve_vcc 0
		.amdhsa_float_round_mode_32 0
		.amdhsa_float_round_mode_16_64 0
		.amdhsa_float_denorm_mode_32 3
		.amdhsa_float_denorm_mode_16_64 3
		.amdhsa_fp16_overflow 0
		.amdhsa_memory_ordered 1
		.amdhsa_forward_progress 1
		.amdhsa_inst_pref_size 0
		.amdhsa_round_robin_scheduling 0
		.amdhsa_exception_fp_ieee_invalid_op 0
		.amdhsa_exception_fp_denorm_src 0
		.amdhsa_exception_fp_ieee_div_zero 0
		.amdhsa_exception_fp_ieee_overflow 0
		.amdhsa_exception_fp_ieee_underflow 0
		.amdhsa_exception_fp_ieee_inexact 0
		.amdhsa_exception_int_div_zero 0
	.end_amdhsa_kernel
	.section	.text._ZN7rocprim17ROCPRIM_400000_NS6detail17trampoline_kernelINS0_14default_configENS1_38merge_sort_block_merge_config_selectorIjN6thrust23THRUST_200600_302600_NS5tupleIffNS6_9null_typeES8_S8_S8_S8_S8_S8_S8_EEEEZZNS1_27merge_sort_block_merge_implIS3_NS6_6detail15normal_iteratorINS6_10device_ptrIjEEEENSD_INSE_IS9_EEEEjNS1_19radix_merge_compareILb0ELb1EjNS0_19identity_decomposerEEEEE10hipError_tT0_T1_T2_jT3_P12ihipStream_tbPNSt15iterator_traitsISN_E10value_typeEPNST_ISO_E10value_typeEPSP_NS1_7vsmem_tEENKUlT_SN_SO_SP_E_clIPjSG_PS9_SI_EESM_S12_SN_SO_SP_EUlS12_E_NS1_11comp_targetILNS1_3genE10ELNS1_11target_archE1201ELNS1_3gpuE5ELNS1_3repE0EEENS1_48merge_mergepath_partition_config_static_selectorELNS0_4arch9wavefront6targetE0EEEvSO_,"axG",@progbits,_ZN7rocprim17ROCPRIM_400000_NS6detail17trampoline_kernelINS0_14default_configENS1_38merge_sort_block_merge_config_selectorIjN6thrust23THRUST_200600_302600_NS5tupleIffNS6_9null_typeES8_S8_S8_S8_S8_S8_S8_EEEEZZNS1_27merge_sort_block_merge_implIS3_NS6_6detail15normal_iteratorINS6_10device_ptrIjEEEENSD_INSE_IS9_EEEEjNS1_19radix_merge_compareILb0ELb1EjNS0_19identity_decomposerEEEEE10hipError_tT0_T1_T2_jT3_P12ihipStream_tbPNSt15iterator_traitsISN_E10value_typeEPNST_ISO_E10value_typeEPSP_NS1_7vsmem_tEENKUlT_SN_SO_SP_E_clIPjSG_PS9_SI_EESM_S12_SN_SO_SP_EUlS12_E_NS1_11comp_targetILNS1_3genE10ELNS1_11target_archE1201ELNS1_3gpuE5ELNS1_3repE0EEENS1_48merge_mergepath_partition_config_static_selectorELNS0_4arch9wavefront6targetE0EEEvSO_,comdat
.Lfunc_end92:
	.size	_ZN7rocprim17ROCPRIM_400000_NS6detail17trampoline_kernelINS0_14default_configENS1_38merge_sort_block_merge_config_selectorIjN6thrust23THRUST_200600_302600_NS5tupleIffNS6_9null_typeES8_S8_S8_S8_S8_S8_S8_EEEEZZNS1_27merge_sort_block_merge_implIS3_NS6_6detail15normal_iteratorINS6_10device_ptrIjEEEENSD_INSE_IS9_EEEEjNS1_19radix_merge_compareILb0ELb1EjNS0_19identity_decomposerEEEEE10hipError_tT0_T1_T2_jT3_P12ihipStream_tbPNSt15iterator_traitsISN_E10value_typeEPNST_ISO_E10value_typeEPSP_NS1_7vsmem_tEENKUlT_SN_SO_SP_E_clIPjSG_PS9_SI_EESM_S12_SN_SO_SP_EUlS12_E_NS1_11comp_targetILNS1_3genE10ELNS1_11target_archE1201ELNS1_3gpuE5ELNS1_3repE0EEENS1_48merge_mergepath_partition_config_static_selectorELNS0_4arch9wavefront6targetE0EEEvSO_, .Lfunc_end92-_ZN7rocprim17ROCPRIM_400000_NS6detail17trampoline_kernelINS0_14default_configENS1_38merge_sort_block_merge_config_selectorIjN6thrust23THRUST_200600_302600_NS5tupleIffNS6_9null_typeES8_S8_S8_S8_S8_S8_S8_EEEEZZNS1_27merge_sort_block_merge_implIS3_NS6_6detail15normal_iteratorINS6_10device_ptrIjEEEENSD_INSE_IS9_EEEEjNS1_19radix_merge_compareILb0ELb1EjNS0_19identity_decomposerEEEEE10hipError_tT0_T1_T2_jT3_P12ihipStream_tbPNSt15iterator_traitsISN_E10value_typeEPNST_ISO_E10value_typeEPSP_NS1_7vsmem_tEENKUlT_SN_SO_SP_E_clIPjSG_PS9_SI_EESM_S12_SN_SO_SP_EUlS12_E_NS1_11comp_targetILNS1_3genE10ELNS1_11target_archE1201ELNS1_3gpuE5ELNS1_3repE0EEENS1_48merge_mergepath_partition_config_static_selectorELNS0_4arch9wavefront6targetE0EEEvSO_
                                        ; -- End function
	.set _ZN7rocprim17ROCPRIM_400000_NS6detail17trampoline_kernelINS0_14default_configENS1_38merge_sort_block_merge_config_selectorIjN6thrust23THRUST_200600_302600_NS5tupleIffNS6_9null_typeES8_S8_S8_S8_S8_S8_S8_EEEEZZNS1_27merge_sort_block_merge_implIS3_NS6_6detail15normal_iteratorINS6_10device_ptrIjEEEENSD_INSE_IS9_EEEEjNS1_19radix_merge_compareILb0ELb1EjNS0_19identity_decomposerEEEEE10hipError_tT0_T1_T2_jT3_P12ihipStream_tbPNSt15iterator_traitsISN_E10value_typeEPNST_ISO_E10value_typeEPSP_NS1_7vsmem_tEENKUlT_SN_SO_SP_E_clIPjSG_PS9_SI_EESM_S12_SN_SO_SP_EUlS12_E_NS1_11comp_targetILNS1_3genE10ELNS1_11target_archE1201ELNS1_3gpuE5ELNS1_3repE0EEENS1_48merge_mergepath_partition_config_static_selectorELNS0_4arch9wavefront6targetE0EEEvSO_.num_vgpr, 0
	.set _ZN7rocprim17ROCPRIM_400000_NS6detail17trampoline_kernelINS0_14default_configENS1_38merge_sort_block_merge_config_selectorIjN6thrust23THRUST_200600_302600_NS5tupleIffNS6_9null_typeES8_S8_S8_S8_S8_S8_S8_EEEEZZNS1_27merge_sort_block_merge_implIS3_NS6_6detail15normal_iteratorINS6_10device_ptrIjEEEENSD_INSE_IS9_EEEEjNS1_19radix_merge_compareILb0ELb1EjNS0_19identity_decomposerEEEEE10hipError_tT0_T1_T2_jT3_P12ihipStream_tbPNSt15iterator_traitsISN_E10value_typeEPNST_ISO_E10value_typeEPSP_NS1_7vsmem_tEENKUlT_SN_SO_SP_E_clIPjSG_PS9_SI_EESM_S12_SN_SO_SP_EUlS12_E_NS1_11comp_targetILNS1_3genE10ELNS1_11target_archE1201ELNS1_3gpuE5ELNS1_3repE0EEENS1_48merge_mergepath_partition_config_static_selectorELNS0_4arch9wavefront6targetE0EEEvSO_.num_agpr, 0
	.set _ZN7rocprim17ROCPRIM_400000_NS6detail17trampoline_kernelINS0_14default_configENS1_38merge_sort_block_merge_config_selectorIjN6thrust23THRUST_200600_302600_NS5tupleIffNS6_9null_typeES8_S8_S8_S8_S8_S8_S8_EEEEZZNS1_27merge_sort_block_merge_implIS3_NS6_6detail15normal_iteratorINS6_10device_ptrIjEEEENSD_INSE_IS9_EEEEjNS1_19radix_merge_compareILb0ELb1EjNS0_19identity_decomposerEEEEE10hipError_tT0_T1_T2_jT3_P12ihipStream_tbPNSt15iterator_traitsISN_E10value_typeEPNST_ISO_E10value_typeEPSP_NS1_7vsmem_tEENKUlT_SN_SO_SP_E_clIPjSG_PS9_SI_EESM_S12_SN_SO_SP_EUlS12_E_NS1_11comp_targetILNS1_3genE10ELNS1_11target_archE1201ELNS1_3gpuE5ELNS1_3repE0EEENS1_48merge_mergepath_partition_config_static_selectorELNS0_4arch9wavefront6targetE0EEEvSO_.numbered_sgpr, 0
	.set _ZN7rocprim17ROCPRIM_400000_NS6detail17trampoline_kernelINS0_14default_configENS1_38merge_sort_block_merge_config_selectorIjN6thrust23THRUST_200600_302600_NS5tupleIffNS6_9null_typeES8_S8_S8_S8_S8_S8_S8_EEEEZZNS1_27merge_sort_block_merge_implIS3_NS6_6detail15normal_iteratorINS6_10device_ptrIjEEEENSD_INSE_IS9_EEEEjNS1_19radix_merge_compareILb0ELb1EjNS0_19identity_decomposerEEEEE10hipError_tT0_T1_T2_jT3_P12ihipStream_tbPNSt15iterator_traitsISN_E10value_typeEPNST_ISO_E10value_typeEPSP_NS1_7vsmem_tEENKUlT_SN_SO_SP_E_clIPjSG_PS9_SI_EESM_S12_SN_SO_SP_EUlS12_E_NS1_11comp_targetILNS1_3genE10ELNS1_11target_archE1201ELNS1_3gpuE5ELNS1_3repE0EEENS1_48merge_mergepath_partition_config_static_selectorELNS0_4arch9wavefront6targetE0EEEvSO_.num_named_barrier, 0
	.set _ZN7rocprim17ROCPRIM_400000_NS6detail17trampoline_kernelINS0_14default_configENS1_38merge_sort_block_merge_config_selectorIjN6thrust23THRUST_200600_302600_NS5tupleIffNS6_9null_typeES8_S8_S8_S8_S8_S8_S8_EEEEZZNS1_27merge_sort_block_merge_implIS3_NS6_6detail15normal_iteratorINS6_10device_ptrIjEEEENSD_INSE_IS9_EEEEjNS1_19radix_merge_compareILb0ELb1EjNS0_19identity_decomposerEEEEE10hipError_tT0_T1_T2_jT3_P12ihipStream_tbPNSt15iterator_traitsISN_E10value_typeEPNST_ISO_E10value_typeEPSP_NS1_7vsmem_tEENKUlT_SN_SO_SP_E_clIPjSG_PS9_SI_EESM_S12_SN_SO_SP_EUlS12_E_NS1_11comp_targetILNS1_3genE10ELNS1_11target_archE1201ELNS1_3gpuE5ELNS1_3repE0EEENS1_48merge_mergepath_partition_config_static_selectorELNS0_4arch9wavefront6targetE0EEEvSO_.private_seg_size, 0
	.set _ZN7rocprim17ROCPRIM_400000_NS6detail17trampoline_kernelINS0_14default_configENS1_38merge_sort_block_merge_config_selectorIjN6thrust23THRUST_200600_302600_NS5tupleIffNS6_9null_typeES8_S8_S8_S8_S8_S8_S8_EEEEZZNS1_27merge_sort_block_merge_implIS3_NS6_6detail15normal_iteratorINS6_10device_ptrIjEEEENSD_INSE_IS9_EEEEjNS1_19radix_merge_compareILb0ELb1EjNS0_19identity_decomposerEEEEE10hipError_tT0_T1_T2_jT3_P12ihipStream_tbPNSt15iterator_traitsISN_E10value_typeEPNST_ISO_E10value_typeEPSP_NS1_7vsmem_tEENKUlT_SN_SO_SP_E_clIPjSG_PS9_SI_EESM_S12_SN_SO_SP_EUlS12_E_NS1_11comp_targetILNS1_3genE10ELNS1_11target_archE1201ELNS1_3gpuE5ELNS1_3repE0EEENS1_48merge_mergepath_partition_config_static_selectorELNS0_4arch9wavefront6targetE0EEEvSO_.uses_vcc, 0
	.set _ZN7rocprim17ROCPRIM_400000_NS6detail17trampoline_kernelINS0_14default_configENS1_38merge_sort_block_merge_config_selectorIjN6thrust23THRUST_200600_302600_NS5tupleIffNS6_9null_typeES8_S8_S8_S8_S8_S8_S8_EEEEZZNS1_27merge_sort_block_merge_implIS3_NS6_6detail15normal_iteratorINS6_10device_ptrIjEEEENSD_INSE_IS9_EEEEjNS1_19radix_merge_compareILb0ELb1EjNS0_19identity_decomposerEEEEE10hipError_tT0_T1_T2_jT3_P12ihipStream_tbPNSt15iterator_traitsISN_E10value_typeEPNST_ISO_E10value_typeEPSP_NS1_7vsmem_tEENKUlT_SN_SO_SP_E_clIPjSG_PS9_SI_EESM_S12_SN_SO_SP_EUlS12_E_NS1_11comp_targetILNS1_3genE10ELNS1_11target_archE1201ELNS1_3gpuE5ELNS1_3repE0EEENS1_48merge_mergepath_partition_config_static_selectorELNS0_4arch9wavefront6targetE0EEEvSO_.uses_flat_scratch, 0
	.set _ZN7rocprim17ROCPRIM_400000_NS6detail17trampoline_kernelINS0_14default_configENS1_38merge_sort_block_merge_config_selectorIjN6thrust23THRUST_200600_302600_NS5tupleIffNS6_9null_typeES8_S8_S8_S8_S8_S8_S8_EEEEZZNS1_27merge_sort_block_merge_implIS3_NS6_6detail15normal_iteratorINS6_10device_ptrIjEEEENSD_INSE_IS9_EEEEjNS1_19radix_merge_compareILb0ELb1EjNS0_19identity_decomposerEEEEE10hipError_tT0_T1_T2_jT3_P12ihipStream_tbPNSt15iterator_traitsISN_E10value_typeEPNST_ISO_E10value_typeEPSP_NS1_7vsmem_tEENKUlT_SN_SO_SP_E_clIPjSG_PS9_SI_EESM_S12_SN_SO_SP_EUlS12_E_NS1_11comp_targetILNS1_3genE10ELNS1_11target_archE1201ELNS1_3gpuE5ELNS1_3repE0EEENS1_48merge_mergepath_partition_config_static_selectorELNS0_4arch9wavefront6targetE0EEEvSO_.has_dyn_sized_stack, 0
	.set _ZN7rocprim17ROCPRIM_400000_NS6detail17trampoline_kernelINS0_14default_configENS1_38merge_sort_block_merge_config_selectorIjN6thrust23THRUST_200600_302600_NS5tupleIffNS6_9null_typeES8_S8_S8_S8_S8_S8_S8_EEEEZZNS1_27merge_sort_block_merge_implIS3_NS6_6detail15normal_iteratorINS6_10device_ptrIjEEEENSD_INSE_IS9_EEEEjNS1_19radix_merge_compareILb0ELb1EjNS0_19identity_decomposerEEEEE10hipError_tT0_T1_T2_jT3_P12ihipStream_tbPNSt15iterator_traitsISN_E10value_typeEPNST_ISO_E10value_typeEPSP_NS1_7vsmem_tEENKUlT_SN_SO_SP_E_clIPjSG_PS9_SI_EESM_S12_SN_SO_SP_EUlS12_E_NS1_11comp_targetILNS1_3genE10ELNS1_11target_archE1201ELNS1_3gpuE5ELNS1_3repE0EEENS1_48merge_mergepath_partition_config_static_selectorELNS0_4arch9wavefront6targetE0EEEvSO_.has_recursion, 0
	.set _ZN7rocprim17ROCPRIM_400000_NS6detail17trampoline_kernelINS0_14default_configENS1_38merge_sort_block_merge_config_selectorIjN6thrust23THRUST_200600_302600_NS5tupleIffNS6_9null_typeES8_S8_S8_S8_S8_S8_S8_EEEEZZNS1_27merge_sort_block_merge_implIS3_NS6_6detail15normal_iteratorINS6_10device_ptrIjEEEENSD_INSE_IS9_EEEEjNS1_19radix_merge_compareILb0ELb1EjNS0_19identity_decomposerEEEEE10hipError_tT0_T1_T2_jT3_P12ihipStream_tbPNSt15iterator_traitsISN_E10value_typeEPNST_ISO_E10value_typeEPSP_NS1_7vsmem_tEENKUlT_SN_SO_SP_E_clIPjSG_PS9_SI_EESM_S12_SN_SO_SP_EUlS12_E_NS1_11comp_targetILNS1_3genE10ELNS1_11target_archE1201ELNS1_3gpuE5ELNS1_3repE0EEENS1_48merge_mergepath_partition_config_static_selectorELNS0_4arch9wavefront6targetE0EEEvSO_.has_indirect_call, 0
	.section	.AMDGPU.csdata,"",@progbits
; Kernel info:
; codeLenInByte = 0
; TotalNumSgprs: 0
; NumVgprs: 0
; ScratchSize: 0
; MemoryBound: 0
; FloatMode: 240
; IeeeMode: 1
; LDSByteSize: 0 bytes/workgroup (compile time only)
; SGPRBlocks: 0
; VGPRBlocks: 0
; NumSGPRsForWavesPerEU: 1
; NumVGPRsForWavesPerEU: 1
; NamedBarCnt: 0
; Occupancy: 16
; WaveLimiterHint : 0
; COMPUTE_PGM_RSRC2:SCRATCH_EN: 0
; COMPUTE_PGM_RSRC2:USER_SGPR: 2
; COMPUTE_PGM_RSRC2:TRAP_HANDLER: 0
; COMPUTE_PGM_RSRC2:TGID_X_EN: 1
; COMPUTE_PGM_RSRC2:TGID_Y_EN: 0
; COMPUTE_PGM_RSRC2:TGID_Z_EN: 0
; COMPUTE_PGM_RSRC2:TIDIG_COMP_CNT: 0
	.section	.text._ZN7rocprim17ROCPRIM_400000_NS6detail17trampoline_kernelINS0_14default_configENS1_38merge_sort_block_merge_config_selectorIjN6thrust23THRUST_200600_302600_NS5tupleIffNS6_9null_typeES8_S8_S8_S8_S8_S8_S8_EEEEZZNS1_27merge_sort_block_merge_implIS3_NS6_6detail15normal_iteratorINS6_10device_ptrIjEEEENSD_INSE_IS9_EEEEjNS1_19radix_merge_compareILb0ELb1EjNS0_19identity_decomposerEEEEE10hipError_tT0_T1_T2_jT3_P12ihipStream_tbPNSt15iterator_traitsISN_E10value_typeEPNST_ISO_E10value_typeEPSP_NS1_7vsmem_tEENKUlT_SN_SO_SP_E_clIPjSG_PS9_SI_EESM_S12_SN_SO_SP_EUlS12_E_NS1_11comp_targetILNS1_3genE5ELNS1_11target_archE942ELNS1_3gpuE9ELNS1_3repE0EEENS1_48merge_mergepath_partition_config_static_selectorELNS0_4arch9wavefront6targetE0EEEvSO_,"axG",@progbits,_ZN7rocprim17ROCPRIM_400000_NS6detail17trampoline_kernelINS0_14default_configENS1_38merge_sort_block_merge_config_selectorIjN6thrust23THRUST_200600_302600_NS5tupleIffNS6_9null_typeES8_S8_S8_S8_S8_S8_S8_EEEEZZNS1_27merge_sort_block_merge_implIS3_NS6_6detail15normal_iteratorINS6_10device_ptrIjEEEENSD_INSE_IS9_EEEEjNS1_19radix_merge_compareILb0ELb1EjNS0_19identity_decomposerEEEEE10hipError_tT0_T1_T2_jT3_P12ihipStream_tbPNSt15iterator_traitsISN_E10value_typeEPNST_ISO_E10value_typeEPSP_NS1_7vsmem_tEENKUlT_SN_SO_SP_E_clIPjSG_PS9_SI_EESM_S12_SN_SO_SP_EUlS12_E_NS1_11comp_targetILNS1_3genE5ELNS1_11target_archE942ELNS1_3gpuE9ELNS1_3repE0EEENS1_48merge_mergepath_partition_config_static_selectorELNS0_4arch9wavefront6targetE0EEEvSO_,comdat
	.protected	_ZN7rocprim17ROCPRIM_400000_NS6detail17trampoline_kernelINS0_14default_configENS1_38merge_sort_block_merge_config_selectorIjN6thrust23THRUST_200600_302600_NS5tupleIffNS6_9null_typeES8_S8_S8_S8_S8_S8_S8_EEEEZZNS1_27merge_sort_block_merge_implIS3_NS6_6detail15normal_iteratorINS6_10device_ptrIjEEEENSD_INSE_IS9_EEEEjNS1_19radix_merge_compareILb0ELb1EjNS0_19identity_decomposerEEEEE10hipError_tT0_T1_T2_jT3_P12ihipStream_tbPNSt15iterator_traitsISN_E10value_typeEPNST_ISO_E10value_typeEPSP_NS1_7vsmem_tEENKUlT_SN_SO_SP_E_clIPjSG_PS9_SI_EESM_S12_SN_SO_SP_EUlS12_E_NS1_11comp_targetILNS1_3genE5ELNS1_11target_archE942ELNS1_3gpuE9ELNS1_3repE0EEENS1_48merge_mergepath_partition_config_static_selectorELNS0_4arch9wavefront6targetE0EEEvSO_ ; -- Begin function _ZN7rocprim17ROCPRIM_400000_NS6detail17trampoline_kernelINS0_14default_configENS1_38merge_sort_block_merge_config_selectorIjN6thrust23THRUST_200600_302600_NS5tupleIffNS6_9null_typeES8_S8_S8_S8_S8_S8_S8_EEEEZZNS1_27merge_sort_block_merge_implIS3_NS6_6detail15normal_iteratorINS6_10device_ptrIjEEEENSD_INSE_IS9_EEEEjNS1_19radix_merge_compareILb0ELb1EjNS0_19identity_decomposerEEEEE10hipError_tT0_T1_T2_jT3_P12ihipStream_tbPNSt15iterator_traitsISN_E10value_typeEPNST_ISO_E10value_typeEPSP_NS1_7vsmem_tEENKUlT_SN_SO_SP_E_clIPjSG_PS9_SI_EESM_S12_SN_SO_SP_EUlS12_E_NS1_11comp_targetILNS1_3genE5ELNS1_11target_archE942ELNS1_3gpuE9ELNS1_3repE0EEENS1_48merge_mergepath_partition_config_static_selectorELNS0_4arch9wavefront6targetE0EEEvSO_
	.globl	_ZN7rocprim17ROCPRIM_400000_NS6detail17trampoline_kernelINS0_14default_configENS1_38merge_sort_block_merge_config_selectorIjN6thrust23THRUST_200600_302600_NS5tupleIffNS6_9null_typeES8_S8_S8_S8_S8_S8_S8_EEEEZZNS1_27merge_sort_block_merge_implIS3_NS6_6detail15normal_iteratorINS6_10device_ptrIjEEEENSD_INSE_IS9_EEEEjNS1_19radix_merge_compareILb0ELb1EjNS0_19identity_decomposerEEEEE10hipError_tT0_T1_T2_jT3_P12ihipStream_tbPNSt15iterator_traitsISN_E10value_typeEPNST_ISO_E10value_typeEPSP_NS1_7vsmem_tEENKUlT_SN_SO_SP_E_clIPjSG_PS9_SI_EESM_S12_SN_SO_SP_EUlS12_E_NS1_11comp_targetILNS1_3genE5ELNS1_11target_archE942ELNS1_3gpuE9ELNS1_3repE0EEENS1_48merge_mergepath_partition_config_static_selectorELNS0_4arch9wavefront6targetE0EEEvSO_
	.p2align	8
	.type	_ZN7rocprim17ROCPRIM_400000_NS6detail17trampoline_kernelINS0_14default_configENS1_38merge_sort_block_merge_config_selectorIjN6thrust23THRUST_200600_302600_NS5tupleIffNS6_9null_typeES8_S8_S8_S8_S8_S8_S8_EEEEZZNS1_27merge_sort_block_merge_implIS3_NS6_6detail15normal_iteratorINS6_10device_ptrIjEEEENSD_INSE_IS9_EEEEjNS1_19radix_merge_compareILb0ELb1EjNS0_19identity_decomposerEEEEE10hipError_tT0_T1_T2_jT3_P12ihipStream_tbPNSt15iterator_traitsISN_E10value_typeEPNST_ISO_E10value_typeEPSP_NS1_7vsmem_tEENKUlT_SN_SO_SP_E_clIPjSG_PS9_SI_EESM_S12_SN_SO_SP_EUlS12_E_NS1_11comp_targetILNS1_3genE5ELNS1_11target_archE942ELNS1_3gpuE9ELNS1_3repE0EEENS1_48merge_mergepath_partition_config_static_selectorELNS0_4arch9wavefront6targetE0EEEvSO_,@function
_ZN7rocprim17ROCPRIM_400000_NS6detail17trampoline_kernelINS0_14default_configENS1_38merge_sort_block_merge_config_selectorIjN6thrust23THRUST_200600_302600_NS5tupleIffNS6_9null_typeES8_S8_S8_S8_S8_S8_S8_EEEEZZNS1_27merge_sort_block_merge_implIS3_NS6_6detail15normal_iteratorINS6_10device_ptrIjEEEENSD_INSE_IS9_EEEEjNS1_19radix_merge_compareILb0ELb1EjNS0_19identity_decomposerEEEEE10hipError_tT0_T1_T2_jT3_P12ihipStream_tbPNSt15iterator_traitsISN_E10value_typeEPNST_ISO_E10value_typeEPSP_NS1_7vsmem_tEENKUlT_SN_SO_SP_E_clIPjSG_PS9_SI_EESM_S12_SN_SO_SP_EUlS12_E_NS1_11comp_targetILNS1_3genE5ELNS1_11target_archE942ELNS1_3gpuE9ELNS1_3repE0EEENS1_48merge_mergepath_partition_config_static_selectorELNS0_4arch9wavefront6targetE0EEEvSO_: ; @_ZN7rocprim17ROCPRIM_400000_NS6detail17trampoline_kernelINS0_14default_configENS1_38merge_sort_block_merge_config_selectorIjN6thrust23THRUST_200600_302600_NS5tupleIffNS6_9null_typeES8_S8_S8_S8_S8_S8_S8_EEEEZZNS1_27merge_sort_block_merge_implIS3_NS6_6detail15normal_iteratorINS6_10device_ptrIjEEEENSD_INSE_IS9_EEEEjNS1_19radix_merge_compareILb0ELb1EjNS0_19identity_decomposerEEEEE10hipError_tT0_T1_T2_jT3_P12ihipStream_tbPNSt15iterator_traitsISN_E10value_typeEPNST_ISO_E10value_typeEPSP_NS1_7vsmem_tEENKUlT_SN_SO_SP_E_clIPjSG_PS9_SI_EESM_S12_SN_SO_SP_EUlS12_E_NS1_11comp_targetILNS1_3genE5ELNS1_11target_archE942ELNS1_3gpuE9ELNS1_3repE0EEENS1_48merge_mergepath_partition_config_static_selectorELNS0_4arch9wavefront6targetE0EEEvSO_
; %bb.0:
	.section	.rodata,"a",@progbits
	.p2align	6, 0x0
	.amdhsa_kernel _ZN7rocprim17ROCPRIM_400000_NS6detail17trampoline_kernelINS0_14default_configENS1_38merge_sort_block_merge_config_selectorIjN6thrust23THRUST_200600_302600_NS5tupleIffNS6_9null_typeES8_S8_S8_S8_S8_S8_S8_EEEEZZNS1_27merge_sort_block_merge_implIS3_NS6_6detail15normal_iteratorINS6_10device_ptrIjEEEENSD_INSE_IS9_EEEEjNS1_19radix_merge_compareILb0ELb1EjNS0_19identity_decomposerEEEEE10hipError_tT0_T1_T2_jT3_P12ihipStream_tbPNSt15iterator_traitsISN_E10value_typeEPNST_ISO_E10value_typeEPSP_NS1_7vsmem_tEENKUlT_SN_SO_SP_E_clIPjSG_PS9_SI_EESM_S12_SN_SO_SP_EUlS12_E_NS1_11comp_targetILNS1_3genE5ELNS1_11target_archE942ELNS1_3gpuE9ELNS1_3repE0EEENS1_48merge_mergepath_partition_config_static_selectorELNS0_4arch9wavefront6targetE0EEEvSO_
		.amdhsa_group_segment_fixed_size 0
		.amdhsa_private_segment_fixed_size 0
		.amdhsa_kernarg_size 40
		.amdhsa_user_sgpr_count 2
		.amdhsa_user_sgpr_dispatch_ptr 0
		.amdhsa_user_sgpr_queue_ptr 0
		.amdhsa_user_sgpr_kernarg_segment_ptr 1
		.amdhsa_user_sgpr_dispatch_id 0
		.amdhsa_user_sgpr_kernarg_preload_length 0
		.amdhsa_user_sgpr_kernarg_preload_offset 0
		.amdhsa_user_sgpr_private_segment_size 0
		.amdhsa_wavefront_size32 1
		.amdhsa_uses_dynamic_stack 0
		.amdhsa_enable_private_segment 0
		.amdhsa_system_sgpr_workgroup_id_x 1
		.amdhsa_system_sgpr_workgroup_id_y 0
		.amdhsa_system_sgpr_workgroup_id_z 0
		.amdhsa_system_sgpr_workgroup_info 0
		.amdhsa_system_vgpr_workitem_id 0
		.amdhsa_next_free_vgpr 1
		.amdhsa_next_free_sgpr 1
		.amdhsa_named_barrier_count 0
		.amdhsa_reserve_vcc 0
		.amdhsa_float_round_mode_32 0
		.amdhsa_float_round_mode_16_64 0
		.amdhsa_float_denorm_mode_32 3
		.amdhsa_float_denorm_mode_16_64 3
		.amdhsa_fp16_overflow 0
		.amdhsa_memory_ordered 1
		.amdhsa_forward_progress 1
		.amdhsa_inst_pref_size 0
		.amdhsa_round_robin_scheduling 0
		.amdhsa_exception_fp_ieee_invalid_op 0
		.amdhsa_exception_fp_denorm_src 0
		.amdhsa_exception_fp_ieee_div_zero 0
		.amdhsa_exception_fp_ieee_overflow 0
		.amdhsa_exception_fp_ieee_underflow 0
		.amdhsa_exception_fp_ieee_inexact 0
		.amdhsa_exception_int_div_zero 0
	.end_amdhsa_kernel
	.section	.text._ZN7rocprim17ROCPRIM_400000_NS6detail17trampoline_kernelINS0_14default_configENS1_38merge_sort_block_merge_config_selectorIjN6thrust23THRUST_200600_302600_NS5tupleIffNS6_9null_typeES8_S8_S8_S8_S8_S8_S8_EEEEZZNS1_27merge_sort_block_merge_implIS3_NS6_6detail15normal_iteratorINS6_10device_ptrIjEEEENSD_INSE_IS9_EEEEjNS1_19radix_merge_compareILb0ELb1EjNS0_19identity_decomposerEEEEE10hipError_tT0_T1_T2_jT3_P12ihipStream_tbPNSt15iterator_traitsISN_E10value_typeEPNST_ISO_E10value_typeEPSP_NS1_7vsmem_tEENKUlT_SN_SO_SP_E_clIPjSG_PS9_SI_EESM_S12_SN_SO_SP_EUlS12_E_NS1_11comp_targetILNS1_3genE5ELNS1_11target_archE942ELNS1_3gpuE9ELNS1_3repE0EEENS1_48merge_mergepath_partition_config_static_selectorELNS0_4arch9wavefront6targetE0EEEvSO_,"axG",@progbits,_ZN7rocprim17ROCPRIM_400000_NS6detail17trampoline_kernelINS0_14default_configENS1_38merge_sort_block_merge_config_selectorIjN6thrust23THRUST_200600_302600_NS5tupleIffNS6_9null_typeES8_S8_S8_S8_S8_S8_S8_EEEEZZNS1_27merge_sort_block_merge_implIS3_NS6_6detail15normal_iteratorINS6_10device_ptrIjEEEENSD_INSE_IS9_EEEEjNS1_19radix_merge_compareILb0ELb1EjNS0_19identity_decomposerEEEEE10hipError_tT0_T1_T2_jT3_P12ihipStream_tbPNSt15iterator_traitsISN_E10value_typeEPNST_ISO_E10value_typeEPSP_NS1_7vsmem_tEENKUlT_SN_SO_SP_E_clIPjSG_PS9_SI_EESM_S12_SN_SO_SP_EUlS12_E_NS1_11comp_targetILNS1_3genE5ELNS1_11target_archE942ELNS1_3gpuE9ELNS1_3repE0EEENS1_48merge_mergepath_partition_config_static_selectorELNS0_4arch9wavefront6targetE0EEEvSO_,comdat
.Lfunc_end93:
	.size	_ZN7rocprim17ROCPRIM_400000_NS6detail17trampoline_kernelINS0_14default_configENS1_38merge_sort_block_merge_config_selectorIjN6thrust23THRUST_200600_302600_NS5tupleIffNS6_9null_typeES8_S8_S8_S8_S8_S8_S8_EEEEZZNS1_27merge_sort_block_merge_implIS3_NS6_6detail15normal_iteratorINS6_10device_ptrIjEEEENSD_INSE_IS9_EEEEjNS1_19radix_merge_compareILb0ELb1EjNS0_19identity_decomposerEEEEE10hipError_tT0_T1_T2_jT3_P12ihipStream_tbPNSt15iterator_traitsISN_E10value_typeEPNST_ISO_E10value_typeEPSP_NS1_7vsmem_tEENKUlT_SN_SO_SP_E_clIPjSG_PS9_SI_EESM_S12_SN_SO_SP_EUlS12_E_NS1_11comp_targetILNS1_3genE5ELNS1_11target_archE942ELNS1_3gpuE9ELNS1_3repE0EEENS1_48merge_mergepath_partition_config_static_selectorELNS0_4arch9wavefront6targetE0EEEvSO_, .Lfunc_end93-_ZN7rocprim17ROCPRIM_400000_NS6detail17trampoline_kernelINS0_14default_configENS1_38merge_sort_block_merge_config_selectorIjN6thrust23THRUST_200600_302600_NS5tupleIffNS6_9null_typeES8_S8_S8_S8_S8_S8_S8_EEEEZZNS1_27merge_sort_block_merge_implIS3_NS6_6detail15normal_iteratorINS6_10device_ptrIjEEEENSD_INSE_IS9_EEEEjNS1_19radix_merge_compareILb0ELb1EjNS0_19identity_decomposerEEEEE10hipError_tT0_T1_T2_jT3_P12ihipStream_tbPNSt15iterator_traitsISN_E10value_typeEPNST_ISO_E10value_typeEPSP_NS1_7vsmem_tEENKUlT_SN_SO_SP_E_clIPjSG_PS9_SI_EESM_S12_SN_SO_SP_EUlS12_E_NS1_11comp_targetILNS1_3genE5ELNS1_11target_archE942ELNS1_3gpuE9ELNS1_3repE0EEENS1_48merge_mergepath_partition_config_static_selectorELNS0_4arch9wavefront6targetE0EEEvSO_
                                        ; -- End function
	.set _ZN7rocprim17ROCPRIM_400000_NS6detail17trampoline_kernelINS0_14default_configENS1_38merge_sort_block_merge_config_selectorIjN6thrust23THRUST_200600_302600_NS5tupleIffNS6_9null_typeES8_S8_S8_S8_S8_S8_S8_EEEEZZNS1_27merge_sort_block_merge_implIS3_NS6_6detail15normal_iteratorINS6_10device_ptrIjEEEENSD_INSE_IS9_EEEEjNS1_19radix_merge_compareILb0ELb1EjNS0_19identity_decomposerEEEEE10hipError_tT0_T1_T2_jT3_P12ihipStream_tbPNSt15iterator_traitsISN_E10value_typeEPNST_ISO_E10value_typeEPSP_NS1_7vsmem_tEENKUlT_SN_SO_SP_E_clIPjSG_PS9_SI_EESM_S12_SN_SO_SP_EUlS12_E_NS1_11comp_targetILNS1_3genE5ELNS1_11target_archE942ELNS1_3gpuE9ELNS1_3repE0EEENS1_48merge_mergepath_partition_config_static_selectorELNS0_4arch9wavefront6targetE0EEEvSO_.num_vgpr, 0
	.set _ZN7rocprim17ROCPRIM_400000_NS6detail17trampoline_kernelINS0_14default_configENS1_38merge_sort_block_merge_config_selectorIjN6thrust23THRUST_200600_302600_NS5tupleIffNS6_9null_typeES8_S8_S8_S8_S8_S8_S8_EEEEZZNS1_27merge_sort_block_merge_implIS3_NS6_6detail15normal_iteratorINS6_10device_ptrIjEEEENSD_INSE_IS9_EEEEjNS1_19radix_merge_compareILb0ELb1EjNS0_19identity_decomposerEEEEE10hipError_tT0_T1_T2_jT3_P12ihipStream_tbPNSt15iterator_traitsISN_E10value_typeEPNST_ISO_E10value_typeEPSP_NS1_7vsmem_tEENKUlT_SN_SO_SP_E_clIPjSG_PS9_SI_EESM_S12_SN_SO_SP_EUlS12_E_NS1_11comp_targetILNS1_3genE5ELNS1_11target_archE942ELNS1_3gpuE9ELNS1_3repE0EEENS1_48merge_mergepath_partition_config_static_selectorELNS0_4arch9wavefront6targetE0EEEvSO_.num_agpr, 0
	.set _ZN7rocprim17ROCPRIM_400000_NS6detail17trampoline_kernelINS0_14default_configENS1_38merge_sort_block_merge_config_selectorIjN6thrust23THRUST_200600_302600_NS5tupleIffNS6_9null_typeES8_S8_S8_S8_S8_S8_S8_EEEEZZNS1_27merge_sort_block_merge_implIS3_NS6_6detail15normal_iteratorINS6_10device_ptrIjEEEENSD_INSE_IS9_EEEEjNS1_19radix_merge_compareILb0ELb1EjNS0_19identity_decomposerEEEEE10hipError_tT0_T1_T2_jT3_P12ihipStream_tbPNSt15iterator_traitsISN_E10value_typeEPNST_ISO_E10value_typeEPSP_NS1_7vsmem_tEENKUlT_SN_SO_SP_E_clIPjSG_PS9_SI_EESM_S12_SN_SO_SP_EUlS12_E_NS1_11comp_targetILNS1_3genE5ELNS1_11target_archE942ELNS1_3gpuE9ELNS1_3repE0EEENS1_48merge_mergepath_partition_config_static_selectorELNS0_4arch9wavefront6targetE0EEEvSO_.numbered_sgpr, 0
	.set _ZN7rocprim17ROCPRIM_400000_NS6detail17trampoline_kernelINS0_14default_configENS1_38merge_sort_block_merge_config_selectorIjN6thrust23THRUST_200600_302600_NS5tupleIffNS6_9null_typeES8_S8_S8_S8_S8_S8_S8_EEEEZZNS1_27merge_sort_block_merge_implIS3_NS6_6detail15normal_iteratorINS6_10device_ptrIjEEEENSD_INSE_IS9_EEEEjNS1_19radix_merge_compareILb0ELb1EjNS0_19identity_decomposerEEEEE10hipError_tT0_T1_T2_jT3_P12ihipStream_tbPNSt15iterator_traitsISN_E10value_typeEPNST_ISO_E10value_typeEPSP_NS1_7vsmem_tEENKUlT_SN_SO_SP_E_clIPjSG_PS9_SI_EESM_S12_SN_SO_SP_EUlS12_E_NS1_11comp_targetILNS1_3genE5ELNS1_11target_archE942ELNS1_3gpuE9ELNS1_3repE0EEENS1_48merge_mergepath_partition_config_static_selectorELNS0_4arch9wavefront6targetE0EEEvSO_.num_named_barrier, 0
	.set _ZN7rocprim17ROCPRIM_400000_NS6detail17trampoline_kernelINS0_14default_configENS1_38merge_sort_block_merge_config_selectorIjN6thrust23THRUST_200600_302600_NS5tupleIffNS6_9null_typeES8_S8_S8_S8_S8_S8_S8_EEEEZZNS1_27merge_sort_block_merge_implIS3_NS6_6detail15normal_iteratorINS6_10device_ptrIjEEEENSD_INSE_IS9_EEEEjNS1_19radix_merge_compareILb0ELb1EjNS0_19identity_decomposerEEEEE10hipError_tT0_T1_T2_jT3_P12ihipStream_tbPNSt15iterator_traitsISN_E10value_typeEPNST_ISO_E10value_typeEPSP_NS1_7vsmem_tEENKUlT_SN_SO_SP_E_clIPjSG_PS9_SI_EESM_S12_SN_SO_SP_EUlS12_E_NS1_11comp_targetILNS1_3genE5ELNS1_11target_archE942ELNS1_3gpuE9ELNS1_3repE0EEENS1_48merge_mergepath_partition_config_static_selectorELNS0_4arch9wavefront6targetE0EEEvSO_.private_seg_size, 0
	.set _ZN7rocprim17ROCPRIM_400000_NS6detail17trampoline_kernelINS0_14default_configENS1_38merge_sort_block_merge_config_selectorIjN6thrust23THRUST_200600_302600_NS5tupleIffNS6_9null_typeES8_S8_S8_S8_S8_S8_S8_EEEEZZNS1_27merge_sort_block_merge_implIS3_NS6_6detail15normal_iteratorINS6_10device_ptrIjEEEENSD_INSE_IS9_EEEEjNS1_19radix_merge_compareILb0ELb1EjNS0_19identity_decomposerEEEEE10hipError_tT0_T1_T2_jT3_P12ihipStream_tbPNSt15iterator_traitsISN_E10value_typeEPNST_ISO_E10value_typeEPSP_NS1_7vsmem_tEENKUlT_SN_SO_SP_E_clIPjSG_PS9_SI_EESM_S12_SN_SO_SP_EUlS12_E_NS1_11comp_targetILNS1_3genE5ELNS1_11target_archE942ELNS1_3gpuE9ELNS1_3repE0EEENS1_48merge_mergepath_partition_config_static_selectorELNS0_4arch9wavefront6targetE0EEEvSO_.uses_vcc, 0
	.set _ZN7rocprim17ROCPRIM_400000_NS6detail17trampoline_kernelINS0_14default_configENS1_38merge_sort_block_merge_config_selectorIjN6thrust23THRUST_200600_302600_NS5tupleIffNS6_9null_typeES8_S8_S8_S8_S8_S8_S8_EEEEZZNS1_27merge_sort_block_merge_implIS3_NS6_6detail15normal_iteratorINS6_10device_ptrIjEEEENSD_INSE_IS9_EEEEjNS1_19radix_merge_compareILb0ELb1EjNS0_19identity_decomposerEEEEE10hipError_tT0_T1_T2_jT3_P12ihipStream_tbPNSt15iterator_traitsISN_E10value_typeEPNST_ISO_E10value_typeEPSP_NS1_7vsmem_tEENKUlT_SN_SO_SP_E_clIPjSG_PS9_SI_EESM_S12_SN_SO_SP_EUlS12_E_NS1_11comp_targetILNS1_3genE5ELNS1_11target_archE942ELNS1_3gpuE9ELNS1_3repE0EEENS1_48merge_mergepath_partition_config_static_selectorELNS0_4arch9wavefront6targetE0EEEvSO_.uses_flat_scratch, 0
	.set _ZN7rocprim17ROCPRIM_400000_NS6detail17trampoline_kernelINS0_14default_configENS1_38merge_sort_block_merge_config_selectorIjN6thrust23THRUST_200600_302600_NS5tupleIffNS6_9null_typeES8_S8_S8_S8_S8_S8_S8_EEEEZZNS1_27merge_sort_block_merge_implIS3_NS6_6detail15normal_iteratorINS6_10device_ptrIjEEEENSD_INSE_IS9_EEEEjNS1_19radix_merge_compareILb0ELb1EjNS0_19identity_decomposerEEEEE10hipError_tT0_T1_T2_jT3_P12ihipStream_tbPNSt15iterator_traitsISN_E10value_typeEPNST_ISO_E10value_typeEPSP_NS1_7vsmem_tEENKUlT_SN_SO_SP_E_clIPjSG_PS9_SI_EESM_S12_SN_SO_SP_EUlS12_E_NS1_11comp_targetILNS1_3genE5ELNS1_11target_archE942ELNS1_3gpuE9ELNS1_3repE0EEENS1_48merge_mergepath_partition_config_static_selectorELNS0_4arch9wavefront6targetE0EEEvSO_.has_dyn_sized_stack, 0
	.set _ZN7rocprim17ROCPRIM_400000_NS6detail17trampoline_kernelINS0_14default_configENS1_38merge_sort_block_merge_config_selectorIjN6thrust23THRUST_200600_302600_NS5tupleIffNS6_9null_typeES8_S8_S8_S8_S8_S8_S8_EEEEZZNS1_27merge_sort_block_merge_implIS3_NS6_6detail15normal_iteratorINS6_10device_ptrIjEEEENSD_INSE_IS9_EEEEjNS1_19radix_merge_compareILb0ELb1EjNS0_19identity_decomposerEEEEE10hipError_tT0_T1_T2_jT3_P12ihipStream_tbPNSt15iterator_traitsISN_E10value_typeEPNST_ISO_E10value_typeEPSP_NS1_7vsmem_tEENKUlT_SN_SO_SP_E_clIPjSG_PS9_SI_EESM_S12_SN_SO_SP_EUlS12_E_NS1_11comp_targetILNS1_3genE5ELNS1_11target_archE942ELNS1_3gpuE9ELNS1_3repE0EEENS1_48merge_mergepath_partition_config_static_selectorELNS0_4arch9wavefront6targetE0EEEvSO_.has_recursion, 0
	.set _ZN7rocprim17ROCPRIM_400000_NS6detail17trampoline_kernelINS0_14default_configENS1_38merge_sort_block_merge_config_selectorIjN6thrust23THRUST_200600_302600_NS5tupleIffNS6_9null_typeES8_S8_S8_S8_S8_S8_S8_EEEEZZNS1_27merge_sort_block_merge_implIS3_NS6_6detail15normal_iteratorINS6_10device_ptrIjEEEENSD_INSE_IS9_EEEEjNS1_19radix_merge_compareILb0ELb1EjNS0_19identity_decomposerEEEEE10hipError_tT0_T1_T2_jT3_P12ihipStream_tbPNSt15iterator_traitsISN_E10value_typeEPNST_ISO_E10value_typeEPSP_NS1_7vsmem_tEENKUlT_SN_SO_SP_E_clIPjSG_PS9_SI_EESM_S12_SN_SO_SP_EUlS12_E_NS1_11comp_targetILNS1_3genE5ELNS1_11target_archE942ELNS1_3gpuE9ELNS1_3repE0EEENS1_48merge_mergepath_partition_config_static_selectorELNS0_4arch9wavefront6targetE0EEEvSO_.has_indirect_call, 0
	.section	.AMDGPU.csdata,"",@progbits
; Kernel info:
; codeLenInByte = 0
; TotalNumSgprs: 0
; NumVgprs: 0
; ScratchSize: 0
; MemoryBound: 0
; FloatMode: 240
; IeeeMode: 1
; LDSByteSize: 0 bytes/workgroup (compile time only)
; SGPRBlocks: 0
; VGPRBlocks: 0
; NumSGPRsForWavesPerEU: 1
; NumVGPRsForWavesPerEU: 1
; NamedBarCnt: 0
; Occupancy: 16
; WaveLimiterHint : 0
; COMPUTE_PGM_RSRC2:SCRATCH_EN: 0
; COMPUTE_PGM_RSRC2:USER_SGPR: 2
; COMPUTE_PGM_RSRC2:TRAP_HANDLER: 0
; COMPUTE_PGM_RSRC2:TGID_X_EN: 1
; COMPUTE_PGM_RSRC2:TGID_Y_EN: 0
; COMPUTE_PGM_RSRC2:TGID_Z_EN: 0
; COMPUTE_PGM_RSRC2:TIDIG_COMP_CNT: 0
	.section	.text._ZN7rocprim17ROCPRIM_400000_NS6detail17trampoline_kernelINS0_14default_configENS1_38merge_sort_block_merge_config_selectorIjN6thrust23THRUST_200600_302600_NS5tupleIffNS6_9null_typeES8_S8_S8_S8_S8_S8_S8_EEEEZZNS1_27merge_sort_block_merge_implIS3_NS6_6detail15normal_iteratorINS6_10device_ptrIjEEEENSD_INSE_IS9_EEEEjNS1_19radix_merge_compareILb0ELb1EjNS0_19identity_decomposerEEEEE10hipError_tT0_T1_T2_jT3_P12ihipStream_tbPNSt15iterator_traitsISN_E10value_typeEPNST_ISO_E10value_typeEPSP_NS1_7vsmem_tEENKUlT_SN_SO_SP_E_clIPjSG_PS9_SI_EESM_S12_SN_SO_SP_EUlS12_E_NS1_11comp_targetILNS1_3genE4ELNS1_11target_archE910ELNS1_3gpuE8ELNS1_3repE0EEENS1_48merge_mergepath_partition_config_static_selectorELNS0_4arch9wavefront6targetE0EEEvSO_,"axG",@progbits,_ZN7rocprim17ROCPRIM_400000_NS6detail17trampoline_kernelINS0_14default_configENS1_38merge_sort_block_merge_config_selectorIjN6thrust23THRUST_200600_302600_NS5tupleIffNS6_9null_typeES8_S8_S8_S8_S8_S8_S8_EEEEZZNS1_27merge_sort_block_merge_implIS3_NS6_6detail15normal_iteratorINS6_10device_ptrIjEEEENSD_INSE_IS9_EEEEjNS1_19radix_merge_compareILb0ELb1EjNS0_19identity_decomposerEEEEE10hipError_tT0_T1_T2_jT3_P12ihipStream_tbPNSt15iterator_traitsISN_E10value_typeEPNST_ISO_E10value_typeEPSP_NS1_7vsmem_tEENKUlT_SN_SO_SP_E_clIPjSG_PS9_SI_EESM_S12_SN_SO_SP_EUlS12_E_NS1_11comp_targetILNS1_3genE4ELNS1_11target_archE910ELNS1_3gpuE8ELNS1_3repE0EEENS1_48merge_mergepath_partition_config_static_selectorELNS0_4arch9wavefront6targetE0EEEvSO_,comdat
	.protected	_ZN7rocprim17ROCPRIM_400000_NS6detail17trampoline_kernelINS0_14default_configENS1_38merge_sort_block_merge_config_selectorIjN6thrust23THRUST_200600_302600_NS5tupleIffNS6_9null_typeES8_S8_S8_S8_S8_S8_S8_EEEEZZNS1_27merge_sort_block_merge_implIS3_NS6_6detail15normal_iteratorINS6_10device_ptrIjEEEENSD_INSE_IS9_EEEEjNS1_19radix_merge_compareILb0ELb1EjNS0_19identity_decomposerEEEEE10hipError_tT0_T1_T2_jT3_P12ihipStream_tbPNSt15iterator_traitsISN_E10value_typeEPNST_ISO_E10value_typeEPSP_NS1_7vsmem_tEENKUlT_SN_SO_SP_E_clIPjSG_PS9_SI_EESM_S12_SN_SO_SP_EUlS12_E_NS1_11comp_targetILNS1_3genE4ELNS1_11target_archE910ELNS1_3gpuE8ELNS1_3repE0EEENS1_48merge_mergepath_partition_config_static_selectorELNS0_4arch9wavefront6targetE0EEEvSO_ ; -- Begin function _ZN7rocprim17ROCPRIM_400000_NS6detail17trampoline_kernelINS0_14default_configENS1_38merge_sort_block_merge_config_selectorIjN6thrust23THRUST_200600_302600_NS5tupleIffNS6_9null_typeES8_S8_S8_S8_S8_S8_S8_EEEEZZNS1_27merge_sort_block_merge_implIS3_NS6_6detail15normal_iteratorINS6_10device_ptrIjEEEENSD_INSE_IS9_EEEEjNS1_19radix_merge_compareILb0ELb1EjNS0_19identity_decomposerEEEEE10hipError_tT0_T1_T2_jT3_P12ihipStream_tbPNSt15iterator_traitsISN_E10value_typeEPNST_ISO_E10value_typeEPSP_NS1_7vsmem_tEENKUlT_SN_SO_SP_E_clIPjSG_PS9_SI_EESM_S12_SN_SO_SP_EUlS12_E_NS1_11comp_targetILNS1_3genE4ELNS1_11target_archE910ELNS1_3gpuE8ELNS1_3repE0EEENS1_48merge_mergepath_partition_config_static_selectorELNS0_4arch9wavefront6targetE0EEEvSO_
	.globl	_ZN7rocprim17ROCPRIM_400000_NS6detail17trampoline_kernelINS0_14default_configENS1_38merge_sort_block_merge_config_selectorIjN6thrust23THRUST_200600_302600_NS5tupleIffNS6_9null_typeES8_S8_S8_S8_S8_S8_S8_EEEEZZNS1_27merge_sort_block_merge_implIS3_NS6_6detail15normal_iteratorINS6_10device_ptrIjEEEENSD_INSE_IS9_EEEEjNS1_19radix_merge_compareILb0ELb1EjNS0_19identity_decomposerEEEEE10hipError_tT0_T1_T2_jT3_P12ihipStream_tbPNSt15iterator_traitsISN_E10value_typeEPNST_ISO_E10value_typeEPSP_NS1_7vsmem_tEENKUlT_SN_SO_SP_E_clIPjSG_PS9_SI_EESM_S12_SN_SO_SP_EUlS12_E_NS1_11comp_targetILNS1_3genE4ELNS1_11target_archE910ELNS1_3gpuE8ELNS1_3repE0EEENS1_48merge_mergepath_partition_config_static_selectorELNS0_4arch9wavefront6targetE0EEEvSO_
	.p2align	8
	.type	_ZN7rocprim17ROCPRIM_400000_NS6detail17trampoline_kernelINS0_14default_configENS1_38merge_sort_block_merge_config_selectorIjN6thrust23THRUST_200600_302600_NS5tupleIffNS6_9null_typeES8_S8_S8_S8_S8_S8_S8_EEEEZZNS1_27merge_sort_block_merge_implIS3_NS6_6detail15normal_iteratorINS6_10device_ptrIjEEEENSD_INSE_IS9_EEEEjNS1_19radix_merge_compareILb0ELb1EjNS0_19identity_decomposerEEEEE10hipError_tT0_T1_T2_jT3_P12ihipStream_tbPNSt15iterator_traitsISN_E10value_typeEPNST_ISO_E10value_typeEPSP_NS1_7vsmem_tEENKUlT_SN_SO_SP_E_clIPjSG_PS9_SI_EESM_S12_SN_SO_SP_EUlS12_E_NS1_11comp_targetILNS1_3genE4ELNS1_11target_archE910ELNS1_3gpuE8ELNS1_3repE0EEENS1_48merge_mergepath_partition_config_static_selectorELNS0_4arch9wavefront6targetE0EEEvSO_,@function
_ZN7rocprim17ROCPRIM_400000_NS6detail17trampoline_kernelINS0_14default_configENS1_38merge_sort_block_merge_config_selectorIjN6thrust23THRUST_200600_302600_NS5tupleIffNS6_9null_typeES8_S8_S8_S8_S8_S8_S8_EEEEZZNS1_27merge_sort_block_merge_implIS3_NS6_6detail15normal_iteratorINS6_10device_ptrIjEEEENSD_INSE_IS9_EEEEjNS1_19radix_merge_compareILb0ELb1EjNS0_19identity_decomposerEEEEE10hipError_tT0_T1_T2_jT3_P12ihipStream_tbPNSt15iterator_traitsISN_E10value_typeEPNST_ISO_E10value_typeEPSP_NS1_7vsmem_tEENKUlT_SN_SO_SP_E_clIPjSG_PS9_SI_EESM_S12_SN_SO_SP_EUlS12_E_NS1_11comp_targetILNS1_3genE4ELNS1_11target_archE910ELNS1_3gpuE8ELNS1_3repE0EEENS1_48merge_mergepath_partition_config_static_selectorELNS0_4arch9wavefront6targetE0EEEvSO_: ; @_ZN7rocprim17ROCPRIM_400000_NS6detail17trampoline_kernelINS0_14default_configENS1_38merge_sort_block_merge_config_selectorIjN6thrust23THRUST_200600_302600_NS5tupleIffNS6_9null_typeES8_S8_S8_S8_S8_S8_S8_EEEEZZNS1_27merge_sort_block_merge_implIS3_NS6_6detail15normal_iteratorINS6_10device_ptrIjEEEENSD_INSE_IS9_EEEEjNS1_19radix_merge_compareILb0ELb1EjNS0_19identity_decomposerEEEEE10hipError_tT0_T1_T2_jT3_P12ihipStream_tbPNSt15iterator_traitsISN_E10value_typeEPNST_ISO_E10value_typeEPSP_NS1_7vsmem_tEENKUlT_SN_SO_SP_E_clIPjSG_PS9_SI_EESM_S12_SN_SO_SP_EUlS12_E_NS1_11comp_targetILNS1_3genE4ELNS1_11target_archE910ELNS1_3gpuE8ELNS1_3repE0EEENS1_48merge_mergepath_partition_config_static_selectorELNS0_4arch9wavefront6targetE0EEEvSO_
; %bb.0:
	.section	.rodata,"a",@progbits
	.p2align	6, 0x0
	.amdhsa_kernel _ZN7rocprim17ROCPRIM_400000_NS6detail17trampoline_kernelINS0_14default_configENS1_38merge_sort_block_merge_config_selectorIjN6thrust23THRUST_200600_302600_NS5tupleIffNS6_9null_typeES8_S8_S8_S8_S8_S8_S8_EEEEZZNS1_27merge_sort_block_merge_implIS3_NS6_6detail15normal_iteratorINS6_10device_ptrIjEEEENSD_INSE_IS9_EEEEjNS1_19radix_merge_compareILb0ELb1EjNS0_19identity_decomposerEEEEE10hipError_tT0_T1_T2_jT3_P12ihipStream_tbPNSt15iterator_traitsISN_E10value_typeEPNST_ISO_E10value_typeEPSP_NS1_7vsmem_tEENKUlT_SN_SO_SP_E_clIPjSG_PS9_SI_EESM_S12_SN_SO_SP_EUlS12_E_NS1_11comp_targetILNS1_3genE4ELNS1_11target_archE910ELNS1_3gpuE8ELNS1_3repE0EEENS1_48merge_mergepath_partition_config_static_selectorELNS0_4arch9wavefront6targetE0EEEvSO_
		.amdhsa_group_segment_fixed_size 0
		.amdhsa_private_segment_fixed_size 0
		.amdhsa_kernarg_size 40
		.amdhsa_user_sgpr_count 2
		.amdhsa_user_sgpr_dispatch_ptr 0
		.amdhsa_user_sgpr_queue_ptr 0
		.amdhsa_user_sgpr_kernarg_segment_ptr 1
		.amdhsa_user_sgpr_dispatch_id 0
		.amdhsa_user_sgpr_kernarg_preload_length 0
		.amdhsa_user_sgpr_kernarg_preload_offset 0
		.amdhsa_user_sgpr_private_segment_size 0
		.amdhsa_wavefront_size32 1
		.amdhsa_uses_dynamic_stack 0
		.amdhsa_enable_private_segment 0
		.amdhsa_system_sgpr_workgroup_id_x 1
		.amdhsa_system_sgpr_workgroup_id_y 0
		.amdhsa_system_sgpr_workgroup_id_z 0
		.amdhsa_system_sgpr_workgroup_info 0
		.amdhsa_system_vgpr_workitem_id 0
		.amdhsa_next_free_vgpr 1
		.amdhsa_next_free_sgpr 1
		.amdhsa_named_barrier_count 0
		.amdhsa_reserve_vcc 0
		.amdhsa_float_round_mode_32 0
		.amdhsa_float_round_mode_16_64 0
		.amdhsa_float_denorm_mode_32 3
		.amdhsa_float_denorm_mode_16_64 3
		.amdhsa_fp16_overflow 0
		.amdhsa_memory_ordered 1
		.amdhsa_forward_progress 1
		.amdhsa_inst_pref_size 0
		.amdhsa_round_robin_scheduling 0
		.amdhsa_exception_fp_ieee_invalid_op 0
		.amdhsa_exception_fp_denorm_src 0
		.amdhsa_exception_fp_ieee_div_zero 0
		.amdhsa_exception_fp_ieee_overflow 0
		.amdhsa_exception_fp_ieee_underflow 0
		.amdhsa_exception_fp_ieee_inexact 0
		.amdhsa_exception_int_div_zero 0
	.end_amdhsa_kernel
	.section	.text._ZN7rocprim17ROCPRIM_400000_NS6detail17trampoline_kernelINS0_14default_configENS1_38merge_sort_block_merge_config_selectorIjN6thrust23THRUST_200600_302600_NS5tupleIffNS6_9null_typeES8_S8_S8_S8_S8_S8_S8_EEEEZZNS1_27merge_sort_block_merge_implIS3_NS6_6detail15normal_iteratorINS6_10device_ptrIjEEEENSD_INSE_IS9_EEEEjNS1_19radix_merge_compareILb0ELb1EjNS0_19identity_decomposerEEEEE10hipError_tT0_T1_T2_jT3_P12ihipStream_tbPNSt15iterator_traitsISN_E10value_typeEPNST_ISO_E10value_typeEPSP_NS1_7vsmem_tEENKUlT_SN_SO_SP_E_clIPjSG_PS9_SI_EESM_S12_SN_SO_SP_EUlS12_E_NS1_11comp_targetILNS1_3genE4ELNS1_11target_archE910ELNS1_3gpuE8ELNS1_3repE0EEENS1_48merge_mergepath_partition_config_static_selectorELNS0_4arch9wavefront6targetE0EEEvSO_,"axG",@progbits,_ZN7rocprim17ROCPRIM_400000_NS6detail17trampoline_kernelINS0_14default_configENS1_38merge_sort_block_merge_config_selectorIjN6thrust23THRUST_200600_302600_NS5tupleIffNS6_9null_typeES8_S8_S8_S8_S8_S8_S8_EEEEZZNS1_27merge_sort_block_merge_implIS3_NS6_6detail15normal_iteratorINS6_10device_ptrIjEEEENSD_INSE_IS9_EEEEjNS1_19radix_merge_compareILb0ELb1EjNS0_19identity_decomposerEEEEE10hipError_tT0_T1_T2_jT3_P12ihipStream_tbPNSt15iterator_traitsISN_E10value_typeEPNST_ISO_E10value_typeEPSP_NS1_7vsmem_tEENKUlT_SN_SO_SP_E_clIPjSG_PS9_SI_EESM_S12_SN_SO_SP_EUlS12_E_NS1_11comp_targetILNS1_3genE4ELNS1_11target_archE910ELNS1_3gpuE8ELNS1_3repE0EEENS1_48merge_mergepath_partition_config_static_selectorELNS0_4arch9wavefront6targetE0EEEvSO_,comdat
.Lfunc_end94:
	.size	_ZN7rocprim17ROCPRIM_400000_NS6detail17trampoline_kernelINS0_14default_configENS1_38merge_sort_block_merge_config_selectorIjN6thrust23THRUST_200600_302600_NS5tupleIffNS6_9null_typeES8_S8_S8_S8_S8_S8_S8_EEEEZZNS1_27merge_sort_block_merge_implIS3_NS6_6detail15normal_iteratorINS6_10device_ptrIjEEEENSD_INSE_IS9_EEEEjNS1_19radix_merge_compareILb0ELb1EjNS0_19identity_decomposerEEEEE10hipError_tT0_T1_T2_jT3_P12ihipStream_tbPNSt15iterator_traitsISN_E10value_typeEPNST_ISO_E10value_typeEPSP_NS1_7vsmem_tEENKUlT_SN_SO_SP_E_clIPjSG_PS9_SI_EESM_S12_SN_SO_SP_EUlS12_E_NS1_11comp_targetILNS1_3genE4ELNS1_11target_archE910ELNS1_3gpuE8ELNS1_3repE0EEENS1_48merge_mergepath_partition_config_static_selectorELNS0_4arch9wavefront6targetE0EEEvSO_, .Lfunc_end94-_ZN7rocprim17ROCPRIM_400000_NS6detail17trampoline_kernelINS0_14default_configENS1_38merge_sort_block_merge_config_selectorIjN6thrust23THRUST_200600_302600_NS5tupleIffNS6_9null_typeES8_S8_S8_S8_S8_S8_S8_EEEEZZNS1_27merge_sort_block_merge_implIS3_NS6_6detail15normal_iteratorINS6_10device_ptrIjEEEENSD_INSE_IS9_EEEEjNS1_19radix_merge_compareILb0ELb1EjNS0_19identity_decomposerEEEEE10hipError_tT0_T1_T2_jT3_P12ihipStream_tbPNSt15iterator_traitsISN_E10value_typeEPNST_ISO_E10value_typeEPSP_NS1_7vsmem_tEENKUlT_SN_SO_SP_E_clIPjSG_PS9_SI_EESM_S12_SN_SO_SP_EUlS12_E_NS1_11comp_targetILNS1_3genE4ELNS1_11target_archE910ELNS1_3gpuE8ELNS1_3repE0EEENS1_48merge_mergepath_partition_config_static_selectorELNS0_4arch9wavefront6targetE0EEEvSO_
                                        ; -- End function
	.set _ZN7rocprim17ROCPRIM_400000_NS6detail17trampoline_kernelINS0_14default_configENS1_38merge_sort_block_merge_config_selectorIjN6thrust23THRUST_200600_302600_NS5tupleIffNS6_9null_typeES8_S8_S8_S8_S8_S8_S8_EEEEZZNS1_27merge_sort_block_merge_implIS3_NS6_6detail15normal_iteratorINS6_10device_ptrIjEEEENSD_INSE_IS9_EEEEjNS1_19radix_merge_compareILb0ELb1EjNS0_19identity_decomposerEEEEE10hipError_tT0_T1_T2_jT3_P12ihipStream_tbPNSt15iterator_traitsISN_E10value_typeEPNST_ISO_E10value_typeEPSP_NS1_7vsmem_tEENKUlT_SN_SO_SP_E_clIPjSG_PS9_SI_EESM_S12_SN_SO_SP_EUlS12_E_NS1_11comp_targetILNS1_3genE4ELNS1_11target_archE910ELNS1_3gpuE8ELNS1_3repE0EEENS1_48merge_mergepath_partition_config_static_selectorELNS0_4arch9wavefront6targetE0EEEvSO_.num_vgpr, 0
	.set _ZN7rocprim17ROCPRIM_400000_NS6detail17trampoline_kernelINS0_14default_configENS1_38merge_sort_block_merge_config_selectorIjN6thrust23THRUST_200600_302600_NS5tupleIffNS6_9null_typeES8_S8_S8_S8_S8_S8_S8_EEEEZZNS1_27merge_sort_block_merge_implIS3_NS6_6detail15normal_iteratorINS6_10device_ptrIjEEEENSD_INSE_IS9_EEEEjNS1_19radix_merge_compareILb0ELb1EjNS0_19identity_decomposerEEEEE10hipError_tT0_T1_T2_jT3_P12ihipStream_tbPNSt15iterator_traitsISN_E10value_typeEPNST_ISO_E10value_typeEPSP_NS1_7vsmem_tEENKUlT_SN_SO_SP_E_clIPjSG_PS9_SI_EESM_S12_SN_SO_SP_EUlS12_E_NS1_11comp_targetILNS1_3genE4ELNS1_11target_archE910ELNS1_3gpuE8ELNS1_3repE0EEENS1_48merge_mergepath_partition_config_static_selectorELNS0_4arch9wavefront6targetE0EEEvSO_.num_agpr, 0
	.set _ZN7rocprim17ROCPRIM_400000_NS6detail17trampoline_kernelINS0_14default_configENS1_38merge_sort_block_merge_config_selectorIjN6thrust23THRUST_200600_302600_NS5tupleIffNS6_9null_typeES8_S8_S8_S8_S8_S8_S8_EEEEZZNS1_27merge_sort_block_merge_implIS3_NS6_6detail15normal_iteratorINS6_10device_ptrIjEEEENSD_INSE_IS9_EEEEjNS1_19radix_merge_compareILb0ELb1EjNS0_19identity_decomposerEEEEE10hipError_tT0_T1_T2_jT3_P12ihipStream_tbPNSt15iterator_traitsISN_E10value_typeEPNST_ISO_E10value_typeEPSP_NS1_7vsmem_tEENKUlT_SN_SO_SP_E_clIPjSG_PS9_SI_EESM_S12_SN_SO_SP_EUlS12_E_NS1_11comp_targetILNS1_3genE4ELNS1_11target_archE910ELNS1_3gpuE8ELNS1_3repE0EEENS1_48merge_mergepath_partition_config_static_selectorELNS0_4arch9wavefront6targetE0EEEvSO_.numbered_sgpr, 0
	.set _ZN7rocprim17ROCPRIM_400000_NS6detail17trampoline_kernelINS0_14default_configENS1_38merge_sort_block_merge_config_selectorIjN6thrust23THRUST_200600_302600_NS5tupleIffNS6_9null_typeES8_S8_S8_S8_S8_S8_S8_EEEEZZNS1_27merge_sort_block_merge_implIS3_NS6_6detail15normal_iteratorINS6_10device_ptrIjEEEENSD_INSE_IS9_EEEEjNS1_19radix_merge_compareILb0ELb1EjNS0_19identity_decomposerEEEEE10hipError_tT0_T1_T2_jT3_P12ihipStream_tbPNSt15iterator_traitsISN_E10value_typeEPNST_ISO_E10value_typeEPSP_NS1_7vsmem_tEENKUlT_SN_SO_SP_E_clIPjSG_PS9_SI_EESM_S12_SN_SO_SP_EUlS12_E_NS1_11comp_targetILNS1_3genE4ELNS1_11target_archE910ELNS1_3gpuE8ELNS1_3repE0EEENS1_48merge_mergepath_partition_config_static_selectorELNS0_4arch9wavefront6targetE0EEEvSO_.num_named_barrier, 0
	.set _ZN7rocprim17ROCPRIM_400000_NS6detail17trampoline_kernelINS0_14default_configENS1_38merge_sort_block_merge_config_selectorIjN6thrust23THRUST_200600_302600_NS5tupleIffNS6_9null_typeES8_S8_S8_S8_S8_S8_S8_EEEEZZNS1_27merge_sort_block_merge_implIS3_NS6_6detail15normal_iteratorINS6_10device_ptrIjEEEENSD_INSE_IS9_EEEEjNS1_19radix_merge_compareILb0ELb1EjNS0_19identity_decomposerEEEEE10hipError_tT0_T1_T2_jT3_P12ihipStream_tbPNSt15iterator_traitsISN_E10value_typeEPNST_ISO_E10value_typeEPSP_NS1_7vsmem_tEENKUlT_SN_SO_SP_E_clIPjSG_PS9_SI_EESM_S12_SN_SO_SP_EUlS12_E_NS1_11comp_targetILNS1_3genE4ELNS1_11target_archE910ELNS1_3gpuE8ELNS1_3repE0EEENS1_48merge_mergepath_partition_config_static_selectorELNS0_4arch9wavefront6targetE0EEEvSO_.private_seg_size, 0
	.set _ZN7rocprim17ROCPRIM_400000_NS6detail17trampoline_kernelINS0_14default_configENS1_38merge_sort_block_merge_config_selectorIjN6thrust23THRUST_200600_302600_NS5tupleIffNS6_9null_typeES8_S8_S8_S8_S8_S8_S8_EEEEZZNS1_27merge_sort_block_merge_implIS3_NS6_6detail15normal_iteratorINS6_10device_ptrIjEEEENSD_INSE_IS9_EEEEjNS1_19radix_merge_compareILb0ELb1EjNS0_19identity_decomposerEEEEE10hipError_tT0_T1_T2_jT3_P12ihipStream_tbPNSt15iterator_traitsISN_E10value_typeEPNST_ISO_E10value_typeEPSP_NS1_7vsmem_tEENKUlT_SN_SO_SP_E_clIPjSG_PS9_SI_EESM_S12_SN_SO_SP_EUlS12_E_NS1_11comp_targetILNS1_3genE4ELNS1_11target_archE910ELNS1_3gpuE8ELNS1_3repE0EEENS1_48merge_mergepath_partition_config_static_selectorELNS0_4arch9wavefront6targetE0EEEvSO_.uses_vcc, 0
	.set _ZN7rocprim17ROCPRIM_400000_NS6detail17trampoline_kernelINS0_14default_configENS1_38merge_sort_block_merge_config_selectorIjN6thrust23THRUST_200600_302600_NS5tupleIffNS6_9null_typeES8_S8_S8_S8_S8_S8_S8_EEEEZZNS1_27merge_sort_block_merge_implIS3_NS6_6detail15normal_iteratorINS6_10device_ptrIjEEEENSD_INSE_IS9_EEEEjNS1_19radix_merge_compareILb0ELb1EjNS0_19identity_decomposerEEEEE10hipError_tT0_T1_T2_jT3_P12ihipStream_tbPNSt15iterator_traitsISN_E10value_typeEPNST_ISO_E10value_typeEPSP_NS1_7vsmem_tEENKUlT_SN_SO_SP_E_clIPjSG_PS9_SI_EESM_S12_SN_SO_SP_EUlS12_E_NS1_11comp_targetILNS1_3genE4ELNS1_11target_archE910ELNS1_3gpuE8ELNS1_3repE0EEENS1_48merge_mergepath_partition_config_static_selectorELNS0_4arch9wavefront6targetE0EEEvSO_.uses_flat_scratch, 0
	.set _ZN7rocprim17ROCPRIM_400000_NS6detail17trampoline_kernelINS0_14default_configENS1_38merge_sort_block_merge_config_selectorIjN6thrust23THRUST_200600_302600_NS5tupleIffNS6_9null_typeES8_S8_S8_S8_S8_S8_S8_EEEEZZNS1_27merge_sort_block_merge_implIS3_NS6_6detail15normal_iteratorINS6_10device_ptrIjEEEENSD_INSE_IS9_EEEEjNS1_19radix_merge_compareILb0ELb1EjNS0_19identity_decomposerEEEEE10hipError_tT0_T1_T2_jT3_P12ihipStream_tbPNSt15iterator_traitsISN_E10value_typeEPNST_ISO_E10value_typeEPSP_NS1_7vsmem_tEENKUlT_SN_SO_SP_E_clIPjSG_PS9_SI_EESM_S12_SN_SO_SP_EUlS12_E_NS1_11comp_targetILNS1_3genE4ELNS1_11target_archE910ELNS1_3gpuE8ELNS1_3repE0EEENS1_48merge_mergepath_partition_config_static_selectorELNS0_4arch9wavefront6targetE0EEEvSO_.has_dyn_sized_stack, 0
	.set _ZN7rocprim17ROCPRIM_400000_NS6detail17trampoline_kernelINS0_14default_configENS1_38merge_sort_block_merge_config_selectorIjN6thrust23THRUST_200600_302600_NS5tupleIffNS6_9null_typeES8_S8_S8_S8_S8_S8_S8_EEEEZZNS1_27merge_sort_block_merge_implIS3_NS6_6detail15normal_iteratorINS6_10device_ptrIjEEEENSD_INSE_IS9_EEEEjNS1_19radix_merge_compareILb0ELb1EjNS0_19identity_decomposerEEEEE10hipError_tT0_T1_T2_jT3_P12ihipStream_tbPNSt15iterator_traitsISN_E10value_typeEPNST_ISO_E10value_typeEPSP_NS1_7vsmem_tEENKUlT_SN_SO_SP_E_clIPjSG_PS9_SI_EESM_S12_SN_SO_SP_EUlS12_E_NS1_11comp_targetILNS1_3genE4ELNS1_11target_archE910ELNS1_3gpuE8ELNS1_3repE0EEENS1_48merge_mergepath_partition_config_static_selectorELNS0_4arch9wavefront6targetE0EEEvSO_.has_recursion, 0
	.set _ZN7rocprim17ROCPRIM_400000_NS6detail17trampoline_kernelINS0_14default_configENS1_38merge_sort_block_merge_config_selectorIjN6thrust23THRUST_200600_302600_NS5tupleIffNS6_9null_typeES8_S8_S8_S8_S8_S8_S8_EEEEZZNS1_27merge_sort_block_merge_implIS3_NS6_6detail15normal_iteratorINS6_10device_ptrIjEEEENSD_INSE_IS9_EEEEjNS1_19radix_merge_compareILb0ELb1EjNS0_19identity_decomposerEEEEE10hipError_tT0_T1_T2_jT3_P12ihipStream_tbPNSt15iterator_traitsISN_E10value_typeEPNST_ISO_E10value_typeEPSP_NS1_7vsmem_tEENKUlT_SN_SO_SP_E_clIPjSG_PS9_SI_EESM_S12_SN_SO_SP_EUlS12_E_NS1_11comp_targetILNS1_3genE4ELNS1_11target_archE910ELNS1_3gpuE8ELNS1_3repE0EEENS1_48merge_mergepath_partition_config_static_selectorELNS0_4arch9wavefront6targetE0EEEvSO_.has_indirect_call, 0
	.section	.AMDGPU.csdata,"",@progbits
; Kernel info:
; codeLenInByte = 0
; TotalNumSgprs: 0
; NumVgprs: 0
; ScratchSize: 0
; MemoryBound: 0
; FloatMode: 240
; IeeeMode: 1
; LDSByteSize: 0 bytes/workgroup (compile time only)
; SGPRBlocks: 0
; VGPRBlocks: 0
; NumSGPRsForWavesPerEU: 1
; NumVGPRsForWavesPerEU: 1
; NamedBarCnt: 0
; Occupancy: 16
; WaveLimiterHint : 0
; COMPUTE_PGM_RSRC2:SCRATCH_EN: 0
; COMPUTE_PGM_RSRC2:USER_SGPR: 2
; COMPUTE_PGM_RSRC2:TRAP_HANDLER: 0
; COMPUTE_PGM_RSRC2:TGID_X_EN: 1
; COMPUTE_PGM_RSRC2:TGID_Y_EN: 0
; COMPUTE_PGM_RSRC2:TGID_Z_EN: 0
; COMPUTE_PGM_RSRC2:TIDIG_COMP_CNT: 0
	.section	.text._ZN7rocprim17ROCPRIM_400000_NS6detail17trampoline_kernelINS0_14default_configENS1_38merge_sort_block_merge_config_selectorIjN6thrust23THRUST_200600_302600_NS5tupleIffNS6_9null_typeES8_S8_S8_S8_S8_S8_S8_EEEEZZNS1_27merge_sort_block_merge_implIS3_NS6_6detail15normal_iteratorINS6_10device_ptrIjEEEENSD_INSE_IS9_EEEEjNS1_19radix_merge_compareILb0ELb1EjNS0_19identity_decomposerEEEEE10hipError_tT0_T1_T2_jT3_P12ihipStream_tbPNSt15iterator_traitsISN_E10value_typeEPNST_ISO_E10value_typeEPSP_NS1_7vsmem_tEENKUlT_SN_SO_SP_E_clIPjSG_PS9_SI_EESM_S12_SN_SO_SP_EUlS12_E_NS1_11comp_targetILNS1_3genE3ELNS1_11target_archE908ELNS1_3gpuE7ELNS1_3repE0EEENS1_48merge_mergepath_partition_config_static_selectorELNS0_4arch9wavefront6targetE0EEEvSO_,"axG",@progbits,_ZN7rocprim17ROCPRIM_400000_NS6detail17trampoline_kernelINS0_14default_configENS1_38merge_sort_block_merge_config_selectorIjN6thrust23THRUST_200600_302600_NS5tupleIffNS6_9null_typeES8_S8_S8_S8_S8_S8_S8_EEEEZZNS1_27merge_sort_block_merge_implIS3_NS6_6detail15normal_iteratorINS6_10device_ptrIjEEEENSD_INSE_IS9_EEEEjNS1_19radix_merge_compareILb0ELb1EjNS0_19identity_decomposerEEEEE10hipError_tT0_T1_T2_jT3_P12ihipStream_tbPNSt15iterator_traitsISN_E10value_typeEPNST_ISO_E10value_typeEPSP_NS1_7vsmem_tEENKUlT_SN_SO_SP_E_clIPjSG_PS9_SI_EESM_S12_SN_SO_SP_EUlS12_E_NS1_11comp_targetILNS1_3genE3ELNS1_11target_archE908ELNS1_3gpuE7ELNS1_3repE0EEENS1_48merge_mergepath_partition_config_static_selectorELNS0_4arch9wavefront6targetE0EEEvSO_,comdat
	.protected	_ZN7rocprim17ROCPRIM_400000_NS6detail17trampoline_kernelINS0_14default_configENS1_38merge_sort_block_merge_config_selectorIjN6thrust23THRUST_200600_302600_NS5tupleIffNS6_9null_typeES8_S8_S8_S8_S8_S8_S8_EEEEZZNS1_27merge_sort_block_merge_implIS3_NS6_6detail15normal_iteratorINS6_10device_ptrIjEEEENSD_INSE_IS9_EEEEjNS1_19radix_merge_compareILb0ELb1EjNS0_19identity_decomposerEEEEE10hipError_tT0_T1_T2_jT3_P12ihipStream_tbPNSt15iterator_traitsISN_E10value_typeEPNST_ISO_E10value_typeEPSP_NS1_7vsmem_tEENKUlT_SN_SO_SP_E_clIPjSG_PS9_SI_EESM_S12_SN_SO_SP_EUlS12_E_NS1_11comp_targetILNS1_3genE3ELNS1_11target_archE908ELNS1_3gpuE7ELNS1_3repE0EEENS1_48merge_mergepath_partition_config_static_selectorELNS0_4arch9wavefront6targetE0EEEvSO_ ; -- Begin function _ZN7rocprim17ROCPRIM_400000_NS6detail17trampoline_kernelINS0_14default_configENS1_38merge_sort_block_merge_config_selectorIjN6thrust23THRUST_200600_302600_NS5tupleIffNS6_9null_typeES8_S8_S8_S8_S8_S8_S8_EEEEZZNS1_27merge_sort_block_merge_implIS3_NS6_6detail15normal_iteratorINS6_10device_ptrIjEEEENSD_INSE_IS9_EEEEjNS1_19radix_merge_compareILb0ELb1EjNS0_19identity_decomposerEEEEE10hipError_tT0_T1_T2_jT3_P12ihipStream_tbPNSt15iterator_traitsISN_E10value_typeEPNST_ISO_E10value_typeEPSP_NS1_7vsmem_tEENKUlT_SN_SO_SP_E_clIPjSG_PS9_SI_EESM_S12_SN_SO_SP_EUlS12_E_NS1_11comp_targetILNS1_3genE3ELNS1_11target_archE908ELNS1_3gpuE7ELNS1_3repE0EEENS1_48merge_mergepath_partition_config_static_selectorELNS0_4arch9wavefront6targetE0EEEvSO_
	.globl	_ZN7rocprim17ROCPRIM_400000_NS6detail17trampoline_kernelINS0_14default_configENS1_38merge_sort_block_merge_config_selectorIjN6thrust23THRUST_200600_302600_NS5tupleIffNS6_9null_typeES8_S8_S8_S8_S8_S8_S8_EEEEZZNS1_27merge_sort_block_merge_implIS3_NS6_6detail15normal_iteratorINS6_10device_ptrIjEEEENSD_INSE_IS9_EEEEjNS1_19radix_merge_compareILb0ELb1EjNS0_19identity_decomposerEEEEE10hipError_tT0_T1_T2_jT3_P12ihipStream_tbPNSt15iterator_traitsISN_E10value_typeEPNST_ISO_E10value_typeEPSP_NS1_7vsmem_tEENKUlT_SN_SO_SP_E_clIPjSG_PS9_SI_EESM_S12_SN_SO_SP_EUlS12_E_NS1_11comp_targetILNS1_3genE3ELNS1_11target_archE908ELNS1_3gpuE7ELNS1_3repE0EEENS1_48merge_mergepath_partition_config_static_selectorELNS0_4arch9wavefront6targetE0EEEvSO_
	.p2align	8
	.type	_ZN7rocprim17ROCPRIM_400000_NS6detail17trampoline_kernelINS0_14default_configENS1_38merge_sort_block_merge_config_selectorIjN6thrust23THRUST_200600_302600_NS5tupleIffNS6_9null_typeES8_S8_S8_S8_S8_S8_S8_EEEEZZNS1_27merge_sort_block_merge_implIS3_NS6_6detail15normal_iteratorINS6_10device_ptrIjEEEENSD_INSE_IS9_EEEEjNS1_19radix_merge_compareILb0ELb1EjNS0_19identity_decomposerEEEEE10hipError_tT0_T1_T2_jT3_P12ihipStream_tbPNSt15iterator_traitsISN_E10value_typeEPNST_ISO_E10value_typeEPSP_NS1_7vsmem_tEENKUlT_SN_SO_SP_E_clIPjSG_PS9_SI_EESM_S12_SN_SO_SP_EUlS12_E_NS1_11comp_targetILNS1_3genE3ELNS1_11target_archE908ELNS1_3gpuE7ELNS1_3repE0EEENS1_48merge_mergepath_partition_config_static_selectorELNS0_4arch9wavefront6targetE0EEEvSO_,@function
_ZN7rocprim17ROCPRIM_400000_NS6detail17trampoline_kernelINS0_14default_configENS1_38merge_sort_block_merge_config_selectorIjN6thrust23THRUST_200600_302600_NS5tupleIffNS6_9null_typeES8_S8_S8_S8_S8_S8_S8_EEEEZZNS1_27merge_sort_block_merge_implIS3_NS6_6detail15normal_iteratorINS6_10device_ptrIjEEEENSD_INSE_IS9_EEEEjNS1_19radix_merge_compareILb0ELb1EjNS0_19identity_decomposerEEEEE10hipError_tT0_T1_T2_jT3_P12ihipStream_tbPNSt15iterator_traitsISN_E10value_typeEPNST_ISO_E10value_typeEPSP_NS1_7vsmem_tEENKUlT_SN_SO_SP_E_clIPjSG_PS9_SI_EESM_S12_SN_SO_SP_EUlS12_E_NS1_11comp_targetILNS1_3genE3ELNS1_11target_archE908ELNS1_3gpuE7ELNS1_3repE0EEENS1_48merge_mergepath_partition_config_static_selectorELNS0_4arch9wavefront6targetE0EEEvSO_: ; @_ZN7rocprim17ROCPRIM_400000_NS6detail17trampoline_kernelINS0_14default_configENS1_38merge_sort_block_merge_config_selectorIjN6thrust23THRUST_200600_302600_NS5tupleIffNS6_9null_typeES8_S8_S8_S8_S8_S8_S8_EEEEZZNS1_27merge_sort_block_merge_implIS3_NS6_6detail15normal_iteratorINS6_10device_ptrIjEEEENSD_INSE_IS9_EEEEjNS1_19radix_merge_compareILb0ELb1EjNS0_19identity_decomposerEEEEE10hipError_tT0_T1_T2_jT3_P12ihipStream_tbPNSt15iterator_traitsISN_E10value_typeEPNST_ISO_E10value_typeEPSP_NS1_7vsmem_tEENKUlT_SN_SO_SP_E_clIPjSG_PS9_SI_EESM_S12_SN_SO_SP_EUlS12_E_NS1_11comp_targetILNS1_3genE3ELNS1_11target_archE908ELNS1_3gpuE7ELNS1_3repE0EEENS1_48merge_mergepath_partition_config_static_selectorELNS0_4arch9wavefront6targetE0EEEvSO_
; %bb.0:
	.section	.rodata,"a",@progbits
	.p2align	6, 0x0
	.amdhsa_kernel _ZN7rocprim17ROCPRIM_400000_NS6detail17trampoline_kernelINS0_14default_configENS1_38merge_sort_block_merge_config_selectorIjN6thrust23THRUST_200600_302600_NS5tupleIffNS6_9null_typeES8_S8_S8_S8_S8_S8_S8_EEEEZZNS1_27merge_sort_block_merge_implIS3_NS6_6detail15normal_iteratorINS6_10device_ptrIjEEEENSD_INSE_IS9_EEEEjNS1_19radix_merge_compareILb0ELb1EjNS0_19identity_decomposerEEEEE10hipError_tT0_T1_T2_jT3_P12ihipStream_tbPNSt15iterator_traitsISN_E10value_typeEPNST_ISO_E10value_typeEPSP_NS1_7vsmem_tEENKUlT_SN_SO_SP_E_clIPjSG_PS9_SI_EESM_S12_SN_SO_SP_EUlS12_E_NS1_11comp_targetILNS1_3genE3ELNS1_11target_archE908ELNS1_3gpuE7ELNS1_3repE0EEENS1_48merge_mergepath_partition_config_static_selectorELNS0_4arch9wavefront6targetE0EEEvSO_
		.amdhsa_group_segment_fixed_size 0
		.amdhsa_private_segment_fixed_size 0
		.amdhsa_kernarg_size 40
		.amdhsa_user_sgpr_count 2
		.amdhsa_user_sgpr_dispatch_ptr 0
		.amdhsa_user_sgpr_queue_ptr 0
		.amdhsa_user_sgpr_kernarg_segment_ptr 1
		.amdhsa_user_sgpr_dispatch_id 0
		.amdhsa_user_sgpr_kernarg_preload_length 0
		.amdhsa_user_sgpr_kernarg_preload_offset 0
		.amdhsa_user_sgpr_private_segment_size 0
		.amdhsa_wavefront_size32 1
		.amdhsa_uses_dynamic_stack 0
		.amdhsa_enable_private_segment 0
		.amdhsa_system_sgpr_workgroup_id_x 1
		.amdhsa_system_sgpr_workgroup_id_y 0
		.amdhsa_system_sgpr_workgroup_id_z 0
		.amdhsa_system_sgpr_workgroup_info 0
		.amdhsa_system_vgpr_workitem_id 0
		.amdhsa_next_free_vgpr 1
		.amdhsa_next_free_sgpr 1
		.amdhsa_named_barrier_count 0
		.amdhsa_reserve_vcc 0
		.amdhsa_float_round_mode_32 0
		.amdhsa_float_round_mode_16_64 0
		.amdhsa_float_denorm_mode_32 3
		.amdhsa_float_denorm_mode_16_64 3
		.amdhsa_fp16_overflow 0
		.amdhsa_memory_ordered 1
		.amdhsa_forward_progress 1
		.amdhsa_inst_pref_size 0
		.amdhsa_round_robin_scheduling 0
		.amdhsa_exception_fp_ieee_invalid_op 0
		.amdhsa_exception_fp_denorm_src 0
		.amdhsa_exception_fp_ieee_div_zero 0
		.amdhsa_exception_fp_ieee_overflow 0
		.amdhsa_exception_fp_ieee_underflow 0
		.amdhsa_exception_fp_ieee_inexact 0
		.amdhsa_exception_int_div_zero 0
	.end_amdhsa_kernel
	.section	.text._ZN7rocprim17ROCPRIM_400000_NS6detail17trampoline_kernelINS0_14default_configENS1_38merge_sort_block_merge_config_selectorIjN6thrust23THRUST_200600_302600_NS5tupleIffNS6_9null_typeES8_S8_S8_S8_S8_S8_S8_EEEEZZNS1_27merge_sort_block_merge_implIS3_NS6_6detail15normal_iteratorINS6_10device_ptrIjEEEENSD_INSE_IS9_EEEEjNS1_19radix_merge_compareILb0ELb1EjNS0_19identity_decomposerEEEEE10hipError_tT0_T1_T2_jT3_P12ihipStream_tbPNSt15iterator_traitsISN_E10value_typeEPNST_ISO_E10value_typeEPSP_NS1_7vsmem_tEENKUlT_SN_SO_SP_E_clIPjSG_PS9_SI_EESM_S12_SN_SO_SP_EUlS12_E_NS1_11comp_targetILNS1_3genE3ELNS1_11target_archE908ELNS1_3gpuE7ELNS1_3repE0EEENS1_48merge_mergepath_partition_config_static_selectorELNS0_4arch9wavefront6targetE0EEEvSO_,"axG",@progbits,_ZN7rocprim17ROCPRIM_400000_NS6detail17trampoline_kernelINS0_14default_configENS1_38merge_sort_block_merge_config_selectorIjN6thrust23THRUST_200600_302600_NS5tupleIffNS6_9null_typeES8_S8_S8_S8_S8_S8_S8_EEEEZZNS1_27merge_sort_block_merge_implIS3_NS6_6detail15normal_iteratorINS6_10device_ptrIjEEEENSD_INSE_IS9_EEEEjNS1_19radix_merge_compareILb0ELb1EjNS0_19identity_decomposerEEEEE10hipError_tT0_T1_T2_jT3_P12ihipStream_tbPNSt15iterator_traitsISN_E10value_typeEPNST_ISO_E10value_typeEPSP_NS1_7vsmem_tEENKUlT_SN_SO_SP_E_clIPjSG_PS9_SI_EESM_S12_SN_SO_SP_EUlS12_E_NS1_11comp_targetILNS1_3genE3ELNS1_11target_archE908ELNS1_3gpuE7ELNS1_3repE0EEENS1_48merge_mergepath_partition_config_static_selectorELNS0_4arch9wavefront6targetE0EEEvSO_,comdat
.Lfunc_end95:
	.size	_ZN7rocprim17ROCPRIM_400000_NS6detail17trampoline_kernelINS0_14default_configENS1_38merge_sort_block_merge_config_selectorIjN6thrust23THRUST_200600_302600_NS5tupleIffNS6_9null_typeES8_S8_S8_S8_S8_S8_S8_EEEEZZNS1_27merge_sort_block_merge_implIS3_NS6_6detail15normal_iteratorINS6_10device_ptrIjEEEENSD_INSE_IS9_EEEEjNS1_19radix_merge_compareILb0ELb1EjNS0_19identity_decomposerEEEEE10hipError_tT0_T1_T2_jT3_P12ihipStream_tbPNSt15iterator_traitsISN_E10value_typeEPNST_ISO_E10value_typeEPSP_NS1_7vsmem_tEENKUlT_SN_SO_SP_E_clIPjSG_PS9_SI_EESM_S12_SN_SO_SP_EUlS12_E_NS1_11comp_targetILNS1_3genE3ELNS1_11target_archE908ELNS1_3gpuE7ELNS1_3repE0EEENS1_48merge_mergepath_partition_config_static_selectorELNS0_4arch9wavefront6targetE0EEEvSO_, .Lfunc_end95-_ZN7rocprim17ROCPRIM_400000_NS6detail17trampoline_kernelINS0_14default_configENS1_38merge_sort_block_merge_config_selectorIjN6thrust23THRUST_200600_302600_NS5tupleIffNS6_9null_typeES8_S8_S8_S8_S8_S8_S8_EEEEZZNS1_27merge_sort_block_merge_implIS3_NS6_6detail15normal_iteratorINS6_10device_ptrIjEEEENSD_INSE_IS9_EEEEjNS1_19radix_merge_compareILb0ELb1EjNS0_19identity_decomposerEEEEE10hipError_tT0_T1_T2_jT3_P12ihipStream_tbPNSt15iterator_traitsISN_E10value_typeEPNST_ISO_E10value_typeEPSP_NS1_7vsmem_tEENKUlT_SN_SO_SP_E_clIPjSG_PS9_SI_EESM_S12_SN_SO_SP_EUlS12_E_NS1_11comp_targetILNS1_3genE3ELNS1_11target_archE908ELNS1_3gpuE7ELNS1_3repE0EEENS1_48merge_mergepath_partition_config_static_selectorELNS0_4arch9wavefront6targetE0EEEvSO_
                                        ; -- End function
	.set _ZN7rocprim17ROCPRIM_400000_NS6detail17trampoline_kernelINS0_14default_configENS1_38merge_sort_block_merge_config_selectorIjN6thrust23THRUST_200600_302600_NS5tupleIffNS6_9null_typeES8_S8_S8_S8_S8_S8_S8_EEEEZZNS1_27merge_sort_block_merge_implIS3_NS6_6detail15normal_iteratorINS6_10device_ptrIjEEEENSD_INSE_IS9_EEEEjNS1_19radix_merge_compareILb0ELb1EjNS0_19identity_decomposerEEEEE10hipError_tT0_T1_T2_jT3_P12ihipStream_tbPNSt15iterator_traitsISN_E10value_typeEPNST_ISO_E10value_typeEPSP_NS1_7vsmem_tEENKUlT_SN_SO_SP_E_clIPjSG_PS9_SI_EESM_S12_SN_SO_SP_EUlS12_E_NS1_11comp_targetILNS1_3genE3ELNS1_11target_archE908ELNS1_3gpuE7ELNS1_3repE0EEENS1_48merge_mergepath_partition_config_static_selectorELNS0_4arch9wavefront6targetE0EEEvSO_.num_vgpr, 0
	.set _ZN7rocprim17ROCPRIM_400000_NS6detail17trampoline_kernelINS0_14default_configENS1_38merge_sort_block_merge_config_selectorIjN6thrust23THRUST_200600_302600_NS5tupleIffNS6_9null_typeES8_S8_S8_S8_S8_S8_S8_EEEEZZNS1_27merge_sort_block_merge_implIS3_NS6_6detail15normal_iteratorINS6_10device_ptrIjEEEENSD_INSE_IS9_EEEEjNS1_19radix_merge_compareILb0ELb1EjNS0_19identity_decomposerEEEEE10hipError_tT0_T1_T2_jT3_P12ihipStream_tbPNSt15iterator_traitsISN_E10value_typeEPNST_ISO_E10value_typeEPSP_NS1_7vsmem_tEENKUlT_SN_SO_SP_E_clIPjSG_PS9_SI_EESM_S12_SN_SO_SP_EUlS12_E_NS1_11comp_targetILNS1_3genE3ELNS1_11target_archE908ELNS1_3gpuE7ELNS1_3repE0EEENS1_48merge_mergepath_partition_config_static_selectorELNS0_4arch9wavefront6targetE0EEEvSO_.num_agpr, 0
	.set _ZN7rocprim17ROCPRIM_400000_NS6detail17trampoline_kernelINS0_14default_configENS1_38merge_sort_block_merge_config_selectorIjN6thrust23THRUST_200600_302600_NS5tupleIffNS6_9null_typeES8_S8_S8_S8_S8_S8_S8_EEEEZZNS1_27merge_sort_block_merge_implIS3_NS6_6detail15normal_iteratorINS6_10device_ptrIjEEEENSD_INSE_IS9_EEEEjNS1_19radix_merge_compareILb0ELb1EjNS0_19identity_decomposerEEEEE10hipError_tT0_T1_T2_jT3_P12ihipStream_tbPNSt15iterator_traitsISN_E10value_typeEPNST_ISO_E10value_typeEPSP_NS1_7vsmem_tEENKUlT_SN_SO_SP_E_clIPjSG_PS9_SI_EESM_S12_SN_SO_SP_EUlS12_E_NS1_11comp_targetILNS1_3genE3ELNS1_11target_archE908ELNS1_3gpuE7ELNS1_3repE0EEENS1_48merge_mergepath_partition_config_static_selectorELNS0_4arch9wavefront6targetE0EEEvSO_.numbered_sgpr, 0
	.set _ZN7rocprim17ROCPRIM_400000_NS6detail17trampoline_kernelINS0_14default_configENS1_38merge_sort_block_merge_config_selectorIjN6thrust23THRUST_200600_302600_NS5tupleIffNS6_9null_typeES8_S8_S8_S8_S8_S8_S8_EEEEZZNS1_27merge_sort_block_merge_implIS3_NS6_6detail15normal_iteratorINS6_10device_ptrIjEEEENSD_INSE_IS9_EEEEjNS1_19radix_merge_compareILb0ELb1EjNS0_19identity_decomposerEEEEE10hipError_tT0_T1_T2_jT3_P12ihipStream_tbPNSt15iterator_traitsISN_E10value_typeEPNST_ISO_E10value_typeEPSP_NS1_7vsmem_tEENKUlT_SN_SO_SP_E_clIPjSG_PS9_SI_EESM_S12_SN_SO_SP_EUlS12_E_NS1_11comp_targetILNS1_3genE3ELNS1_11target_archE908ELNS1_3gpuE7ELNS1_3repE0EEENS1_48merge_mergepath_partition_config_static_selectorELNS0_4arch9wavefront6targetE0EEEvSO_.num_named_barrier, 0
	.set _ZN7rocprim17ROCPRIM_400000_NS6detail17trampoline_kernelINS0_14default_configENS1_38merge_sort_block_merge_config_selectorIjN6thrust23THRUST_200600_302600_NS5tupleIffNS6_9null_typeES8_S8_S8_S8_S8_S8_S8_EEEEZZNS1_27merge_sort_block_merge_implIS3_NS6_6detail15normal_iteratorINS6_10device_ptrIjEEEENSD_INSE_IS9_EEEEjNS1_19radix_merge_compareILb0ELb1EjNS0_19identity_decomposerEEEEE10hipError_tT0_T1_T2_jT3_P12ihipStream_tbPNSt15iterator_traitsISN_E10value_typeEPNST_ISO_E10value_typeEPSP_NS1_7vsmem_tEENKUlT_SN_SO_SP_E_clIPjSG_PS9_SI_EESM_S12_SN_SO_SP_EUlS12_E_NS1_11comp_targetILNS1_3genE3ELNS1_11target_archE908ELNS1_3gpuE7ELNS1_3repE0EEENS1_48merge_mergepath_partition_config_static_selectorELNS0_4arch9wavefront6targetE0EEEvSO_.private_seg_size, 0
	.set _ZN7rocprim17ROCPRIM_400000_NS6detail17trampoline_kernelINS0_14default_configENS1_38merge_sort_block_merge_config_selectorIjN6thrust23THRUST_200600_302600_NS5tupleIffNS6_9null_typeES8_S8_S8_S8_S8_S8_S8_EEEEZZNS1_27merge_sort_block_merge_implIS3_NS6_6detail15normal_iteratorINS6_10device_ptrIjEEEENSD_INSE_IS9_EEEEjNS1_19radix_merge_compareILb0ELb1EjNS0_19identity_decomposerEEEEE10hipError_tT0_T1_T2_jT3_P12ihipStream_tbPNSt15iterator_traitsISN_E10value_typeEPNST_ISO_E10value_typeEPSP_NS1_7vsmem_tEENKUlT_SN_SO_SP_E_clIPjSG_PS9_SI_EESM_S12_SN_SO_SP_EUlS12_E_NS1_11comp_targetILNS1_3genE3ELNS1_11target_archE908ELNS1_3gpuE7ELNS1_3repE0EEENS1_48merge_mergepath_partition_config_static_selectorELNS0_4arch9wavefront6targetE0EEEvSO_.uses_vcc, 0
	.set _ZN7rocprim17ROCPRIM_400000_NS6detail17trampoline_kernelINS0_14default_configENS1_38merge_sort_block_merge_config_selectorIjN6thrust23THRUST_200600_302600_NS5tupleIffNS6_9null_typeES8_S8_S8_S8_S8_S8_S8_EEEEZZNS1_27merge_sort_block_merge_implIS3_NS6_6detail15normal_iteratorINS6_10device_ptrIjEEEENSD_INSE_IS9_EEEEjNS1_19radix_merge_compareILb0ELb1EjNS0_19identity_decomposerEEEEE10hipError_tT0_T1_T2_jT3_P12ihipStream_tbPNSt15iterator_traitsISN_E10value_typeEPNST_ISO_E10value_typeEPSP_NS1_7vsmem_tEENKUlT_SN_SO_SP_E_clIPjSG_PS9_SI_EESM_S12_SN_SO_SP_EUlS12_E_NS1_11comp_targetILNS1_3genE3ELNS1_11target_archE908ELNS1_3gpuE7ELNS1_3repE0EEENS1_48merge_mergepath_partition_config_static_selectorELNS0_4arch9wavefront6targetE0EEEvSO_.uses_flat_scratch, 0
	.set _ZN7rocprim17ROCPRIM_400000_NS6detail17trampoline_kernelINS0_14default_configENS1_38merge_sort_block_merge_config_selectorIjN6thrust23THRUST_200600_302600_NS5tupleIffNS6_9null_typeES8_S8_S8_S8_S8_S8_S8_EEEEZZNS1_27merge_sort_block_merge_implIS3_NS6_6detail15normal_iteratorINS6_10device_ptrIjEEEENSD_INSE_IS9_EEEEjNS1_19radix_merge_compareILb0ELb1EjNS0_19identity_decomposerEEEEE10hipError_tT0_T1_T2_jT3_P12ihipStream_tbPNSt15iterator_traitsISN_E10value_typeEPNST_ISO_E10value_typeEPSP_NS1_7vsmem_tEENKUlT_SN_SO_SP_E_clIPjSG_PS9_SI_EESM_S12_SN_SO_SP_EUlS12_E_NS1_11comp_targetILNS1_3genE3ELNS1_11target_archE908ELNS1_3gpuE7ELNS1_3repE0EEENS1_48merge_mergepath_partition_config_static_selectorELNS0_4arch9wavefront6targetE0EEEvSO_.has_dyn_sized_stack, 0
	.set _ZN7rocprim17ROCPRIM_400000_NS6detail17trampoline_kernelINS0_14default_configENS1_38merge_sort_block_merge_config_selectorIjN6thrust23THRUST_200600_302600_NS5tupleIffNS6_9null_typeES8_S8_S8_S8_S8_S8_S8_EEEEZZNS1_27merge_sort_block_merge_implIS3_NS6_6detail15normal_iteratorINS6_10device_ptrIjEEEENSD_INSE_IS9_EEEEjNS1_19radix_merge_compareILb0ELb1EjNS0_19identity_decomposerEEEEE10hipError_tT0_T1_T2_jT3_P12ihipStream_tbPNSt15iterator_traitsISN_E10value_typeEPNST_ISO_E10value_typeEPSP_NS1_7vsmem_tEENKUlT_SN_SO_SP_E_clIPjSG_PS9_SI_EESM_S12_SN_SO_SP_EUlS12_E_NS1_11comp_targetILNS1_3genE3ELNS1_11target_archE908ELNS1_3gpuE7ELNS1_3repE0EEENS1_48merge_mergepath_partition_config_static_selectorELNS0_4arch9wavefront6targetE0EEEvSO_.has_recursion, 0
	.set _ZN7rocprim17ROCPRIM_400000_NS6detail17trampoline_kernelINS0_14default_configENS1_38merge_sort_block_merge_config_selectorIjN6thrust23THRUST_200600_302600_NS5tupleIffNS6_9null_typeES8_S8_S8_S8_S8_S8_S8_EEEEZZNS1_27merge_sort_block_merge_implIS3_NS6_6detail15normal_iteratorINS6_10device_ptrIjEEEENSD_INSE_IS9_EEEEjNS1_19radix_merge_compareILb0ELb1EjNS0_19identity_decomposerEEEEE10hipError_tT0_T1_T2_jT3_P12ihipStream_tbPNSt15iterator_traitsISN_E10value_typeEPNST_ISO_E10value_typeEPSP_NS1_7vsmem_tEENKUlT_SN_SO_SP_E_clIPjSG_PS9_SI_EESM_S12_SN_SO_SP_EUlS12_E_NS1_11comp_targetILNS1_3genE3ELNS1_11target_archE908ELNS1_3gpuE7ELNS1_3repE0EEENS1_48merge_mergepath_partition_config_static_selectorELNS0_4arch9wavefront6targetE0EEEvSO_.has_indirect_call, 0
	.section	.AMDGPU.csdata,"",@progbits
; Kernel info:
; codeLenInByte = 0
; TotalNumSgprs: 0
; NumVgprs: 0
; ScratchSize: 0
; MemoryBound: 0
; FloatMode: 240
; IeeeMode: 1
; LDSByteSize: 0 bytes/workgroup (compile time only)
; SGPRBlocks: 0
; VGPRBlocks: 0
; NumSGPRsForWavesPerEU: 1
; NumVGPRsForWavesPerEU: 1
; NamedBarCnt: 0
; Occupancy: 16
; WaveLimiterHint : 0
; COMPUTE_PGM_RSRC2:SCRATCH_EN: 0
; COMPUTE_PGM_RSRC2:USER_SGPR: 2
; COMPUTE_PGM_RSRC2:TRAP_HANDLER: 0
; COMPUTE_PGM_RSRC2:TGID_X_EN: 1
; COMPUTE_PGM_RSRC2:TGID_Y_EN: 0
; COMPUTE_PGM_RSRC2:TGID_Z_EN: 0
; COMPUTE_PGM_RSRC2:TIDIG_COMP_CNT: 0
	.section	.text._ZN7rocprim17ROCPRIM_400000_NS6detail17trampoline_kernelINS0_14default_configENS1_38merge_sort_block_merge_config_selectorIjN6thrust23THRUST_200600_302600_NS5tupleIffNS6_9null_typeES8_S8_S8_S8_S8_S8_S8_EEEEZZNS1_27merge_sort_block_merge_implIS3_NS6_6detail15normal_iteratorINS6_10device_ptrIjEEEENSD_INSE_IS9_EEEEjNS1_19radix_merge_compareILb0ELb1EjNS0_19identity_decomposerEEEEE10hipError_tT0_T1_T2_jT3_P12ihipStream_tbPNSt15iterator_traitsISN_E10value_typeEPNST_ISO_E10value_typeEPSP_NS1_7vsmem_tEENKUlT_SN_SO_SP_E_clIPjSG_PS9_SI_EESM_S12_SN_SO_SP_EUlS12_E_NS1_11comp_targetILNS1_3genE2ELNS1_11target_archE906ELNS1_3gpuE6ELNS1_3repE0EEENS1_48merge_mergepath_partition_config_static_selectorELNS0_4arch9wavefront6targetE0EEEvSO_,"axG",@progbits,_ZN7rocprim17ROCPRIM_400000_NS6detail17trampoline_kernelINS0_14default_configENS1_38merge_sort_block_merge_config_selectorIjN6thrust23THRUST_200600_302600_NS5tupleIffNS6_9null_typeES8_S8_S8_S8_S8_S8_S8_EEEEZZNS1_27merge_sort_block_merge_implIS3_NS6_6detail15normal_iteratorINS6_10device_ptrIjEEEENSD_INSE_IS9_EEEEjNS1_19radix_merge_compareILb0ELb1EjNS0_19identity_decomposerEEEEE10hipError_tT0_T1_T2_jT3_P12ihipStream_tbPNSt15iterator_traitsISN_E10value_typeEPNST_ISO_E10value_typeEPSP_NS1_7vsmem_tEENKUlT_SN_SO_SP_E_clIPjSG_PS9_SI_EESM_S12_SN_SO_SP_EUlS12_E_NS1_11comp_targetILNS1_3genE2ELNS1_11target_archE906ELNS1_3gpuE6ELNS1_3repE0EEENS1_48merge_mergepath_partition_config_static_selectorELNS0_4arch9wavefront6targetE0EEEvSO_,comdat
	.protected	_ZN7rocprim17ROCPRIM_400000_NS6detail17trampoline_kernelINS0_14default_configENS1_38merge_sort_block_merge_config_selectorIjN6thrust23THRUST_200600_302600_NS5tupleIffNS6_9null_typeES8_S8_S8_S8_S8_S8_S8_EEEEZZNS1_27merge_sort_block_merge_implIS3_NS6_6detail15normal_iteratorINS6_10device_ptrIjEEEENSD_INSE_IS9_EEEEjNS1_19radix_merge_compareILb0ELb1EjNS0_19identity_decomposerEEEEE10hipError_tT0_T1_T2_jT3_P12ihipStream_tbPNSt15iterator_traitsISN_E10value_typeEPNST_ISO_E10value_typeEPSP_NS1_7vsmem_tEENKUlT_SN_SO_SP_E_clIPjSG_PS9_SI_EESM_S12_SN_SO_SP_EUlS12_E_NS1_11comp_targetILNS1_3genE2ELNS1_11target_archE906ELNS1_3gpuE6ELNS1_3repE0EEENS1_48merge_mergepath_partition_config_static_selectorELNS0_4arch9wavefront6targetE0EEEvSO_ ; -- Begin function _ZN7rocprim17ROCPRIM_400000_NS6detail17trampoline_kernelINS0_14default_configENS1_38merge_sort_block_merge_config_selectorIjN6thrust23THRUST_200600_302600_NS5tupleIffNS6_9null_typeES8_S8_S8_S8_S8_S8_S8_EEEEZZNS1_27merge_sort_block_merge_implIS3_NS6_6detail15normal_iteratorINS6_10device_ptrIjEEEENSD_INSE_IS9_EEEEjNS1_19radix_merge_compareILb0ELb1EjNS0_19identity_decomposerEEEEE10hipError_tT0_T1_T2_jT3_P12ihipStream_tbPNSt15iterator_traitsISN_E10value_typeEPNST_ISO_E10value_typeEPSP_NS1_7vsmem_tEENKUlT_SN_SO_SP_E_clIPjSG_PS9_SI_EESM_S12_SN_SO_SP_EUlS12_E_NS1_11comp_targetILNS1_3genE2ELNS1_11target_archE906ELNS1_3gpuE6ELNS1_3repE0EEENS1_48merge_mergepath_partition_config_static_selectorELNS0_4arch9wavefront6targetE0EEEvSO_
	.globl	_ZN7rocprim17ROCPRIM_400000_NS6detail17trampoline_kernelINS0_14default_configENS1_38merge_sort_block_merge_config_selectorIjN6thrust23THRUST_200600_302600_NS5tupleIffNS6_9null_typeES8_S8_S8_S8_S8_S8_S8_EEEEZZNS1_27merge_sort_block_merge_implIS3_NS6_6detail15normal_iteratorINS6_10device_ptrIjEEEENSD_INSE_IS9_EEEEjNS1_19radix_merge_compareILb0ELb1EjNS0_19identity_decomposerEEEEE10hipError_tT0_T1_T2_jT3_P12ihipStream_tbPNSt15iterator_traitsISN_E10value_typeEPNST_ISO_E10value_typeEPSP_NS1_7vsmem_tEENKUlT_SN_SO_SP_E_clIPjSG_PS9_SI_EESM_S12_SN_SO_SP_EUlS12_E_NS1_11comp_targetILNS1_3genE2ELNS1_11target_archE906ELNS1_3gpuE6ELNS1_3repE0EEENS1_48merge_mergepath_partition_config_static_selectorELNS0_4arch9wavefront6targetE0EEEvSO_
	.p2align	8
	.type	_ZN7rocprim17ROCPRIM_400000_NS6detail17trampoline_kernelINS0_14default_configENS1_38merge_sort_block_merge_config_selectorIjN6thrust23THRUST_200600_302600_NS5tupleIffNS6_9null_typeES8_S8_S8_S8_S8_S8_S8_EEEEZZNS1_27merge_sort_block_merge_implIS3_NS6_6detail15normal_iteratorINS6_10device_ptrIjEEEENSD_INSE_IS9_EEEEjNS1_19radix_merge_compareILb0ELb1EjNS0_19identity_decomposerEEEEE10hipError_tT0_T1_T2_jT3_P12ihipStream_tbPNSt15iterator_traitsISN_E10value_typeEPNST_ISO_E10value_typeEPSP_NS1_7vsmem_tEENKUlT_SN_SO_SP_E_clIPjSG_PS9_SI_EESM_S12_SN_SO_SP_EUlS12_E_NS1_11comp_targetILNS1_3genE2ELNS1_11target_archE906ELNS1_3gpuE6ELNS1_3repE0EEENS1_48merge_mergepath_partition_config_static_selectorELNS0_4arch9wavefront6targetE0EEEvSO_,@function
_ZN7rocprim17ROCPRIM_400000_NS6detail17trampoline_kernelINS0_14default_configENS1_38merge_sort_block_merge_config_selectorIjN6thrust23THRUST_200600_302600_NS5tupleIffNS6_9null_typeES8_S8_S8_S8_S8_S8_S8_EEEEZZNS1_27merge_sort_block_merge_implIS3_NS6_6detail15normal_iteratorINS6_10device_ptrIjEEEENSD_INSE_IS9_EEEEjNS1_19radix_merge_compareILb0ELb1EjNS0_19identity_decomposerEEEEE10hipError_tT0_T1_T2_jT3_P12ihipStream_tbPNSt15iterator_traitsISN_E10value_typeEPNST_ISO_E10value_typeEPSP_NS1_7vsmem_tEENKUlT_SN_SO_SP_E_clIPjSG_PS9_SI_EESM_S12_SN_SO_SP_EUlS12_E_NS1_11comp_targetILNS1_3genE2ELNS1_11target_archE906ELNS1_3gpuE6ELNS1_3repE0EEENS1_48merge_mergepath_partition_config_static_selectorELNS0_4arch9wavefront6targetE0EEEvSO_: ; @_ZN7rocprim17ROCPRIM_400000_NS6detail17trampoline_kernelINS0_14default_configENS1_38merge_sort_block_merge_config_selectorIjN6thrust23THRUST_200600_302600_NS5tupleIffNS6_9null_typeES8_S8_S8_S8_S8_S8_S8_EEEEZZNS1_27merge_sort_block_merge_implIS3_NS6_6detail15normal_iteratorINS6_10device_ptrIjEEEENSD_INSE_IS9_EEEEjNS1_19radix_merge_compareILb0ELb1EjNS0_19identity_decomposerEEEEE10hipError_tT0_T1_T2_jT3_P12ihipStream_tbPNSt15iterator_traitsISN_E10value_typeEPNST_ISO_E10value_typeEPSP_NS1_7vsmem_tEENKUlT_SN_SO_SP_E_clIPjSG_PS9_SI_EESM_S12_SN_SO_SP_EUlS12_E_NS1_11comp_targetILNS1_3genE2ELNS1_11target_archE906ELNS1_3gpuE6ELNS1_3repE0EEENS1_48merge_mergepath_partition_config_static_selectorELNS0_4arch9wavefront6targetE0EEEvSO_
; %bb.0:
	.section	.rodata,"a",@progbits
	.p2align	6, 0x0
	.amdhsa_kernel _ZN7rocprim17ROCPRIM_400000_NS6detail17trampoline_kernelINS0_14default_configENS1_38merge_sort_block_merge_config_selectorIjN6thrust23THRUST_200600_302600_NS5tupleIffNS6_9null_typeES8_S8_S8_S8_S8_S8_S8_EEEEZZNS1_27merge_sort_block_merge_implIS3_NS6_6detail15normal_iteratorINS6_10device_ptrIjEEEENSD_INSE_IS9_EEEEjNS1_19radix_merge_compareILb0ELb1EjNS0_19identity_decomposerEEEEE10hipError_tT0_T1_T2_jT3_P12ihipStream_tbPNSt15iterator_traitsISN_E10value_typeEPNST_ISO_E10value_typeEPSP_NS1_7vsmem_tEENKUlT_SN_SO_SP_E_clIPjSG_PS9_SI_EESM_S12_SN_SO_SP_EUlS12_E_NS1_11comp_targetILNS1_3genE2ELNS1_11target_archE906ELNS1_3gpuE6ELNS1_3repE0EEENS1_48merge_mergepath_partition_config_static_selectorELNS0_4arch9wavefront6targetE0EEEvSO_
		.amdhsa_group_segment_fixed_size 0
		.amdhsa_private_segment_fixed_size 0
		.amdhsa_kernarg_size 40
		.amdhsa_user_sgpr_count 2
		.amdhsa_user_sgpr_dispatch_ptr 0
		.amdhsa_user_sgpr_queue_ptr 0
		.amdhsa_user_sgpr_kernarg_segment_ptr 1
		.amdhsa_user_sgpr_dispatch_id 0
		.amdhsa_user_sgpr_kernarg_preload_length 0
		.amdhsa_user_sgpr_kernarg_preload_offset 0
		.amdhsa_user_sgpr_private_segment_size 0
		.amdhsa_wavefront_size32 1
		.amdhsa_uses_dynamic_stack 0
		.amdhsa_enable_private_segment 0
		.amdhsa_system_sgpr_workgroup_id_x 1
		.amdhsa_system_sgpr_workgroup_id_y 0
		.amdhsa_system_sgpr_workgroup_id_z 0
		.amdhsa_system_sgpr_workgroup_info 0
		.amdhsa_system_vgpr_workitem_id 0
		.amdhsa_next_free_vgpr 1
		.amdhsa_next_free_sgpr 1
		.amdhsa_named_barrier_count 0
		.amdhsa_reserve_vcc 0
		.amdhsa_float_round_mode_32 0
		.amdhsa_float_round_mode_16_64 0
		.amdhsa_float_denorm_mode_32 3
		.amdhsa_float_denorm_mode_16_64 3
		.amdhsa_fp16_overflow 0
		.amdhsa_memory_ordered 1
		.amdhsa_forward_progress 1
		.amdhsa_inst_pref_size 0
		.amdhsa_round_robin_scheduling 0
		.amdhsa_exception_fp_ieee_invalid_op 0
		.amdhsa_exception_fp_denorm_src 0
		.amdhsa_exception_fp_ieee_div_zero 0
		.amdhsa_exception_fp_ieee_overflow 0
		.amdhsa_exception_fp_ieee_underflow 0
		.amdhsa_exception_fp_ieee_inexact 0
		.amdhsa_exception_int_div_zero 0
	.end_amdhsa_kernel
	.section	.text._ZN7rocprim17ROCPRIM_400000_NS6detail17trampoline_kernelINS0_14default_configENS1_38merge_sort_block_merge_config_selectorIjN6thrust23THRUST_200600_302600_NS5tupleIffNS6_9null_typeES8_S8_S8_S8_S8_S8_S8_EEEEZZNS1_27merge_sort_block_merge_implIS3_NS6_6detail15normal_iteratorINS6_10device_ptrIjEEEENSD_INSE_IS9_EEEEjNS1_19radix_merge_compareILb0ELb1EjNS0_19identity_decomposerEEEEE10hipError_tT0_T1_T2_jT3_P12ihipStream_tbPNSt15iterator_traitsISN_E10value_typeEPNST_ISO_E10value_typeEPSP_NS1_7vsmem_tEENKUlT_SN_SO_SP_E_clIPjSG_PS9_SI_EESM_S12_SN_SO_SP_EUlS12_E_NS1_11comp_targetILNS1_3genE2ELNS1_11target_archE906ELNS1_3gpuE6ELNS1_3repE0EEENS1_48merge_mergepath_partition_config_static_selectorELNS0_4arch9wavefront6targetE0EEEvSO_,"axG",@progbits,_ZN7rocprim17ROCPRIM_400000_NS6detail17trampoline_kernelINS0_14default_configENS1_38merge_sort_block_merge_config_selectorIjN6thrust23THRUST_200600_302600_NS5tupleIffNS6_9null_typeES8_S8_S8_S8_S8_S8_S8_EEEEZZNS1_27merge_sort_block_merge_implIS3_NS6_6detail15normal_iteratorINS6_10device_ptrIjEEEENSD_INSE_IS9_EEEEjNS1_19radix_merge_compareILb0ELb1EjNS0_19identity_decomposerEEEEE10hipError_tT0_T1_T2_jT3_P12ihipStream_tbPNSt15iterator_traitsISN_E10value_typeEPNST_ISO_E10value_typeEPSP_NS1_7vsmem_tEENKUlT_SN_SO_SP_E_clIPjSG_PS9_SI_EESM_S12_SN_SO_SP_EUlS12_E_NS1_11comp_targetILNS1_3genE2ELNS1_11target_archE906ELNS1_3gpuE6ELNS1_3repE0EEENS1_48merge_mergepath_partition_config_static_selectorELNS0_4arch9wavefront6targetE0EEEvSO_,comdat
.Lfunc_end96:
	.size	_ZN7rocprim17ROCPRIM_400000_NS6detail17trampoline_kernelINS0_14default_configENS1_38merge_sort_block_merge_config_selectorIjN6thrust23THRUST_200600_302600_NS5tupleIffNS6_9null_typeES8_S8_S8_S8_S8_S8_S8_EEEEZZNS1_27merge_sort_block_merge_implIS3_NS6_6detail15normal_iteratorINS6_10device_ptrIjEEEENSD_INSE_IS9_EEEEjNS1_19radix_merge_compareILb0ELb1EjNS0_19identity_decomposerEEEEE10hipError_tT0_T1_T2_jT3_P12ihipStream_tbPNSt15iterator_traitsISN_E10value_typeEPNST_ISO_E10value_typeEPSP_NS1_7vsmem_tEENKUlT_SN_SO_SP_E_clIPjSG_PS9_SI_EESM_S12_SN_SO_SP_EUlS12_E_NS1_11comp_targetILNS1_3genE2ELNS1_11target_archE906ELNS1_3gpuE6ELNS1_3repE0EEENS1_48merge_mergepath_partition_config_static_selectorELNS0_4arch9wavefront6targetE0EEEvSO_, .Lfunc_end96-_ZN7rocprim17ROCPRIM_400000_NS6detail17trampoline_kernelINS0_14default_configENS1_38merge_sort_block_merge_config_selectorIjN6thrust23THRUST_200600_302600_NS5tupleIffNS6_9null_typeES8_S8_S8_S8_S8_S8_S8_EEEEZZNS1_27merge_sort_block_merge_implIS3_NS6_6detail15normal_iteratorINS6_10device_ptrIjEEEENSD_INSE_IS9_EEEEjNS1_19radix_merge_compareILb0ELb1EjNS0_19identity_decomposerEEEEE10hipError_tT0_T1_T2_jT3_P12ihipStream_tbPNSt15iterator_traitsISN_E10value_typeEPNST_ISO_E10value_typeEPSP_NS1_7vsmem_tEENKUlT_SN_SO_SP_E_clIPjSG_PS9_SI_EESM_S12_SN_SO_SP_EUlS12_E_NS1_11comp_targetILNS1_3genE2ELNS1_11target_archE906ELNS1_3gpuE6ELNS1_3repE0EEENS1_48merge_mergepath_partition_config_static_selectorELNS0_4arch9wavefront6targetE0EEEvSO_
                                        ; -- End function
	.set _ZN7rocprim17ROCPRIM_400000_NS6detail17trampoline_kernelINS0_14default_configENS1_38merge_sort_block_merge_config_selectorIjN6thrust23THRUST_200600_302600_NS5tupleIffNS6_9null_typeES8_S8_S8_S8_S8_S8_S8_EEEEZZNS1_27merge_sort_block_merge_implIS3_NS6_6detail15normal_iteratorINS6_10device_ptrIjEEEENSD_INSE_IS9_EEEEjNS1_19radix_merge_compareILb0ELb1EjNS0_19identity_decomposerEEEEE10hipError_tT0_T1_T2_jT3_P12ihipStream_tbPNSt15iterator_traitsISN_E10value_typeEPNST_ISO_E10value_typeEPSP_NS1_7vsmem_tEENKUlT_SN_SO_SP_E_clIPjSG_PS9_SI_EESM_S12_SN_SO_SP_EUlS12_E_NS1_11comp_targetILNS1_3genE2ELNS1_11target_archE906ELNS1_3gpuE6ELNS1_3repE0EEENS1_48merge_mergepath_partition_config_static_selectorELNS0_4arch9wavefront6targetE0EEEvSO_.num_vgpr, 0
	.set _ZN7rocprim17ROCPRIM_400000_NS6detail17trampoline_kernelINS0_14default_configENS1_38merge_sort_block_merge_config_selectorIjN6thrust23THRUST_200600_302600_NS5tupleIffNS6_9null_typeES8_S8_S8_S8_S8_S8_S8_EEEEZZNS1_27merge_sort_block_merge_implIS3_NS6_6detail15normal_iteratorINS6_10device_ptrIjEEEENSD_INSE_IS9_EEEEjNS1_19radix_merge_compareILb0ELb1EjNS0_19identity_decomposerEEEEE10hipError_tT0_T1_T2_jT3_P12ihipStream_tbPNSt15iterator_traitsISN_E10value_typeEPNST_ISO_E10value_typeEPSP_NS1_7vsmem_tEENKUlT_SN_SO_SP_E_clIPjSG_PS9_SI_EESM_S12_SN_SO_SP_EUlS12_E_NS1_11comp_targetILNS1_3genE2ELNS1_11target_archE906ELNS1_3gpuE6ELNS1_3repE0EEENS1_48merge_mergepath_partition_config_static_selectorELNS0_4arch9wavefront6targetE0EEEvSO_.num_agpr, 0
	.set _ZN7rocprim17ROCPRIM_400000_NS6detail17trampoline_kernelINS0_14default_configENS1_38merge_sort_block_merge_config_selectorIjN6thrust23THRUST_200600_302600_NS5tupleIffNS6_9null_typeES8_S8_S8_S8_S8_S8_S8_EEEEZZNS1_27merge_sort_block_merge_implIS3_NS6_6detail15normal_iteratorINS6_10device_ptrIjEEEENSD_INSE_IS9_EEEEjNS1_19radix_merge_compareILb0ELb1EjNS0_19identity_decomposerEEEEE10hipError_tT0_T1_T2_jT3_P12ihipStream_tbPNSt15iterator_traitsISN_E10value_typeEPNST_ISO_E10value_typeEPSP_NS1_7vsmem_tEENKUlT_SN_SO_SP_E_clIPjSG_PS9_SI_EESM_S12_SN_SO_SP_EUlS12_E_NS1_11comp_targetILNS1_3genE2ELNS1_11target_archE906ELNS1_3gpuE6ELNS1_3repE0EEENS1_48merge_mergepath_partition_config_static_selectorELNS0_4arch9wavefront6targetE0EEEvSO_.numbered_sgpr, 0
	.set _ZN7rocprim17ROCPRIM_400000_NS6detail17trampoline_kernelINS0_14default_configENS1_38merge_sort_block_merge_config_selectorIjN6thrust23THRUST_200600_302600_NS5tupleIffNS6_9null_typeES8_S8_S8_S8_S8_S8_S8_EEEEZZNS1_27merge_sort_block_merge_implIS3_NS6_6detail15normal_iteratorINS6_10device_ptrIjEEEENSD_INSE_IS9_EEEEjNS1_19radix_merge_compareILb0ELb1EjNS0_19identity_decomposerEEEEE10hipError_tT0_T1_T2_jT3_P12ihipStream_tbPNSt15iterator_traitsISN_E10value_typeEPNST_ISO_E10value_typeEPSP_NS1_7vsmem_tEENKUlT_SN_SO_SP_E_clIPjSG_PS9_SI_EESM_S12_SN_SO_SP_EUlS12_E_NS1_11comp_targetILNS1_3genE2ELNS1_11target_archE906ELNS1_3gpuE6ELNS1_3repE0EEENS1_48merge_mergepath_partition_config_static_selectorELNS0_4arch9wavefront6targetE0EEEvSO_.num_named_barrier, 0
	.set _ZN7rocprim17ROCPRIM_400000_NS6detail17trampoline_kernelINS0_14default_configENS1_38merge_sort_block_merge_config_selectorIjN6thrust23THRUST_200600_302600_NS5tupleIffNS6_9null_typeES8_S8_S8_S8_S8_S8_S8_EEEEZZNS1_27merge_sort_block_merge_implIS3_NS6_6detail15normal_iteratorINS6_10device_ptrIjEEEENSD_INSE_IS9_EEEEjNS1_19radix_merge_compareILb0ELb1EjNS0_19identity_decomposerEEEEE10hipError_tT0_T1_T2_jT3_P12ihipStream_tbPNSt15iterator_traitsISN_E10value_typeEPNST_ISO_E10value_typeEPSP_NS1_7vsmem_tEENKUlT_SN_SO_SP_E_clIPjSG_PS9_SI_EESM_S12_SN_SO_SP_EUlS12_E_NS1_11comp_targetILNS1_3genE2ELNS1_11target_archE906ELNS1_3gpuE6ELNS1_3repE0EEENS1_48merge_mergepath_partition_config_static_selectorELNS0_4arch9wavefront6targetE0EEEvSO_.private_seg_size, 0
	.set _ZN7rocprim17ROCPRIM_400000_NS6detail17trampoline_kernelINS0_14default_configENS1_38merge_sort_block_merge_config_selectorIjN6thrust23THRUST_200600_302600_NS5tupleIffNS6_9null_typeES8_S8_S8_S8_S8_S8_S8_EEEEZZNS1_27merge_sort_block_merge_implIS3_NS6_6detail15normal_iteratorINS6_10device_ptrIjEEEENSD_INSE_IS9_EEEEjNS1_19radix_merge_compareILb0ELb1EjNS0_19identity_decomposerEEEEE10hipError_tT0_T1_T2_jT3_P12ihipStream_tbPNSt15iterator_traitsISN_E10value_typeEPNST_ISO_E10value_typeEPSP_NS1_7vsmem_tEENKUlT_SN_SO_SP_E_clIPjSG_PS9_SI_EESM_S12_SN_SO_SP_EUlS12_E_NS1_11comp_targetILNS1_3genE2ELNS1_11target_archE906ELNS1_3gpuE6ELNS1_3repE0EEENS1_48merge_mergepath_partition_config_static_selectorELNS0_4arch9wavefront6targetE0EEEvSO_.uses_vcc, 0
	.set _ZN7rocprim17ROCPRIM_400000_NS6detail17trampoline_kernelINS0_14default_configENS1_38merge_sort_block_merge_config_selectorIjN6thrust23THRUST_200600_302600_NS5tupleIffNS6_9null_typeES8_S8_S8_S8_S8_S8_S8_EEEEZZNS1_27merge_sort_block_merge_implIS3_NS6_6detail15normal_iteratorINS6_10device_ptrIjEEEENSD_INSE_IS9_EEEEjNS1_19radix_merge_compareILb0ELb1EjNS0_19identity_decomposerEEEEE10hipError_tT0_T1_T2_jT3_P12ihipStream_tbPNSt15iterator_traitsISN_E10value_typeEPNST_ISO_E10value_typeEPSP_NS1_7vsmem_tEENKUlT_SN_SO_SP_E_clIPjSG_PS9_SI_EESM_S12_SN_SO_SP_EUlS12_E_NS1_11comp_targetILNS1_3genE2ELNS1_11target_archE906ELNS1_3gpuE6ELNS1_3repE0EEENS1_48merge_mergepath_partition_config_static_selectorELNS0_4arch9wavefront6targetE0EEEvSO_.uses_flat_scratch, 0
	.set _ZN7rocprim17ROCPRIM_400000_NS6detail17trampoline_kernelINS0_14default_configENS1_38merge_sort_block_merge_config_selectorIjN6thrust23THRUST_200600_302600_NS5tupleIffNS6_9null_typeES8_S8_S8_S8_S8_S8_S8_EEEEZZNS1_27merge_sort_block_merge_implIS3_NS6_6detail15normal_iteratorINS6_10device_ptrIjEEEENSD_INSE_IS9_EEEEjNS1_19radix_merge_compareILb0ELb1EjNS0_19identity_decomposerEEEEE10hipError_tT0_T1_T2_jT3_P12ihipStream_tbPNSt15iterator_traitsISN_E10value_typeEPNST_ISO_E10value_typeEPSP_NS1_7vsmem_tEENKUlT_SN_SO_SP_E_clIPjSG_PS9_SI_EESM_S12_SN_SO_SP_EUlS12_E_NS1_11comp_targetILNS1_3genE2ELNS1_11target_archE906ELNS1_3gpuE6ELNS1_3repE0EEENS1_48merge_mergepath_partition_config_static_selectorELNS0_4arch9wavefront6targetE0EEEvSO_.has_dyn_sized_stack, 0
	.set _ZN7rocprim17ROCPRIM_400000_NS6detail17trampoline_kernelINS0_14default_configENS1_38merge_sort_block_merge_config_selectorIjN6thrust23THRUST_200600_302600_NS5tupleIffNS6_9null_typeES8_S8_S8_S8_S8_S8_S8_EEEEZZNS1_27merge_sort_block_merge_implIS3_NS6_6detail15normal_iteratorINS6_10device_ptrIjEEEENSD_INSE_IS9_EEEEjNS1_19radix_merge_compareILb0ELb1EjNS0_19identity_decomposerEEEEE10hipError_tT0_T1_T2_jT3_P12ihipStream_tbPNSt15iterator_traitsISN_E10value_typeEPNST_ISO_E10value_typeEPSP_NS1_7vsmem_tEENKUlT_SN_SO_SP_E_clIPjSG_PS9_SI_EESM_S12_SN_SO_SP_EUlS12_E_NS1_11comp_targetILNS1_3genE2ELNS1_11target_archE906ELNS1_3gpuE6ELNS1_3repE0EEENS1_48merge_mergepath_partition_config_static_selectorELNS0_4arch9wavefront6targetE0EEEvSO_.has_recursion, 0
	.set _ZN7rocprim17ROCPRIM_400000_NS6detail17trampoline_kernelINS0_14default_configENS1_38merge_sort_block_merge_config_selectorIjN6thrust23THRUST_200600_302600_NS5tupleIffNS6_9null_typeES8_S8_S8_S8_S8_S8_S8_EEEEZZNS1_27merge_sort_block_merge_implIS3_NS6_6detail15normal_iteratorINS6_10device_ptrIjEEEENSD_INSE_IS9_EEEEjNS1_19radix_merge_compareILb0ELb1EjNS0_19identity_decomposerEEEEE10hipError_tT0_T1_T2_jT3_P12ihipStream_tbPNSt15iterator_traitsISN_E10value_typeEPNST_ISO_E10value_typeEPSP_NS1_7vsmem_tEENKUlT_SN_SO_SP_E_clIPjSG_PS9_SI_EESM_S12_SN_SO_SP_EUlS12_E_NS1_11comp_targetILNS1_3genE2ELNS1_11target_archE906ELNS1_3gpuE6ELNS1_3repE0EEENS1_48merge_mergepath_partition_config_static_selectorELNS0_4arch9wavefront6targetE0EEEvSO_.has_indirect_call, 0
	.section	.AMDGPU.csdata,"",@progbits
; Kernel info:
; codeLenInByte = 0
; TotalNumSgprs: 0
; NumVgprs: 0
; ScratchSize: 0
; MemoryBound: 0
; FloatMode: 240
; IeeeMode: 1
; LDSByteSize: 0 bytes/workgroup (compile time only)
; SGPRBlocks: 0
; VGPRBlocks: 0
; NumSGPRsForWavesPerEU: 1
; NumVGPRsForWavesPerEU: 1
; NamedBarCnt: 0
; Occupancy: 16
; WaveLimiterHint : 0
; COMPUTE_PGM_RSRC2:SCRATCH_EN: 0
; COMPUTE_PGM_RSRC2:USER_SGPR: 2
; COMPUTE_PGM_RSRC2:TRAP_HANDLER: 0
; COMPUTE_PGM_RSRC2:TGID_X_EN: 1
; COMPUTE_PGM_RSRC2:TGID_Y_EN: 0
; COMPUTE_PGM_RSRC2:TGID_Z_EN: 0
; COMPUTE_PGM_RSRC2:TIDIG_COMP_CNT: 0
	.section	.text._ZN7rocprim17ROCPRIM_400000_NS6detail17trampoline_kernelINS0_14default_configENS1_38merge_sort_block_merge_config_selectorIjN6thrust23THRUST_200600_302600_NS5tupleIffNS6_9null_typeES8_S8_S8_S8_S8_S8_S8_EEEEZZNS1_27merge_sort_block_merge_implIS3_NS6_6detail15normal_iteratorINS6_10device_ptrIjEEEENSD_INSE_IS9_EEEEjNS1_19radix_merge_compareILb0ELb1EjNS0_19identity_decomposerEEEEE10hipError_tT0_T1_T2_jT3_P12ihipStream_tbPNSt15iterator_traitsISN_E10value_typeEPNST_ISO_E10value_typeEPSP_NS1_7vsmem_tEENKUlT_SN_SO_SP_E_clIPjSG_PS9_SI_EESM_S12_SN_SO_SP_EUlS12_E_NS1_11comp_targetILNS1_3genE9ELNS1_11target_archE1100ELNS1_3gpuE3ELNS1_3repE0EEENS1_48merge_mergepath_partition_config_static_selectorELNS0_4arch9wavefront6targetE0EEEvSO_,"axG",@progbits,_ZN7rocprim17ROCPRIM_400000_NS6detail17trampoline_kernelINS0_14default_configENS1_38merge_sort_block_merge_config_selectorIjN6thrust23THRUST_200600_302600_NS5tupleIffNS6_9null_typeES8_S8_S8_S8_S8_S8_S8_EEEEZZNS1_27merge_sort_block_merge_implIS3_NS6_6detail15normal_iteratorINS6_10device_ptrIjEEEENSD_INSE_IS9_EEEEjNS1_19radix_merge_compareILb0ELb1EjNS0_19identity_decomposerEEEEE10hipError_tT0_T1_T2_jT3_P12ihipStream_tbPNSt15iterator_traitsISN_E10value_typeEPNST_ISO_E10value_typeEPSP_NS1_7vsmem_tEENKUlT_SN_SO_SP_E_clIPjSG_PS9_SI_EESM_S12_SN_SO_SP_EUlS12_E_NS1_11comp_targetILNS1_3genE9ELNS1_11target_archE1100ELNS1_3gpuE3ELNS1_3repE0EEENS1_48merge_mergepath_partition_config_static_selectorELNS0_4arch9wavefront6targetE0EEEvSO_,comdat
	.protected	_ZN7rocprim17ROCPRIM_400000_NS6detail17trampoline_kernelINS0_14default_configENS1_38merge_sort_block_merge_config_selectorIjN6thrust23THRUST_200600_302600_NS5tupleIffNS6_9null_typeES8_S8_S8_S8_S8_S8_S8_EEEEZZNS1_27merge_sort_block_merge_implIS3_NS6_6detail15normal_iteratorINS6_10device_ptrIjEEEENSD_INSE_IS9_EEEEjNS1_19radix_merge_compareILb0ELb1EjNS0_19identity_decomposerEEEEE10hipError_tT0_T1_T2_jT3_P12ihipStream_tbPNSt15iterator_traitsISN_E10value_typeEPNST_ISO_E10value_typeEPSP_NS1_7vsmem_tEENKUlT_SN_SO_SP_E_clIPjSG_PS9_SI_EESM_S12_SN_SO_SP_EUlS12_E_NS1_11comp_targetILNS1_3genE9ELNS1_11target_archE1100ELNS1_3gpuE3ELNS1_3repE0EEENS1_48merge_mergepath_partition_config_static_selectorELNS0_4arch9wavefront6targetE0EEEvSO_ ; -- Begin function _ZN7rocprim17ROCPRIM_400000_NS6detail17trampoline_kernelINS0_14default_configENS1_38merge_sort_block_merge_config_selectorIjN6thrust23THRUST_200600_302600_NS5tupleIffNS6_9null_typeES8_S8_S8_S8_S8_S8_S8_EEEEZZNS1_27merge_sort_block_merge_implIS3_NS6_6detail15normal_iteratorINS6_10device_ptrIjEEEENSD_INSE_IS9_EEEEjNS1_19radix_merge_compareILb0ELb1EjNS0_19identity_decomposerEEEEE10hipError_tT0_T1_T2_jT3_P12ihipStream_tbPNSt15iterator_traitsISN_E10value_typeEPNST_ISO_E10value_typeEPSP_NS1_7vsmem_tEENKUlT_SN_SO_SP_E_clIPjSG_PS9_SI_EESM_S12_SN_SO_SP_EUlS12_E_NS1_11comp_targetILNS1_3genE9ELNS1_11target_archE1100ELNS1_3gpuE3ELNS1_3repE0EEENS1_48merge_mergepath_partition_config_static_selectorELNS0_4arch9wavefront6targetE0EEEvSO_
	.globl	_ZN7rocprim17ROCPRIM_400000_NS6detail17trampoline_kernelINS0_14default_configENS1_38merge_sort_block_merge_config_selectorIjN6thrust23THRUST_200600_302600_NS5tupleIffNS6_9null_typeES8_S8_S8_S8_S8_S8_S8_EEEEZZNS1_27merge_sort_block_merge_implIS3_NS6_6detail15normal_iteratorINS6_10device_ptrIjEEEENSD_INSE_IS9_EEEEjNS1_19radix_merge_compareILb0ELb1EjNS0_19identity_decomposerEEEEE10hipError_tT0_T1_T2_jT3_P12ihipStream_tbPNSt15iterator_traitsISN_E10value_typeEPNST_ISO_E10value_typeEPSP_NS1_7vsmem_tEENKUlT_SN_SO_SP_E_clIPjSG_PS9_SI_EESM_S12_SN_SO_SP_EUlS12_E_NS1_11comp_targetILNS1_3genE9ELNS1_11target_archE1100ELNS1_3gpuE3ELNS1_3repE0EEENS1_48merge_mergepath_partition_config_static_selectorELNS0_4arch9wavefront6targetE0EEEvSO_
	.p2align	8
	.type	_ZN7rocprim17ROCPRIM_400000_NS6detail17trampoline_kernelINS0_14default_configENS1_38merge_sort_block_merge_config_selectorIjN6thrust23THRUST_200600_302600_NS5tupleIffNS6_9null_typeES8_S8_S8_S8_S8_S8_S8_EEEEZZNS1_27merge_sort_block_merge_implIS3_NS6_6detail15normal_iteratorINS6_10device_ptrIjEEEENSD_INSE_IS9_EEEEjNS1_19radix_merge_compareILb0ELb1EjNS0_19identity_decomposerEEEEE10hipError_tT0_T1_T2_jT3_P12ihipStream_tbPNSt15iterator_traitsISN_E10value_typeEPNST_ISO_E10value_typeEPSP_NS1_7vsmem_tEENKUlT_SN_SO_SP_E_clIPjSG_PS9_SI_EESM_S12_SN_SO_SP_EUlS12_E_NS1_11comp_targetILNS1_3genE9ELNS1_11target_archE1100ELNS1_3gpuE3ELNS1_3repE0EEENS1_48merge_mergepath_partition_config_static_selectorELNS0_4arch9wavefront6targetE0EEEvSO_,@function
_ZN7rocprim17ROCPRIM_400000_NS6detail17trampoline_kernelINS0_14default_configENS1_38merge_sort_block_merge_config_selectorIjN6thrust23THRUST_200600_302600_NS5tupleIffNS6_9null_typeES8_S8_S8_S8_S8_S8_S8_EEEEZZNS1_27merge_sort_block_merge_implIS3_NS6_6detail15normal_iteratorINS6_10device_ptrIjEEEENSD_INSE_IS9_EEEEjNS1_19radix_merge_compareILb0ELb1EjNS0_19identity_decomposerEEEEE10hipError_tT0_T1_T2_jT3_P12ihipStream_tbPNSt15iterator_traitsISN_E10value_typeEPNST_ISO_E10value_typeEPSP_NS1_7vsmem_tEENKUlT_SN_SO_SP_E_clIPjSG_PS9_SI_EESM_S12_SN_SO_SP_EUlS12_E_NS1_11comp_targetILNS1_3genE9ELNS1_11target_archE1100ELNS1_3gpuE3ELNS1_3repE0EEENS1_48merge_mergepath_partition_config_static_selectorELNS0_4arch9wavefront6targetE0EEEvSO_: ; @_ZN7rocprim17ROCPRIM_400000_NS6detail17trampoline_kernelINS0_14default_configENS1_38merge_sort_block_merge_config_selectorIjN6thrust23THRUST_200600_302600_NS5tupleIffNS6_9null_typeES8_S8_S8_S8_S8_S8_S8_EEEEZZNS1_27merge_sort_block_merge_implIS3_NS6_6detail15normal_iteratorINS6_10device_ptrIjEEEENSD_INSE_IS9_EEEEjNS1_19radix_merge_compareILb0ELb1EjNS0_19identity_decomposerEEEEE10hipError_tT0_T1_T2_jT3_P12ihipStream_tbPNSt15iterator_traitsISN_E10value_typeEPNST_ISO_E10value_typeEPSP_NS1_7vsmem_tEENKUlT_SN_SO_SP_E_clIPjSG_PS9_SI_EESM_S12_SN_SO_SP_EUlS12_E_NS1_11comp_targetILNS1_3genE9ELNS1_11target_archE1100ELNS1_3gpuE3ELNS1_3repE0EEENS1_48merge_mergepath_partition_config_static_selectorELNS0_4arch9wavefront6targetE0EEEvSO_
; %bb.0:
	.section	.rodata,"a",@progbits
	.p2align	6, 0x0
	.amdhsa_kernel _ZN7rocprim17ROCPRIM_400000_NS6detail17trampoline_kernelINS0_14default_configENS1_38merge_sort_block_merge_config_selectorIjN6thrust23THRUST_200600_302600_NS5tupleIffNS6_9null_typeES8_S8_S8_S8_S8_S8_S8_EEEEZZNS1_27merge_sort_block_merge_implIS3_NS6_6detail15normal_iteratorINS6_10device_ptrIjEEEENSD_INSE_IS9_EEEEjNS1_19radix_merge_compareILb0ELb1EjNS0_19identity_decomposerEEEEE10hipError_tT0_T1_T2_jT3_P12ihipStream_tbPNSt15iterator_traitsISN_E10value_typeEPNST_ISO_E10value_typeEPSP_NS1_7vsmem_tEENKUlT_SN_SO_SP_E_clIPjSG_PS9_SI_EESM_S12_SN_SO_SP_EUlS12_E_NS1_11comp_targetILNS1_3genE9ELNS1_11target_archE1100ELNS1_3gpuE3ELNS1_3repE0EEENS1_48merge_mergepath_partition_config_static_selectorELNS0_4arch9wavefront6targetE0EEEvSO_
		.amdhsa_group_segment_fixed_size 0
		.amdhsa_private_segment_fixed_size 0
		.amdhsa_kernarg_size 40
		.amdhsa_user_sgpr_count 2
		.amdhsa_user_sgpr_dispatch_ptr 0
		.amdhsa_user_sgpr_queue_ptr 0
		.amdhsa_user_sgpr_kernarg_segment_ptr 1
		.amdhsa_user_sgpr_dispatch_id 0
		.amdhsa_user_sgpr_kernarg_preload_length 0
		.amdhsa_user_sgpr_kernarg_preload_offset 0
		.amdhsa_user_sgpr_private_segment_size 0
		.amdhsa_wavefront_size32 1
		.amdhsa_uses_dynamic_stack 0
		.amdhsa_enable_private_segment 0
		.amdhsa_system_sgpr_workgroup_id_x 1
		.amdhsa_system_sgpr_workgroup_id_y 0
		.amdhsa_system_sgpr_workgroup_id_z 0
		.amdhsa_system_sgpr_workgroup_info 0
		.amdhsa_system_vgpr_workitem_id 0
		.amdhsa_next_free_vgpr 1
		.amdhsa_next_free_sgpr 1
		.amdhsa_named_barrier_count 0
		.amdhsa_reserve_vcc 0
		.amdhsa_float_round_mode_32 0
		.amdhsa_float_round_mode_16_64 0
		.amdhsa_float_denorm_mode_32 3
		.amdhsa_float_denorm_mode_16_64 3
		.amdhsa_fp16_overflow 0
		.amdhsa_memory_ordered 1
		.amdhsa_forward_progress 1
		.amdhsa_inst_pref_size 0
		.amdhsa_round_robin_scheduling 0
		.amdhsa_exception_fp_ieee_invalid_op 0
		.amdhsa_exception_fp_denorm_src 0
		.amdhsa_exception_fp_ieee_div_zero 0
		.amdhsa_exception_fp_ieee_overflow 0
		.amdhsa_exception_fp_ieee_underflow 0
		.amdhsa_exception_fp_ieee_inexact 0
		.amdhsa_exception_int_div_zero 0
	.end_amdhsa_kernel
	.section	.text._ZN7rocprim17ROCPRIM_400000_NS6detail17trampoline_kernelINS0_14default_configENS1_38merge_sort_block_merge_config_selectorIjN6thrust23THRUST_200600_302600_NS5tupleIffNS6_9null_typeES8_S8_S8_S8_S8_S8_S8_EEEEZZNS1_27merge_sort_block_merge_implIS3_NS6_6detail15normal_iteratorINS6_10device_ptrIjEEEENSD_INSE_IS9_EEEEjNS1_19radix_merge_compareILb0ELb1EjNS0_19identity_decomposerEEEEE10hipError_tT0_T1_T2_jT3_P12ihipStream_tbPNSt15iterator_traitsISN_E10value_typeEPNST_ISO_E10value_typeEPSP_NS1_7vsmem_tEENKUlT_SN_SO_SP_E_clIPjSG_PS9_SI_EESM_S12_SN_SO_SP_EUlS12_E_NS1_11comp_targetILNS1_3genE9ELNS1_11target_archE1100ELNS1_3gpuE3ELNS1_3repE0EEENS1_48merge_mergepath_partition_config_static_selectorELNS0_4arch9wavefront6targetE0EEEvSO_,"axG",@progbits,_ZN7rocprim17ROCPRIM_400000_NS6detail17trampoline_kernelINS0_14default_configENS1_38merge_sort_block_merge_config_selectorIjN6thrust23THRUST_200600_302600_NS5tupleIffNS6_9null_typeES8_S8_S8_S8_S8_S8_S8_EEEEZZNS1_27merge_sort_block_merge_implIS3_NS6_6detail15normal_iteratorINS6_10device_ptrIjEEEENSD_INSE_IS9_EEEEjNS1_19radix_merge_compareILb0ELb1EjNS0_19identity_decomposerEEEEE10hipError_tT0_T1_T2_jT3_P12ihipStream_tbPNSt15iterator_traitsISN_E10value_typeEPNST_ISO_E10value_typeEPSP_NS1_7vsmem_tEENKUlT_SN_SO_SP_E_clIPjSG_PS9_SI_EESM_S12_SN_SO_SP_EUlS12_E_NS1_11comp_targetILNS1_3genE9ELNS1_11target_archE1100ELNS1_3gpuE3ELNS1_3repE0EEENS1_48merge_mergepath_partition_config_static_selectorELNS0_4arch9wavefront6targetE0EEEvSO_,comdat
.Lfunc_end97:
	.size	_ZN7rocprim17ROCPRIM_400000_NS6detail17trampoline_kernelINS0_14default_configENS1_38merge_sort_block_merge_config_selectorIjN6thrust23THRUST_200600_302600_NS5tupleIffNS6_9null_typeES8_S8_S8_S8_S8_S8_S8_EEEEZZNS1_27merge_sort_block_merge_implIS3_NS6_6detail15normal_iteratorINS6_10device_ptrIjEEEENSD_INSE_IS9_EEEEjNS1_19radix_merge_compareILb0ELb1EjNS0_19identity_decomposerEEEEE10hipError_tT0_T1_T2_jT3_P12ihipStream_tbPNSt15iterator_traitsISN_E10value_typeEPNST_ISO_E10value_typeEPSP_NS1_7vsmem_tEENKUlT_SN_SO_SP_E_clIPjSG_PS9_SI_EESM_S12_SN_SO_SP_EUlS12_E_NS1_11comp_targetILNS1_3genE9ELNS1_11target_archE1100ELNS1_3gpuE3ELNS1_3repE0EEENS1_48merge_mergepath_partition_config_static_selectorELNS0_4arch9wavefront6targetE0EEEvSO_, .Lfunc_end97-_ZN7rocprim17ROCPRIM_400000_NS6detail17trampoline_kernelINS0_14default_configENS1_38merge_sort_block_merge_config_selectorIjN6thrust23THRUST_200600_302600_NS5tupleIffNS6_9null_typeES8_S8_S8_S8_S8_S8_S8_EEEEZZNS1_27merge_sort_block_merge_implIS3_NS6_6detail15normal_iteratorINS6_10device_ptrIjEEEENSD_INSE_IS9_EEEEjNS1_19radix_merge_compareILb0ELb1EjNS0_19identity_decomposerEEEEE10hipError_tT0_T1_T2_jT3_P12ihipStream_tbPNSt15iterator_traitsISN_E10value_typeEPNST_ISO_E10value_typeEPSP_NS1_7vsmem_tEENKUlT_SN_SO_SP_E_clIPjSG_PS9_SI_EESM_S12_SN_SO_SP_EUlS12_E_NS1_11comp_targetILNS1_3genE9ELNS1_11target_archE1100ELNS1_3gpuE3ELNS1_3repE0EEENS1_48merge_mergepath_partition_config_static_selectorELNS0_4arch9wavefront6targetE0EEEvSO_
                                        ; -- End function
	.set _ZN7rocprim17ROCPRIM_400000_NS6detail17trampoline_kernelINS0_14default_configENS1_38merge_sort_block_merge_config_selectorIjN6thrust23THRUST_200600_302600_NS5tupleIffNS6_9null_typeES8_S8_S8_S8_S8_S8_S8_EEEEZZNS1_27merge_sort_block_merge_implIS3_NS6_6detail15normal_iteratorINS6_10device_ptrIjEEEENSD_INSE_IS9_EEEEjNS1_19radix_merge_compareILb0ELb1EjNS0_19identity_decomposerEEEEE10hipError_tT0_T1_T2_jT3_P12ihipStream_tbPNSt15iterator_traitsISN_E10value_typeEPNST_ISO_E10value_typeEPSP_NS1_7vsmem_tEENKUlT_SN_SO_SP_E_clIPjSG_PS9_SI_EESM_S12_SN_SO_SP_EUlS12_E_NS1_11comp_targetILNS1_3genE9ELNS1_11target_archE1100ELNS1_3gpuE3ELNS1_3repE0EEENS1_48merge_mergepath_partition_config_static_selectorELNS0_4arch9wavefront6targetE0EEEvSO_.num_vgpr, 0
	.set _ZN7rocprim17ROCPRIM_400000_NS6detail17trampoline_kernelINS0_14default_configENS1_38merge_sort_block_merge_config_selectorIjN6thrust23THRUST_200600_302600_NS5tupleIffNS6_9null_typeES8_S8_S8_S8_S8_S8_S8_EEEEZZNS1_27merge_sort_block_merge_implIS3_NS6_6detail15normal_iteratorINS6_10device_ptrIjEEEENSD_INSE_IS9_EEEEjNS1_19radix_merge_compareILb0ELb1EjNS0_19identity_decomposerEEEEE10hipError_tT0_T1_T2_jT3_P12ihipStream_tbPNSt15iterator_traitsISN_E10value_typeEPNST_ISO_E10value_typeEPSP_NS1_7vsmem_tEENKUlT_SN_SO_SP_E_clIPjSG_PS9_SI_EESM_S12_SN_SO_SP_EUlS12_E_NS1_11comp_targetILNS1_3genE9ELNS1_11target_archE1100ELNS1_3gpuE3ELNS1_3repE0EEENS1_48merge_mergepath_partition_config_static_selectorELNS0_4arch9wavefront6targetE0EEEvSO_.num_agpr, 0
	.set _ZN7rocprim17ROCPRIM_400000_NS6detail17trampoline_kernelINS0_14default_configENS1_38merge_sort_block_merge_config_selectorIjN6thrust23THRUST_200600_302600_NS5tupleIffNS6_9null_typeES8_S8_S8_S8_S8_S8_S8_EEEEZZNS1_27merge_sort_block_merge_implIS3_NS6_6detail15normal_iteratorINS6_10device_ptrIjEEEENSD_INSE_IS9_EEEEjNS1_19radix_merge_compareILb0ELb1EjNS0_19identity_decomposerEEEEE10hipError_tT0_T1_T2_jT3_P12ihipStream_tbPNSt15iterator_traitsISN_E10value_typeEPNST_ISO_E10value_typeEPSP_NS1_7vsmem_tEENKUlT_SN_SO_SP_E_clIPjSG_PS9_SI_EESM_S12_SN_SO_SP_EUlS12_E_NS1_11comp_targetILNS1_3genE9ELNS1_11target_archE1100ELNS1_3gpuE3ELNS1_3repE0EEENS1_48merge_mergepath_partition_config_static_selectorELNS0_4arch9wavefront6targetE0EEEvSO_.numbered_sgpr, 0
	.set _ZN7rocprim17ROCPRIM_400000_NS6detail17trampoline_kernelINS0_14default_configENS1_38merge_sort_block_merge_config_selectorIjN6thrust23THRUST_200600_302600_NS5tupleIffNS6_9null_typeES8_S8_S8_S8_S8_S8_S8_EEEEZZNS1_27merge_sort_block_merge_implIS3_NS6_6detail15normal_iteratorINS6_10device_ptrIjEEEENSD_INSE_IS9_EEEEjNS1_19radix_merge_compareILb0ELb1EjNS0_19identity_decomposerEEEEE10hipError_tT0_T1_T2_jT3_P12ihipStream_tbPNSt15iterator_traitsISN_E10value_typeEPNST_ISO_E10value_typeEPSP_NS1_7vsmem_tEENKUlT_SN_SO_SP_E_clIPjSG_PS9_SI_EESM_S12_SN_SO_SP_EUlS12_E_NS1_11comp_targetILNS1_3genE9ELNS1_11target_archE1100ELNS1_3gpuE3ELNS1_3repE0EEENS1_48merge_mergepath_partition_config_static_selectorELNS0_4arch9wavefront6targetE0EEEvSO_.num_named_barrier, 0
	.set _ZN7rocprim17ROCPRIM_400000_NS6detail17trampoline_kernelINS0_14default_configENS1_38merge_sort_block_merge_config_selectorIjN6thrust23THRUST_200600_302600_NS5tupleIffNS6_9null_typeES8_S8_S8_S8_S8_S8_S8_EEEEZZNS1_27merge_sort_block_merge_implIS3_NS6_6detail15normal_iteratorINS6_10device_ptrIjEEEENSD_INSE_IS9_EEEEjNS1_19radix_merge_compareILb0ELb1EjNS0_19identity_decomposerEEEEE10hipError_tT0_T1_T2_jT3_P12ihipStream_tbPNSt15iterator_traitsISN_E10value_typeEPNST_ISO_E10value_typeEPSP_NS1_7vsmem_tEENKUlT_SN_SO_SP_E_clIPjSG_PS9_SI_EESM_S12_SN_SO_SP_EUlS12_E_NS1_11comp_targetILNS1_3genE9ELNS1_11target_archE1100ELNS1_3gpuE3ELNS1_3repE0EEENS1_48merge_mergepath_partition_config_static_selectorELNS0_4arch9wavefront6targetE0EEEvSO_.private_seg_size, 0
	.set _ZN7rocprim17ROCPRIM_400000_NS6detail17trampoline_kernelINS0_14default_configENS1_38merge_sort_block_merge_config_selectorIjN6thrust23THRUST_200600_302600_NS5tupleIffNS6_9null_typeES8_S8_S8_S8_S8_S8_S8_EEEEZZNS1_27merge_sort_block_merge_implIS3_NS6_6detail15normal_iteratorINS6_10device_ptrIjEEEENSD_INSE_IS9_EEEEjNS1_19radix_merge_compareILb0ELb1EjNS0_19identity_decomposerEEEEE10hipError_tT0_T1_T2_jT3_P12ihipStream_tbPNSt15iterator_traitsISN_E10value_typeEPNST_ISO_E10value_typeEPSP_NS1_7vsmem_tEENKUlT_SN_SO_SP_E_clIPjSG_PS9_SI_EESM_S12_SN_SO_SP_EUlS12_E_NS1_11comp_targetILNS1_3genE9ELNS1_11target_archE1100ELNS1_3gpuE3ELNS1_3repE0EEENS1_48merge_mergepath_partition_config_static_selectorELNS0_4arch9wavefront6targetE0EEEvSO_.uses_vcc, 0
	.set _ZN7rocprim17ROCPRIM_400000_NS6detail17trampoline_kernelINS0_14default_configENS1_38merge_sort_block_merge_config_selectorIjN6thrust23THRUST_200600_302600_NS5tupleIffNS6_9null_typeES8_S8_S8_S8_S8_S8_S8_EEEEZZNS1_27merge_sort_block_merge_implIS3_NS6_6detail15normal_iteratorINS6_10device_ptrIjEEEENSD_INSE_IS9_EEEEjNS1_19radix_merge_compareILb0ELb1EjNS0_19identity_decomposerEEEEE10hipError_tT0_T1_T2_jT3_P12ihipStream_tbPNSt15iterator_traitsISN_E10value_typeEPNST_ISO_E10value_typeEPSP_NS1_7vsmem_tEENKUlT_SN_SO_SP_E_clIPjSG_PS9_SI_EESM_S12_SN_SO_SP_EUlS12_E_NS1_11comp_targetILNS1_3genE9ELNS1_11target_archE1100ELNS1_3gpuE3ELNS1_3repE0EEENS1_48merge_mergepath_partition_config_static_selectorELNS0_4arch9wavefront6targetE0EEEvSO_.uses_flat_scratch, 0
	.set _ZN7rocprim17ROCPRIM_400000_NS6detail17trampoline_kernelINS0_14default_configENS1_38merge_sort_block_merge_config_selectorIjN6thrust23THRUST_200600_302600_NS5tupleIffNS6_9null_typeES8_S8_S8_S8_S8_S8_S8_EEEEZZNS1_27merge_sort_block_merge_implIS3_NS6_6detail15normal_iteratorINS6_10device_ptrIjEEEENSD_INSE_IS9_EEEEjNS1_19radix_merge_compareILb0ELb1EjNS0_19identity_decomposerEEEEE10hipError_tT0_T1_T2_jT3_P12ihipStream_tbPNSt15iterator_traitsISN_E10value_typeEPNST_ISO_E10value_typeEPSP_NS1_7vsmem_tEENKUlT_SN_SO_SP_E_clIPjSG_PS9_SI_EESM_S12_SN_SO_SP_EUlS12_E_NS1_11comp_targetILNS1_3genE9ELNS1_11target_archE1100ELNS1_3gpuE3ELNS1_3repE0EEENS1_48merge_mergepath_partition_config_static_selectorELNS0_4arch9wavefront6targetE0EEEvSO_.has_dyn_sized_stack, 0
	.set _ZN7rocprim17ROCPRIM_400000_NS6detail17trampoline_kernelINS0_14default_configENS1_38merge_sort_block_merge_config_selectorIjN6thrust23THRUST_200600_302600_NS5tupleIffNS6_9null_typeES8_S8_S8_S8_S8_S8_S8_EEEEZZNS1_27merge_sort_block_merge_implIS3_NS6_6detail15normal_iteratorINS6_10device_ptrIjEEEENSD_INSE_IS9_EEEEjNS1_19radix_merge_compareILb0ELb1EjNS0_19identity_decomposerEEEEE10hipError_tT0_T1_T2_jT3_P12ihipStream_tbPNSt15iterator_traitsISN_E10value_typeEPNST_ISO_E10value_typeEPSP_NS1_7vsmem_tEENKUlT_SN_SO_SP_E_clIPjSG_PS9_SI_EESM_S12_SN_SO_SP_EUlS12_E_NS1_11comp_targetILNS1_3genE9ELNS1_11target_archE1100ELNS1_3gpuE3ELNS1_3repE0EEENS1_48merge_mergepath_partition_config_static_selectorELNS0_4arch9wavefront6targetE0EEEvSO_.has_recursion, 0
	.set _ZN7rocprim17ROCPRIM_400000_NS6detail17trampoline_kernelINS0_14default_configENS1_38merge_sort_block_merge_config_selectorIjN6thrust23THRUST_200600_302600_NS5tupleIffNS6_9null_typeES8_S8_S8_S8_S8_S8_S8_EEEEZZNS1_27merge_sort_block_merge_implIS3_NS6_6detail15normal_iteratorINS6_10device_ptrIjEEEENSD_INSE_IS9_EEEEjNS1_19radix_merge_compareILb0ELb1EjNS0_19identity_decomposerEEEEE10hipError_tT0_T1_T2_jT3_P12ihipStream_tbPNSt15iterator_traitsISN_E10value_typeEPNST_ISO_E10value_typeEPSP_NS1_7vsmem_tEENKUlT_SN_SO_SP_E_clIPjSG_PS9_SI_EESM_S12_SN_SO_SP_EUlS12_E_NS1_11comp_targetILNS1_3genE9ELNS1_11target_archE1100ELNS1_3gpuE3ELNS1_3repE0EEENS1_48merge_mergepath_partition_config_static_selectorELNS0_4arch9wavefront6targetE0EEEvSO_.has_indirect_call, 0
	.section	.AMDGPU.csdata,"",@progbits
; Kernel info:
; codeLenInByte = 0
; TotalNumSgprs: 0
; NumVgprs: 0
; ScratchSize: 0
; MemoryBound: 0
; FloatMode: 240
; IeeeMode: 1
; LDSByteSize: 0 bytes/workgroup (compile time only)
; SGPRBlocks: 0
; VGPRBlocks: 0
; NumSGPRsForWavesPerEU: 1
; NumVGPRsForWavesPerEU: 1
; NamedBarCnt: 0
; Occupancy: 16
; WaveLimiterHint : 0
; COMPUTE_PGM_RSRC2:SCRATCH_EN: 0
; COMPUTE_PGM_RSRC2:USER_SGPR: 2
; COMPUTE_PGM_RSRC2:TRAP_HANDLER: 0
; COMPUTE_PGM_RSRC2:TGID_X_EN: 1
; COMPUTE_PGM_RSRC2:TGID_Y_EN: 0
; COMPUTE_PGM_RSRC2:TGID_Z_EN: 0
; COMPUTE_PGM_RSRC2:TIDIG_COMP_CNT: 0
	.section	.text._ZN7rocprim17ROCPRIM_400000_NS6detail17trampoline_kernelINS0_14default_configENS1_38merge_sort_block_merge_config_selectorIjN6thrust23THRUST_200600_302600_NS5tupleIffNS6_9null_typeES8_S8_S8_S8_S8_S8_S8_EEEEZZNS1_27merge_sort_block_merge_implIS3_NS6_6detail15normal_iteratorINS6_10device_ptrIjEEEENSD_INSE_IS9_EEEEjNS1_19radix_merge_compareILb0ELb1EjNS0_19identity_decomposerEEEEE10hipError_tT0_T1_T2_jT3_P12ihipStream_tbPNSt15iterator_traitsISN_E10value_typeEPNST_ISO_E10value_typeEPSP_NS1_7vsmem_tEENKUlT_SN_SO_SP_E_clIPjSG_PS9_SI_EESM_S12_SN_SO_SP_EUlS12_E_NS1_11comp_targetILNS1_3genE8ELNS1_11target_archE1030ELNS1_3gpuE2ELNS1_3repE0EEENS1_48merge_mergepath_partition_config_static_selectorELNS0_4arch9wavefront6targetE0EEEvSO_,"axG",@progbits,_ZN7rocprim17ROCPRIM_400000_NS6detail17trampoline_kernelINS0_14default_configENS1_38merge_sort_block_merge_config_selectorIjN6thrust23THRUST_200600_302600_NS5tupleIffNS6_9null_typeES8_S8_S8_S8_S8_S8_S8_EEEEZZNS1_27merge_sort_block_merge_implIS3_NS6_6detail15normal_iteratorINS6_10device_ptrIjEEEENSD_INSE_IS9_EEEEjNS1_19radix_merge_compareILb0ELb1EjNS0_19identity_decomposerEEEEE10hipError_tT0_T1_T2_jT3_P12ihipStream_tbPNSt15iterator_traitsISN_E10value_typeEPNST_ISO_E10value_typeEPSP_NS1_7vsmem_tEENKUlT_SN_SO_SP_E_clIPjSG_PS9_SI_EESM_S12_SN_SO_SP_EUlS12_E_NS1_11comp_targetILNS1_3genE8ELNS1_11target_archE1030ELNS1_3gpuE2ELNS1_3repE0EEENS1_48merge_mergepath_partition_config_static_selectorELNS0_4arch9wavefront6targetE0EEEvSO_,comdat
	.protected	_ZN7rocprim17ROCPRIM_400000_NS6detail17trampoline_kernelINS0_14default_configENS1_38merge_sort_block_merge_config_selectorIjN6thrust23THRUST_200600_302600_NS5tupleIffNS6_9null_typeES8_S8_S8_S8_S8_S8_S8_EEEEZZNS1_27merge_sort_block_merge_implIS3_NS6_6detail15normal_iteratorINS6_10device_ptrIjEEEENSD_INSE_IS9_EEEEjNS1_19radix_merge_compareILb0ELb1EjNS0_19identity_decomposerEEEEE10hipError_tT0_T1_T2_jT3_P12ihipStream_tbPNSt15iterator_traitsISN_E10value_typeEPNST_ISO_E10value_typeEPSP_NS1_7vsmem_tEENKUlT_SN_SO_SP_E_clIPjSG_PS9_SI_EESM_S12_SN_SO_SP_EUlS12_E_NS1_11comp_targetILNS1_3genE8ELNS1_11target_archE1030ELNS1_3gpuE2ELNS1_3repE0EEENS1_48merge_mergepath_partition_config_static_selectorELNS0_4arch9wavefront6targetE0EEEvSO_ ; -- Begin function _ZN7rocprim17ROCPRIM_400000_NS6detail17trampoline_kernelINS0_14default_configENS1_38merge_sort_block_merge_config_selectorIjN6thrust23THRUST_200600_302600_NS5tupleIffNS6_9null_typeES8_S8_S8_S8_S8_S8_S8_EEEEZZNS1_27merge_sort_block_merge_implIS3_NS6_6detail15normal_iteratorINS6_10device_ptrIjEEEENSD_INSE_IS9_EEEEjNS1_19radix_merge_compareILb0ELb1EjNS0_19identity_decomposerEEEEE10hipError_tT0_T1_T2_jT3_P12ihipStream_tbPNSt15iterator_traitsISN_E10value_typeEPNST_ISO_E10value_typeEPSP_NS1_7vsmem_tEENKUlT_SN_SO_SP_E_clIPjSG_PS9_SI_EESM_S12_SN_SO_SP_EUlS12_E_NS1_11comp_targetILNS1_3genE8ELNS1_11target_archE1030ELNS1_3gpuE2ELNS1_3repE0EEENS1_48merge_mergepath_partition_config_static_selectorELNS0_4arch9wavefront6targetE0EEEvSO_
	.globl	_ZN7rocprim17ROCPRIM_400000_NS6detail17trampoline_kernelINS0_14default_configENS1_38merge_sort_block_merge_config_selectorIjN6thrust23THRUST_200600_302600_NS5tupleIffNS6_9null_typeES8_S8_S8_S8_S8_S8_S8_EEEEZZNS1_27merge_sort_block_merge_implIS3_NS6_6detail15normal_iteratorINS6_10device_ptrIjEEEENSD_INSE_IS9_EEEEjNS1_19radix_merge_compareILb0ELb1EjNS0_19identity_decomposerEEEEE10hipError_tT0_T1_T2_jT3_P12ihipStream_tbPNSt15iterator_traitsISN_E10value_typeEPNST_ISO_E10value_typeEPSP_NS1_7vsmem_tEENKUlT_SN_SO_SP_E_clIPjSG_PS9_SI_EESM_S12_SN_SO_SP_EUlS12_E_NS1_11comp_targetILNS1_3genE8ELNS1_11target_archE1030ELNS1_3gpuE2ELNS1_3repE0EEENS1_48merge_mergepath_partition_config_static_selectorELNS0_4arch9wavefront6targetE0EEEvSO_
	.p2align	8
	.type	_ZN7rocprim17ROCPRIM_400000_NS6detail17trampoline_kernelINS0_14default_configENS1_38merge_sort_block_merge_config_selectorIjN6thrust23THRUST_200600_302600_NS5tupleIffNS6_9null_typeES8_S8_S8_S8_S8_S8_S8_EEEEZZNS1_27merge_sort_block_merge_implIS3_NS6_6detail15normal_iteratorINS6_10device_ptrIjEEEENSD_INSE_IS9_EEEEjNS1_19radix_merge_compareILb0ELb1EjNS0_19identity_decomposerEEEEE10hipError_tT0_T1_T2_jT3_P12ihipStream_tbPNSt15iterator_traitsISN_E10value_typeEPNST_ISO_E10value_typeEPSP_NS1_7vsmem_tEENKUlT_SN_SO_SP_E_clIPjSG_PS9_SI_EESM_S12_SN_SO_SP_EUlS12_E_NS1_11comp_targetILNS1_3genE8ELNS1_11target_archE1030ELNS1_3gpuE2ELNS1_3repE0EEENS1_48merge_mergepath_partition_config_static_selectorELNS0_4arch9wavefront6targetE0EEEvSO_,@function
_ZN7rocprim17ROCPRIM_400000_NS6detail17trampoline_kernelINS0_14default_configENS1_38merge_sort_block_merge_config_selectorIjN6thrust23THRUST_200600_302600_NS5tupleIffNS6_9null_typeES8_S8_S8_S8_S8_S8_S8_EEEEZZNS1_27merge_sort_block_merge_implIS3_NS6_6detail15normal_iteratorINS6_10device_ptrIjEEEENSD_INSE_IS9_EEEEjNS1_19radix_merge_compareILb0ELb1EjNS0_19identity_decomposerEEEEE10hipError_tT0_T1_T2_jT3_P12ihipStream_tbPNSt15iterator_traitsISN_E10value_typeEPNST_ISO_E10value_typeEPSP_NS1_7vsmem_tEENKUlT_SN_SO_SP_E_clIPjSG_PS9_SI_EESM_S12_SN_SO_SP_EUlS12_E_NS1_11comp_targetILNS1_3genE8ELNS1_11target_archE1030ELNS1_3gpuE2ELNS1_3repE0EEENS1_48merge_mergepath_partition_config_static_selectorELNS0_4arch9wavefront6targetE0EEEvSO_: ; @_ZN7rocprim17ROCPRIM_400000_NS6detail17trampoline_kernelINS0_14default_configENS1_38merge_sort_block_merge_config_selectorIjN6thrust23THRUST_200600_302600_NS5tupleIffNS6_9null_typeES8_S8_S8_S8_S8_S8_S8_EEEEZZNS1_27merge_sort_block_merge_implIS3_NS6_6detail15normal_iteratorINS6_10device_ptrIjEEEENSD_INSE_IS9_EEEEjNS1_19radix_merge_compareILb0ELb1EjNS0_19identity_decomposerEEEEE10hipError_tT0_T1_T2_jT3_P12ihipStream_tbPNSt15iterator_traitsISN_E10value_typeEPNST_ISO_E10value_typeEPSP_NS1_7vsmem_tEENKUlT_SN_SO_SP_E_clIPjSG_PS9_SI_EESM_S12_SN_SO_SP_EUlS12_E_NS1_11comp_targetILNS1_3genE8ELNS1_11target_archE1030ELNS1_3gpuE2ELNS1_3repE0EEENS1_48merge_mergepath_partition_config_static_selectorELNS0_4arch9wavefront6targetE0EEEvSO_
; %bb.0:
	.section	.rodata,"a",@progbits
	.p2align	6, 0x0
	.amdhsa_kernel _ZN7rocprim17ROCPRIM_400000_NS6detail17trampoline_kernelINS0_14default_configENS1_38merge_sort_block_merge_config_selectorIjN6thrust23THRUST_200600_302600_NS5tupleIffNS6_9null_typeES8_S8_S8_S8_S8_S8_S8_EEEEZZNS1_27merge_sort_block_merge_implIS3_NS6_6detail15normal_iteratorINS6_10device_ptrIjEEEENSD_INSE_IS9_EEEEjNS1_19radix_merge_compareILb0ELb1EjNS0_19identity_decomposerEEEEE10hipError_tT0_T1_T2_jT3_P12ihipStream_tbPNSt15iterator_traitsISN_E10value_typeEPNST_ISO_E10value_typeEPSP_NS1_7vsmem_tEENKUlT_SN_SO_SP_E_clIPjSG_PS9_SI_EESM_S12_SN_SO_SP_EUlS12_E_NS1_11comp_targetILNS1_3genE8ELNS1_11target_archE1030ELNS1_3gpuE2ELNS1_3repE0EEENS1_48merge_mergepath_partition_config_static_selectorELNS0_4arch9wavefront6targetE0EEEvSO_
		.amdhsa_group_segment_fixed_size 0
		.amdhsa_private_segment_fixed_size 0
		.amdhsa_kernarg_size 40
		.amdhsa_user_sgpr_count 2
		.amdhsa_user_sgpr_dispatch_ptr 0
		.amdhsa_user_sgpr_queue_ptr 0
		.amdhsa_user_sgpr_kernarg_segment_ptr 1
		.amdhsa_user_sgpr_dispatch_id 0
		.amdhsa_user_sgpr_kernarg_preload_length 0
		.amdhsa_user_sgpr_kernarg_preload_offset 0
		.amdhsa_user_sgpr_private_segment_size 0
		.amdhsa_wavefront_size32 1
		.amdhsa_uses_dynamic_stack 0
		.amdhsa_enable_private_segment 0
		.amdhsa_system_sgpr_workgroup_id_x 1
		.amdhsa_system_sgpr_workgroup_id_y 0
		.amdhsa_system_sgpr_workgroup_id_z 0
		.amdhsa_system_sgpr_workgroup_info 0
		.amdhsa_system_vgpr_workitem_id 0
		.amdhsa_next_free_vgpr 1
		.amdhsa_next_free_sgpr 1
		.amdhsa_named_barrier_count 0
		.amdhsa_reserve_vcc 0
		.amdhsa_float_round_mode_32 0
		.amdhsa_float_round_mode_16_64 0
		.amdhsa_float_denorm_mode_32 3
		.amdhsa_float_denorm_mode_16_64 3
		.amdhsa_fp16_overflow 0
		.amdhsa_memory_ordered 1
		.amdhsa_forward_progress 1
		.amdhsa_inst_pref_size 0
		.amdhsa_round_robin_scheduling 0
		.amdhsa_exception_fp_ieee_invalid_op 0
		.amdhsa_exception_fp_denorm_src 0
		.amdhsa_exception_fp_ieee_div_zero 0
		.amdhsa_exception_fp_ieee_overflow 0
		.amdhsa_exception_fp_ieee_underflow 0
		.amdhsa_exception_fp_ieee_inexact 0
		.amdhsa_exception_int_div_zero 0
	.end_amdhsa_kernel
	.section	.text._ZN7rocprim17ROCPRIM_400000_NS6detail17trampoline_kernelINS0_14default_configENS1_38merge_sort_block_merge_config_selectorIjN6thrust23THRUST_200600_302600_NS5tupleIffNS6_9null_typeES8_S8_S8_S8_S8_S8_S8_EEEEZZNS1_27merge_sort_block_merge_implIS3_NS6_6detail15normal_iteratorINS6_10device_ptrIjEEEENSD_INSE_IS9_EEEEjNS1_19radix_merge_compareILb0ELb1EjNS0_19identity_decomposerEEEEE10hipError_tT0_T1_T2_jT3_P12ihipStream_tbPNSt15iterator_traitsISN_E10value_typeEPNST_ISO_E10value_typeEPSP_NS1_7vsmem_tEENKUlT_SN_SO_SP_E_clIPjSG_PS9_SI_EESM_S12_SN_SO_SP_EUlS12_E_NS1_11comp_targetILNS1_3genE8ELNS1_11target_archE1030ELNS1_3gpuE2ELNS1_3repE0EEENS1_48merge_mergepath_partition_config_static_selectorELNS0_4arch9wavefront6targetE0EEEvSO_,"axG",@progbits,_ZN7rocprim17ROCPRIM_400000_NS6detail17trampoline_kernelINS0_14default_configENS1_38merge_sort_block_merge_config_selectorIjN6thrust23THRUST_200600_302600_NS5tupleIffNS6_9null_typeES8_S8_S8_S8_S8_S8_S8_EEEEZZNS1_27merge_sort_block_merge_implIS3_NS6_6detail15normal_iteratorINS6_10device_ptrIjEEEENSD_INSE_IS9_EEEEjNS1_19radix_merge_compareILb0ELb1EjNS0_19identity_decomposerEEEEE10hipError_tT0_T1_T2_jT3_P12ihipStream_tbPNSt15iterator_traitsISN_E10value_typeEPNST_ISO_E10value_typeEPSP_NS1_7vsmem_tEENKUlT_SN_SO_SP_E_clIPjSG_PS9_SI_EESM_S12_SN_SO_SP_EUlS12_E_NS1_11comp_targetILNS1_3genE8ELNS1_11target_archE1030ELNS1_3gpuE2ELNS1_3repE0EEENS1_48merge_mergepath_partition_config_static_selectorELNS0_4arch9wavefront6targetE0EEEvSO_,comdat
.Lfunc_end98:
	.size	_ZN7rocprim17ROCPRIM_400000_NS6detail17trampoline_kernelINS0_14default_configENS1_38merge_sort_block_merge_config_selectorIjN6thrust23THRUST_200600_302600_NS5tupleIffNS6_9null_typeES8_S8_S8_S8_S8_S8_S8_EEEEZZNS1_27merge_sort_block_merge_implIS3_NS6_6detail15normal_iteratorINS6_10device_ptrIjEEEENSD_INSE_IS9_EEEEjNS1_19radix_merge_compareILb0ELb1EjNS0_19identity_decomposerEEEEE10hipError_tT0_T1_T2_jT3_P12ihipStream_tbPNSt15iterator_traitsISN_E10value_typeEPNST_ISO_E10value_typeEPSP_NS1_7vsmem_tEENKUlT_SN_SO_SP_E_clIPjSG_PS9_SI_EESM_S12_SN_SO_SP_EUlS12_E_NS1_11comp_targetILNS1_3genE8ELNS1_11target_archE1030ELNS1_3gpuE2ELNS1_3repE0EEENS1_48merge_mergepath_partition_config_static_selectorELNS0_4arch9wavefront6targetE0EEEvSO_, .Lfunc_end98-_ZN7rocprim17ROCPRIM_400000_NS6detail17trampoline_kernelINS0_14default_configENS1_38merge_sort_block_merge_config_selectorIjN6thrust23THRUST_200600_302600_NS5tupleIffNS6_9null_typeES8_S8_S8_S8_S8_S8_S8_EEEEZZNS1_27merge_sort_block_merge_implIS3_NS6_6detail15normal_iteratorINS6_10device_ptrIjEEEENSD_INSE_IS9_EEEEjNS1_19radix_merge_compareILb0ELb1EjNS0_19identity_decomposerEEEEE10hipError_tT0_T1_T2_jT3_P12ihipStream_tbPNSt15iterator_traitsISN_E10value_typeEPNST_ISO_E10value_typeEPSP_NS1_7vsmem_tEENKUlT_SN_SO_SP_E_clIPjSG_PS9_SI_EESM_S12_SN_SO_SP_EUlS12_E_NS1_11comp_targetILNS1_3genE8ELNS1_11target_archE1030ELNS1_3gpuE2ELNS1_3repE0EEENS1_48merge_mergepath_partition_config_static_selectorELNS0_4arch9wavefront6targetE0EEEvSO_
                                        ; -- End function
	.set _ZN7rocprim17ROCPRIM_400000_NS6detail17trampoline_kernelINS0_14default_configENS1_38merge_sort_block_merge_config_selectorIjN6thrust23THRUST_200600_302600_NS5tupleIffNS6_9null_typeES8_S8_S8_S8_S8_S8_S8_EEEEZZNS1_27merge_sort_block_merge_implIS3_NS6_6detail15normal_iteratorINS6_10device_ptrIjEEEENSD_INSE_IS9_EEEEjNS1_19radix_merge_compareILb0ELb1EjNS0_19identity_decomposerEEEEE10hipError_tT0_T1_T2_jT3_P12ihipStream_tbPNSt15iterator_traitsISN_E10value_typeEPNST_ISO_E10value_typeEPSP_NS1_7vsmem_tEENKUlT_SN_SO_SP_E_clIPjSG_PS9_SI_EESM_S12_SN_SO_SP_EUlS12_E_NS1_11comp_targetILNS1_3genE8ELNS1_11target_archE1030ELNS1_3gpuE2ELNS1_3repE0EEENS1_48merge_mergepath_partition_config_static_selectorELNS0_4arch9wavefront6targetE0EEEvSO_.num_vgpr, 0
	.set _ZN7rocprim17ROCPRIM_400000_NS6detail17trampoline_kernelINS0_14default_configENS1_38merge_sort_block_merge_config_selectorIjN6thrust23THRUST_200600_302600_NS5tupleIffNS6_9null_typeES8_S8_S8_S8_S8_S8_S8_EEEEZZNS1_27merge_sort_block_merge_implIS3_NS6_6detail15normal_iteratorINS6_10device_ptrIjEEEENSD_INSE_IS9_EEEEjNS1_19radix_merge_compareILb0ELb1EjNS0_19identity_decomposerEEEEE10hipError_tT0_T1_T2_jT3_P12ihipStream_tbPNSt15iterator_traitsISN_E10value_typeEPNST_ISO_E10value_typeEPSP_NS1_7vsmem_tEENKUlT_SN_SO_SP_E_clIPjSG_PS9_SI_EESM_S12_SN_SO_SP_EUlS12_E_NS1_11comp_targetILNS1_3genE8ELNS1_11target_archE1030ELNS1_3gpuE2ELNS1_3repE0EEENS1_48merge_mergepath_partition_config_static_selectorELNS0_4arch9wavefront6targetE0EEEvSO_.num_agpr, 0
	.set _ZN7rocprim17ROCPRIM_400000_NS6detail17trampoline_kernelINS0_14default_configENS1_38merge_sort_block_merge_config_selectorIjN6thrust23THRUST_200600_302600_NS5tupleIffNS6_9null_typeES8_S8_S8_S8_S8_S8_S8_EEEEZZNS1_27merge_sort_block_merge_implIS3_NS6_6detail15normal_iteratorINS6_10device_ptrIjEEEENSD_INSE_IS9_EEEEjNS1_19radix_merge_compareILb0ELb1EjNS0_19identity_decomposerEEEEE10hipError_tT0_T1_T2_jT3_P12ihipStream_tbPNSt15iterator_traitsISN_E10value_typeEPNST_ISO_E10value_typeEPSP_NS1_7vsmem_tEENKUlT_SN_SO_SP_E_clIPjSG_PS9_SI_EESM_S12_SN_SO_SP_EUlS12_E_NS1_11comp_targetILNS1_3genE8ELNS1_11target_archE1030ELNS1_3gpuE2ELNS1_3repE0EEENS1_48merge_mergepath_partition_config_static_selectorELNS0_4arch9wavefront6targetE0EEEvSO_.numbered_sgpr, 0
	.set _ZN7rocprim17ROCPRIM_400000_NS6detail17trampoline_kernelINS0_14default_configENS1_38merge_sort_block_merge_config_selectorIjN6thrust23THRUST_200600_302600_NS5tupleIffNS6_9null_typeES8_S8_S8_S8_S8_S8_S8_EEEEZZNS1_27merge_sort_block_merge_implIS3_NS6_6detail15normal_iteratorINS6_10device_ptrIjEEEENSD_INSE_IS9_EEEEjNS1_19radix_merge_compareILb0ELb1EjNS0_19identity_decomposerEEEEE10hipError_tT0_T1_T2_jT3_P12ihipStream_tbPNSt15iterator_traitsISN_E10value_typeEPNST_ISO_E10value_typeEPSP_NS1_7vsmem_tEENKUlT_SN_SO_SP_E_clIPjSG_PS9_SI_EESM_S12_SN_SO_SP_EUlS12_E_NS1_11comp_targetILNS1_3genE8ELNS1_11target_archE1030ELNS1_3gpuE2ELNS1_3repE0EEENS1_48merge_mergepath_partition_config_static_selectorELNS0_4arch9wavefront6targetE0EEEvSO_.num_named_barrier, 0
	.set _ZN7rocprim17ROCPRIM_400000_NS6detail17trampoline_kernelINS0_14default_configENS1_38merge_sort_block_merge_config_selectorIjN6thrust23THRUST_200600_302600_NS5tupleIffNS6_9null_typeES8_S8_S8_S8_S8_S8_S8_EEEEZZNS1_27merge_sort_block_merge_implIS3_NS6_6detail15normal_iteratorINS6_10device_ptrIjEEEENSD_INSE_IS9_EEEEjNS1_19radix_merge_compareILb0ELb1EjNS0_19identity_decomposerEEEEE10hipError_tT0_T1_T2_jT3_P12ihipStream_tbPNSt15iterator_traitsISN_E10value_typeEPNST_ISO_E10value_typeEPSP_NS1_7vsmem_tEENKUlT_SN_SO_SP_E_clIPjSG_PS9_SI_EESM_S12_SN_SO_SP_EUlS12_E_NS1_11comp_targetILNS1_3genE8ELNS1_11target_archE1030ELNS1_3gpuE2ELNS1_3repE0EEENS1_48merge_mergepath_partition_config_static_selectorELNS0_4arch9wavefront6targetE0EEEvSO_.private_seg_size, 0
	.set _ZN7rocprim17ROCPRIM_400000_NS6detail17trampoline_kernelINS0_14default_configENS1_38merge_sort_block_merge_config_selectorIjN6thrust23THRUST_200600_302600_NS5tupleIffNS6_9null_typeES8_S8_S8_S8_S8_S8_S8_EEEEZZNS1_27merge_sort_block_merge_implIS3_NS6_6detail15normal_iteratorINS6_10device_ptrIjEEEENSD_INSE_IS9_EEEEjNS1_19radix_merge_compareILb0ELb1EjNS0_19identity_decomposerEEEEE10hipError_tT0_T1_T2_jT3_P12ihipStream_tbPNSt15iterator_traitsISN_E10value_typeEPNST_ISO_E10value_typeEPSP_NS1_7vsmem_tEENKUlT_SN_SO_SP_E_clIPjSG_PS9_SI_EESM_S12_SN_SO_SP_EUlS12_E_NS1_11comp_targetILNS1_3genE8ELNS1_11target_archE1030ELNS1_3gpuE2ELNS1_3repE0EEENS1_48merge_mergepath_partition_config_static_selectorELNS0_4arch9wavefront6targetE0EEEvSO_.uses_vcc, 0
	.set _ZN7rocprim17ROCPRIM_400000_NS6detail17trampoline_kernelINS0_14default_configENS1_38merge_sort_block_merge_config_selectorIjN6thrust23THRUST_200600_302600_NS5tupleIffNS6_9null_typeES8_S8_S8_S8_S8_S8_S8_EEEEZZNS1_27merge_sort_block_merge_implIS3_NS6_6detail15normal_iteratorINS6_10device_ptrIjEEEENSD_INSE_IS9_EEEEjNS1_19radix_merge_compareILb0ELb1EjNS0_19identity_decomposerEEEEE10hipError_tT0_T1_T2_jT3_P12ihipStream_tbPNSt15iterator_traitsISN_E10value_typeEPNST_ISO_E10value_typeEPSP_NS1_7vsmem_tEENKUlT_SN_SO_SP_E_clIPjSG_PS9_SI_EESM_S12_SN_SO_SP_EUlS12_E_NS1_11comp_targetILNS1_3genE8ELNS1_11target_archE1030ELNS1_3gpuE2ELNS1_3repE0EEENS1_48merge_mergepath_partition_config_static_selectorELNS0_4arch9wavefront6targetE0EEEvSO_.uses_flat_scratch, 0
	.set _ZN7rocprim17ROCPRIM_400000_NS6detail17trampoline_kernelINS0_14default_configENS1_38merge_sort_block_merge_config_selectorIjN6thrust23THRUST_200600_302600_NS5tupleIffNS6_9null_typeES8_S8_S8_S8_S8_S8_S8_EEEEZZNS1_27merge_sort_block_merge_implIS3_NS6_6detail15normal_iteratorINS6_10device_ptrIjEEEENSD_INSE_IS9_EEEEjNS1_19radix_merge_compareILb0ELb1EjNS0_19identity_decomposerEEEEE10hipError_tT0_T1_T2_jT3_P12ihipStream_tbPNSt15iterator_traitsISN_E10value_typeEPNST_ISO_E10value_typeEPSP_NS1_7vsmem_tEENKUlT_SN_SO_SP_E_clIPjSG_PS9_SI_EESM_S12_SN_SO_SP_EUlS12_E_NS1_11comp_targetILNS1_3genE8ELNS1_11target_archE1030ELNS1_3gpuE2ELNS1_3repE0EEENS1_48merge_mergepath_partition_config_static_selectorELNS0_4arch9wavefront6targetE0EEEvSO_.has_dyn_sized_stack, 0
	.set _ZN7rocprim17ROCPRIM_400000_NS6detail17trampoline_kernelINS0_14default_configENS1_38merge_sort_block_merge_config_selectorIjN6thrust23THRUST_200600_302600_NS5tupleIffNS6_9null_typeES8_S8_S8_S8_S8_S8_S8_EEEEZZNS1_27merge_sort_block_merge_implIS3_NS6_6detail15normal_iteratorINS6_10device_ptrIjEEEENSD_INSE_IS9_EEEEjNS1_19radix_merge_compareILb0ELb1EjNS0_19identity_decomposerEEEEE10hipError_tT0_T1_T2_jT3_P12ihipStream_tbPNSt15iterator_traitsISN_E10value_typeEPNST_ISO_E10value_typeEPSP_NS1_7vsmem_tEENKUlT_SN_SO_SP_E_clIPjSG_PS9_SI_EESM_S12_SN_SO_SP_EUlS12_E_NS1_11comp_targetILNS1_3genE8ELNS1_11target_archE1030ELNS1_3gpuE2ELNS1_3repE0EEENS1_48merge_mergepath_partition_config_static_selectorELNS0_4arch9wavefront6targetE0EEEvSO_.has_recursion, 0
	.set _ZN7rocprim17ROCPRIM_400000_NS6detail17trampoline_kernelINS0_14default_configENS1_38merge_sort_block_merge_config_selectorIjN6thrust23THRUST_200600_302600_NS5tupleIffNS6_9null_typeES8_S8_S8_S8_S8_S8_S8_EEEEZZNS1_27merge_sort_block_merge_implIS3_NS6_6detail15normal_iteratorINS6_10device_ptrIjEEEENSD_INSE_IS9_EEEEjNS1_19radix_merge_compareILb0ELb1EjNS0_19identity_decomposerEEEEE10hipError_tT0_T1_T2_jT3_P12ihipStream_tbPNSt15iterator_traitsISN_E10value_typeEPNST_ISO_E10value_typeEPSP_NS1_7vsmem_tEENKUlT_SN_SO_SP_E_clIPjSG_PS9_SI_EESM_S12_SN_SO_SP_EUlS12_E_NS1_11comp_targetILNS1_3genE8ELNS1_11target_archE1030ELNS1_3gpuE2ELNS1_3repE0EEENS1_48merge_mergepath_partition_config_static_selectorELNS0_4arch9wavefront6targetE0EEEvSO_.has_indirect_call, 0
	.section	.AMDGPU.csdata,"",@progbits
; Kernel info:
; codeLenInByte = 0
; TotalNumSgprs: 0
; NumVgprs: 0
; ScratchSize: 0
; MemoryBound: 0
; FloatMode: 240
; IeeeMode: 1
; LDSByteSize: 0 bytes/workgroup (compile time only)
; SGPRBlocks: 0
; VGPRBlocks: 0
; NumSGPRsForWavesPerEU: 1
; NumVGPRsForWavesPerEU: 1
; NamedBarCnt: 0
; Occupancy: 16
; WaveLimiterHint : 0
; COMPUTE_PGM_RSRC2:SCRATCH_EN: 0
; COMPUTE_PGM_RSRC2:USER_SGPR: 2
; COMPUTE_PGM_RSRC2:TRAP_HANDLER: 0
; COMPUTE_PGM_RSRC2:TGID_X_EN: 1
; COMPUTE_PGM_RSRC2:TGID_Y_EN: 0
; COMPUTE_PGM_RSRC2:TGID_Z_EN: 0
; COMPUTE_PGM_RSRC2:TIDIG_COMP_CNT: 0
	.section	.text._ZN7rocprim17ROCPRIM_400000_NS6detail17trampoline_kernelINS0_14default_configENS1_38merge_sort_block_merge_config_selectorIjN6thrust23THRUST_200600_302600_NS5tupleIffNS6_9null_typeES8_S8_S8_S8_S8_S8_S8_EEEEZZNS1_27merge_sort_block_merge_implIS3_NS6_6detail15normal_iteratorINS6_10device_ptrIjEEEENSD_INSE_IS9_EEEEjNS1_19radix_merge_compareILb0ELb1EjNS0_19identity_decomposerEEEEE10hipError_tT0_T1_T2_jT3_P12ihipStream_tbPNSt15iterator_traitsISN_E10value_typeEPNST_ISO_E10value_typeEPSP_NS1_7vsmem_tEENKUlT_SN_SO_SP_E_clIPjSG_PS9_SI_EESM_S12_SN_SO_SP_EUlS12_E0_NS1_11comp_targetILNS1_3genE0ELNS1_11target_archE4294967295ELNS1_3gpuE0ELNS1_3repE0EEENS1_38merge_mergepath_config_static_selectorELNS0_4arch9wavefront6targetE0EEEvSO_,"axG",@progbits,_ZN7rocprim17ROCPRIM_400000_NS6detail17trampoline_kernelINS0_14default_configENS1_38merge_sort_block_merge_config_selectorIjN6thrust23THRUST_200600_302600_NS5tupleIffNS6_9null_typeES8_S8_S8_S8_S8_S8_S8_EEEEZZNS1_27merge_sort_block_merge_implIS3_NS6_6detail15normal_iteratorINS6_10device_ptrIjEEEENSD_INSE_IS9_EEEEjNS1_19radix_merge_compareILb0ELb1EjNS0_19identity_decomposerEEEEE10hipError_tT0_T1_T2_jT3_P12ihipStream_tbPNSt15iterator_traitsISN_E10value_typeEPNST_ISO_E10value_typeEPSP_NS1_7vsmem_tEENKUlT_SN_SO_SP_E_clIPjSG_PS9_SI_EESM_S12_SN_SO_SP_EUlS12_E0_NS1_11comp_targetILNS1_3genE0ELNS1_11target_archE4294967295ELNS1_3gpuE0ELNS1_3repE0EEENS1_38merge_mergepath_config_static_selectorELNS0_4arch9wavefront6targetE0EEEvSO_,comdat
	.protected	_ZN7rocprim17ROCPRIM_400000_NS6detail17trampoline_kernelINS0_14default_configENS1_38merge_sort_block_merge_config_selectorIjN6thrust23THRUST_200600_302600_NS5tupleIffNS6_9null_typeES8_S8_S8_S8_S8_S8_S8_EEEEZZNS1_27merge_sort_block_merge_implIS3_NS6_6detail15normal_iteratorINS6_10device_ptrIjEEEENSD_INSE_IS9_EEEEjNS1_19radix_merge_compareILb0ELb1EjNS0_19identity_decomposerEEEEE10hipError_tT0_T1_T2_jT3_P12ihipStream_tbPNSt15iterator_traitsISN_E10value_typeEPNST_ISO_E10value_typeEPSP_NS1_7vsmem_tEENKUlT_SN_SO_SP_E_clIPjSG_PS9_SI_EESM_S12_SN_SO_SP_EUlS12_E0_NS1_11comp_targetILNS1_3genE0ELNS1_11target_archE4294967295ELNS1_3gpuE0ELNS1_3repE0EEENS1_38merge_mergepath_config_static_selectorELNS0_4arch9wavefront6targetE0EEEvSO_ ; -- Begin function _ZN7rocprim17ROCPRIM_400000_NS6detail17trampoline_kernelINS0_14default_configENS1_38merge_sort_block_merge_config_selectorIjN6thrust23THRUST_200600_302600_NS5tupleIffNS6_9null_typeES8_S8_S8_S8_S8_S8_S8_EEEEZZNS1_27merge_sort_block_merge_implIS3_NS6_6detail15normal_iteratorINS6_10device_ptrIjEEEENSD_INSE_IS9_EEEEjNS1_19radix_merge_compareILb0ELb1EjNS0_19identity_decomposerEEEEE10hipError_tT0_T1_T2_jT3_P12ihipStream_tbPNSt15iterator_traitsISN_E10value_typeEPNST_ISO_E10value_typeEPSP_NS1_7vsmem_tEENKUlT_SN_SO_SP_E_clIPjSG_PS9_SI_EESM_S12_SN_SO_SP_EUlS12_E0_NS1_11comp_targetILNS1_3genE0ELNS1_11target_archE4294967295ELNS1_3gpuE0ELNS1_3repE0EEENS1_38merge_mergepath_config_static_selectorELNS0_4arch9wavefront6targetE0EEEvSO_
	.globl	_ZN7rocprim17ROCPRIM_400000_NS6detail17trampoline_kernelINS0_14default_configENS1_38merge_sort_block_merge_config_selectorIjN6thrust23THRUST_200600_302600_NS5tupleIffNS6_9null_typeES8_S8_S8_S8_S8_S8_S8_EEEEZZNS1_27merge_sort_block_merge_implIS3_NS6_6detail15normal_iteratorINS6_10device_ptrIjEEEENSD_INSE_IS9_EEEEjNS1_19radix_merge_compareILb0ELb1EjNS0_19identity_decomposerEEEEE10hipError_tT0_T1_T2_jT3_P12ihipStream_tbPNSt15iterator_traitsISN_E10value_typeEPNST_ISO_E10value_typeEPSP_NS1_7vsmem_tEENKUlT_SN_SO_SP_E_clIPjSG_PS9_SI_EESM_S12_SN_SO_SP_EUlS12_E0_NS1_11comp_targetILNS1_3genE0ELNS1_11target_archE4294967295ELNS1_3gpuE0ELNS1_3repE0EEENS1_38merge_mergepath_config_static_selectorELNS0_4arch9wavefront6targetE0EEEvSO_
	.p2align	8
	.type	_ZN7rocprim17ROCPRIM_400000_NS6detail17trampoline_kernelINS0_14default_configENS1_38merge_sort_block_merge_config_selectorIjN6thrust23THRUST_200600_302600_NS5tupleIffNS6_9null_typeES8_S8_S8_S8_S8_S8_S8_EEEEZZNS1_27merge_sort_block_merge_implIS3_NS6_6detail15normal_iteratorINS6_10device_ptrIjEEEENSD_INSE_IS9_EEEEjNS1_19radix_merge_compareILb0ELb1EjNS0_19identity_decomposerEEEEE10hipError_tT0_T1_T2_jT3_P12ihipStream_tbPNSt15iterator_traitsISN_E10value_typeEPNST_ISO_E10value_typeEPSP_NS1_7vsmem_tEENKUlT_SN_SO_SP_E_clIPjSG_PS9_SI_EESM_S12_SN_SO_SP_EUlS12_E0_NS1_11comp_targetILNS1_3genE0ELNS1_11target_archE4294967295ELNS1_3gpuE0ELNS1_3repE0EEENS1_38merge_mergepath_config_static_selectorELNS0_4arch9wavefront6targetE0EEEvSO_,@function
_ZN7rocprim17ROCPRIM_400000_NS6detail17trampoline_kernelINS0_14default_configENS1_38merge_sort_block_merge_config_selectorIjN6thrust23THRUST_200600_302600_NS5tupleIffNS6_9null_typeES8_S8_S8_S8_S8_S8_S8_EEEEZZNS1_27merge_sort_block_merge_implIS3_NS6_6detail15normal_iteratorINS6_10device_ptrIjEEEENSD_INSE_IS9_EEEEjNS1_19radix_merge_compareILb0ELb1EjNS0_19identity_decomposerEEEEE10hipError_tT0_T1_T2_jT3_P12ihipStream_tbPNSt15iterator_traitsISN_E10value_typeEPNST_ISO_E10value_typeEPSP_NS1_7vsmem_tEENKUlT_SN_SO_SP_E_clIPjSG_PS9_SI_EESM_S12_SN_SO_SP_EUlS12_E0_NS1_11comp_targetILNS1_3genE0ELNS1_11target_archE4294967295ELNS1_3gpuE0ELNS1_3repE0EEENS1_38merge_mergepath_config_static_selectorELNS0_4arch9wavefront6targetE0EEEvSO_: ; @_ZN7rocprim17ROCPRIM_400000_NS6detail17trampoline_kernelINS0_14default_configENS1_38merge_sort_block_merge_config_selectorIjN6thrust23THRUST_200600_302600_NS5tupleIffNS6_9null_typeES8_S8_S8_S8_S8_S8_S8_EEEEZZNS1_27merge_sort_block_merge_implIS3_NS6_6detail15normal_iteratorINS6_10device_ptrIjEEEENSD_INSE_IS9_EEEEjNS1_19radix_merge_compareILb0ELb1EjNS0_19identity_decomposerEEEEE10hipError_tT0_T1_T2_jT3_P12ihipStream_tbPNSt15iterator_traitsISN_E10value_typeEPNST_ISO_E10value_typeEPSP_NS1_7vsmem_tEENKUlT_SN_SO_SP_E_clIPjSG_PS9_SI_EESM_S12_SN_SO_SP_EUlS12_E0_NS1_11comp_targetILNS1_3genE0ELNS1_11target_archE4294967295ELNS1_3gpuE0ELNS1_3repE0EEENS1_38merge_mergepath_config_static_selectorELNS0_4arch9wavefront6targetE0EEEvSO_
; %bb.0:
	s_bfe_u32 s2, ttmp6, 0x40010
	s_and_b32 s4, ttmp7, 0xffff
	s_add_co_i32 s5, s2, 1
	s_clause 0x1
	s_load_b64 s[2:3], s[0:1], 0x30
	s_load_b64 s[18:19], s[0:1], 0x40
	s_bfe_u32 s7, ttmp6, 0x4000c
	s_mul_i32 s5, s4, s5
	s_bfe_u32 s6, ttmp6, 0x40004
	s_add_co_i32 s7, s7, 1
	s_bfe_u32 s8, ttmp6, 0x40014
	s_add_co_i32 s6, s6, s5
	s_and_b32 s5, ttmp6, 15
	s_mul_i32 s7, ttmp9, s7
	s_lshr_b32 s9, ttmp7, 16
	s_add_co_i32 s8, s8, 1
	s_add_co_i32 s5, s5, s7
	s_mul_i32 s7, s9, s8
	s_bfe_u32 s8, ttmp6, 0x40008
	s_getreg_b32 s10, hwreg(HW_REG_IB_STS2, 6, 4)
	s_add_co_i32 s8, s8, s7
	s_cmp_eq_u32 s10, 0
	s_mov_b32 s15, 0
	s_cselect_b32 s7, s9, s8
	s_cselect_b32 s4, s4, s6
	s_wait_kmcnt 0x0
	s_mul_i32 s7, s19, s7
	s_cselect_b32 s13, ttmp9, s5
	s_add_co_i32 s4, s7, s4
	s_delay_alu instid0(SALU_CYCLE_1) | instskip(NEXT) | instid1(SALU_CYCLE_1)
	s_mul_i32 s4, s4, s18
	s_add_co_i32 s20, s4, s13
	s_delay_alu instid0(SALU_CYCLE_1)
	s_cmp_ge_u32 s20, s2
	s_cbranch_scc1 .LBB99_38
; %bb.1:
	v_mov_b32_e32 v3, 0
	s_add_nc_u64 s[24:25], s[0:1], 64
	s_mov_b32 s21, s15
                                        ; implicit-def: $vgpr4
	global_load_b32 v1, v3, s[24:25] offset:14
	s_clause 0x1
	s_load_b256 s[4:11], s[0:1], 0x10
	s_load_b64 s[16:17], s[0:1], 0x38
	s_wait_kmcnt 0x0
	s_lshr_b32 s23, s10, 10
	s_load_b64 s[0:1], s[0:1], 0x8
	s_cmp_lg_u32 s20, s23
	s_cselect_b32 s22, -1, 0
	s_lshl_b64 s[26:27], s[20:21], 2
	s_lshr_b32 s2, s11, 9
	s_add_nc_u64 s[16:17], s[16:17], s[26:27]
	s_and_b32 s2, s2, 0x7ffffe
	s_load_b64 s[26:27], s[16:17], 0x0
	s_sub_co_i32 s2, 0, s2
	s_lshl_b32 s12, s20, 10
	s_and_b32 s14, s20, s2
	s_or_b32 s2, s20, s2
	s_wait_xcnt 0x0
	s_lshl_b32 s16, s14, 11
	s_lshl_b32 s14, s14, 10
	s_add_co_i32 s16, s16, s11
	s_sub_co_i32 s19, s12, s14
	s_sub_co_i32 s14, s16, s14
	s_add_co_i32 s16, s16, s19
	s_min_u32 s19, s10, s14
	s_add_co_i32 s11, s14, s11
	s_mov_b32 s17, s15
	s_wait_kmcnt 0x0
	s_sub_co_i32 s14, s16, s26
	s_sub_co_i32 s21, s16, s27
	s_min_u32 s16, s10, s14
	s_addk_co_i32 s21, 0x400
	s_cmp_eq_u32 s2, -1
	s_mov_b32 s14, s26
	s_cselect_b32 s2, s11, s21
	s_cselect_b32 s19, s19, s27
	s_lshl_b64 s[28:29], s[14:15], 2
	s_lshl_b64 s[30:31], s[16:17], 2
	s_min_u32 s11, s2, s10
	s_sub_co_i32 s2, s19, s26
	s_cmp_lt_u32 s13, s18
	s_mov_b32 s19, s15
	s_cselect_b32 s18, 12, 18
	s_mov_b32 s21, -1
	s_add_nc_u64 s[18:19], s[24:25], s[18:19]
	s_cmp_eq_u32 s20, s23
	s_load_u16 s13, s[18:19], 0x0
	s_wait_xcnt 0x0
	s_add_nc_u64 s[18:19], s[0:1], s[28:29]
	s_add_nc_u64 s[0:1], s[0:1], s[30:31]
	s_wait_loadcnt 0x0
	v_lshrrev_b32_e32 v2, 16, v1
	v_and_b32_e32 v1, 0xffff, v1
	s_delay_alu instid0(VALU_DEP_1) | instskip(SKIP_1) | instid1(VALU_DEP_1)
	v_mul_lo_u32 v1, v1, v2
	s_wait_kmcnt 0x0
	v_mul_lo_u32 v5, v1, s13
	v_lshlrev_b32_e32 v2, 2, v0
	s_mov_b32 s13, s15
                                        ; implicit-def: $vgpr1
	s_delay_alu instid0(VALU_DEP_2)
	v_add_nc_u32_e32 v8, v5, v0
	s_cbranch_scc0 .LBB99_7
; %bb.2:
	s_and_not1_b32 vcc_lo, exec_lo, s21
	s_sub_co_i32 s11, s11, s16
	s_cbranch_vccz .LBB99_8
.LBB99_3:
	v_mov_b32_e32 v3, 0
	s_wait_xcnt 0x0
	s_and_saveexec_b32 s20, s13
	s_cbranch_execz .LBB99_5
.LBB99_4:
	v_mov_b32_e32 v5, 0
	s_delay_alu instid0(VALU_DEP_1) | instskip(SKIP_1) | instid1(VALU_DEP_1)
	v_lshl_add_u64 v[6:7], v[4:5], 2, s[18:19]
	v_sub_co_u32 v4, vcc_lo, v4, s2
	v_lshl_add_u64 v[4:5], v[4:5], 2, s[0:1]
	s_delay_alu instid0(VALU_DEP_1)
	v_dual_cndmask_b32 v5, v5, v7 :: v_dual_cndmask_b32 v4, v4, v6
	global_load_b32 v3, v[4:5], off
.LBB99_5:
	s_wait_xcnt 0x0
	s_or_b32 exec_lo, exec_lo, s20
	s_lshl_b64 s[0:1], s[14:15], 3
	v_lshlrev_b32_e32 v4, 3, v0
	s_add_nc_u64 s[14:15], s[6:7], s[0:1]
	s_lshl_b64 s[0:1], s[16:17], 3
	s_and_not1_b32 vcc_lo, exec_lo, s22
	s_add_nc_u64 s[6:7], s[6:7], s[0:1]
	s_wait_loadcnt 0x0
	ds_store_2addr_stride64_b32 v2, v1, v3 offset1:8
	s_cbranch_vccnz .LBB99_11
; %bb.6:
	v_sub_co_u32 v10, vcc_lo, v0, s2
	v_mov_b32_e32 v5, 0
	v_sub_co_u32 v12, s0, v8, s2
	s_add_co_i32 s13, s11, s2
	v_add_nc_u64_e32 v[6:7], s[14:15], v[4:5]
	v_mov_b32_e32 v11, v5
	s_delay_alu instid0(VALU_DEP_1) | instskip(NEXT) | instid1(VALU_DEP_1)
	v_lshl_add_u64 v[10:11], v[10:11], 3, s[6:7]
	v_dual_cndmask_b32 v17, v11, v7, vcc_lo :: v_dual_mov_b32 v9, v5
	s_delay_alu instid0(VALU_DEP_2) | instskip(NEXT) | instid1(VALU_DEP_2)
	v_dual_mov_b32 v13, v5 :: v_dual_cndmask_b32 v16, v10, v6
	v_lshl_add_u64 v[14:15], v[8:9], 3, s[14:15]
	s_delay_alu instid0(VALU_DEP_2) | instskip(NEXT) | instid1(VALU_DEP_1)
	v_lshl_add_u64 v[12:13], v[12:13], 3, s[6:7]
	v_dual_cndmask_b32 v13, v13, v15, s0 :: v_dual_cndmask_b32 v12, v12, v14, s0
	global_load_b64 v[6:7], v[16:17], off
	global_load_b64 v[10:11], v[12:13], off
	s_cbranch_execz .LBB99_12
	s_branch .LBB99_17
.LBB99_7:
	s_delay_alu instid0(VALU_DEP_2) | instskip(SKIP_4) | instid1(VALU_DEP_2)
	v_add_nc_u64_e32 v[6:7], s[18:19], v[2:3]
	v_sub_co_u32 v10, vcc_lo, v0, s2
	v_mov_b32_e32 v11, v3
	s_mov_b32 s13, -1
	v_add_nc_u32_e32 v4, v5, v0
	v_lshl_add_u64 v[10:11], v[10:11], 2, s[0:1]
	s_delay_alu instid0(VALU_DEP_1)
	v_dual_cndmask_b32 v7, v11, v7 :: v_dual_cndmask_b32 v6, v10, v6
	global_load_b32 v1, v[6:7], off
	s_sub_co_i32 s11, s11, s16
	s_cbranch_execnz .LBB99_3
.LBB99_8:
	s_wait_loadcnt 0x0
	v_mov_b32_e32 v1, 0
	s_add_co_i32 s13, s11, s2
	s_mov_b32 s20, exec_lo
	v_cmpx_gt_u32_e64 s13, v0
	s_cbranch_execz .LBB99_10
; %bb.9:
	v_sub_co_u32 v6, vcc_lo, v0, s2
	v_mov_b32_e32 v3, 0
	s_delay_alu instid0(VALU_DEP_1) | instskip(SKIP_1) | instid1(VALU_DEP_1)
	v_add_nc_u64_e32 v[4:5], s[18:19], v[2:3]
	v_mov_b32_e32 v7, v3
	v_lshl_add_u64 v[6:7], v[6:7], 2, s[0:1]
	s_delay_alu instid0(VALU_DEP_1)
	v_dual_cndmask_b32 v5, v7, v5 :: v_dual_cndmask_b32 v4, v6, v4
	global_load_b32 v1, v[4:5], off
.LBB99_10:
	s_wait_xcnt 0x0
	s_or_b32 exec_lo, exec_lo, s20
	v_cmp_gt_u32_e64 s13, s13, v8
	v_dual_mov_b32 v4, v8 :: v_dual_mov_b32 v3, 0
	s_and_saveexec_b32 s20, s13
	s_cbranch_execnz .LBB99_4
	s_branch .LBB99_5
.LBB99_11:
                                        ; implicit-def: $vgpr11
                                        ; implicit-def: $vgpr6_vgpr7
                                        ; implicit-def: $sgpr13
.LBB99_12:
	s_wait_loadcnt 0x1
	v_mov_b64_e32 v[6:7], 0
	s_add_co_i32 s13, s11, s2
	s_mov_b32 s0, exec_lo
	s_wait_xcnt 0x0
	v_cmpx_gt_u32_e64 s13, v0
	s_cbranch_execz .LBB99_14
; %bb.13:
	s_wait_loadcnt 0x0
	v_sub_co_u32 v10, vcc_lo, v0, s2
	v_mov_b32_e32 v5, 0
	s_delay_alu instid0(VALU_DEP_1) | instskip(SKIP_1) | instid1(VALU_DEP_1)
	v_add_nc_u64_e32 v[6:7], s[14:15], v[4:5]
	v_mov_b32_e32 v11, v5
	v_lshl_add_u64 v[10:11], v[10:11], 3, s[6:7]
	s_delay_alu instid0(VALU_DEP_1)
	v_dual_cndmask_b32 v7, v11, v7 :: v_dual_cndmask_b32 v6, v10, v6
	global_load_b64 v[6:7], v[6:7], off
.LBB99_14:
	s_wait_xcnt 0x0
	s_or_b32 exec_lo, exec_lo, s0
	s_wait_loadcnt 0x0
	v_dual_mov_b32 v11, 0 :: v_dual_mov_b32 v10, 0
	s_mov_b32 s0, exec_lo
	v_cmpx_gt_u32_e64 s13, v8
	s_cbranch_execz .LBB99_16
; %bb.15:
	v_mov_b32_e32 v9, 0
	s_delay_alu instid0(VALU_DEP_1) | instskip(SKIP_1) | instid1(VALU_DEP_1)
	v_lshl_add_u64 v[10:11], v[8:9], 3, s[14:15]
	v_sub_co_u32 v8, vcc_lo, v8, s2
	v_lshl_add_u64 v[8:9], v[8:9], 3, s[6:7]
	s_delay_alu instid0(VALU_DEP_1)
	v_dual_cndmask_b32 v9, v9, v11 :: v_dual_cndmask_b32 v8, v8, v10
	global_load_b64 v[10:11], v[8:9], off
.LBB99_16:
	s_wait_xcnt 0x0
	s_or_b32 exec_lo, exec_lo, s0
.LBB99_17:
	v_lshlrev_b32_e32 v5, 1, v0
	s_mov_b32 s0, exec_lo
	s_wait_loadcnt_dscnt 0x0
	s_barrier_signal -1
	s_barrier_wait -1
	v_min_u32_e32 v9, s13, v5
	s_delay_alu instid0(VALU_DEP_1) | instskip(SKIP_1) | instid1(VALU_DEP_1)
	v_sub_nc_u32_e64 v8, v9, s11 clamp
	v_min_u32_e32 v12, s2, v9
	v_cmpx_lt_u32_e64 v8, v12
	s_cbranch_execz .LBB99_21
; %bb.18:
	v_lshlrev_b32_e32 v13, 2, v9
	s_mov_b32 s1, 0
	s_delay_alu instid0(VALU_DEP_1)
	v_lshl_add_u32 v13, s2, 2, v13
.LBB99_19:                              ; =>This Inner Loop Header: Depth=1
	v_add_nc_u32_e32 v14, v12, v8
	s_delay_alu instid0(VALU_DEP_1) | instskip(NEXT) | instid1(VALU_DEP_1)
	v_lshrrev_b32_e32 v14, 1, v14
	v_not_b32_e32 v15, v14
	v_lshlrev_b32_e32 v16, 2, v14
	s_delay_alu instid0(VALU_DEP_2)
	v_lshl_add_u32 v15, v15, 2, v13
	ds_load_b32 v16, v16
	ds_load_b32 v15, v15
	s_wait_dscnt 0x1
	v_and_b32_e32 v16, s3, v16
	s_wait_dscnt 0x0
	v_dual_add_nc_u32 v17, 1, v14 :: v_dual_bitop2_b32 v15, s3, v15 bitop3:0x40
	s_delay_alu instid0(VALU_DEP_1) | instskip(NEXT) | instid1(VALU_DEP_2)
	v_cmp_gt_u32_e32 vcc_lo, v16, v15
	v_dual_cndmask_b32 v12, v12, v14, vcc_lo :: v_dual_cndmask_b32 v8, v17, v8, vcc_lo
	s_delay_alu instid0(VALU_DEP_1) | instskip(SKIP_1) | instid1(SALU_CYCLE_1)
	v_cmp_ge_u32_e32 vcc_lo, v8, v12
	s_or_b32 s1, vcc_lo, s1
	s_and_not1_b32 exec_lo, exec_lo, s1
	s_cbranch_execnz .LBB99_19
; %bb.20:
	s_or_b32 exec_lo, exec_lo, s1
.LBB99_21:
	s_delay_alu instid0(SALU_CYCLE_1) | instskip(SKIP_2) | instid1(VALU_DEP_2)
	s_or_b32 exec_lo, exec_lo, s0
	v_dual_sub_nc_u32 v9, v9, v8 :: v_dual_mov_b32 v13, 0
	v_cmp_ge_u32_e32 vcc_lo, s2, v8
	v_dual_mov_b32 v12, 0 :: v_dual_add_nc_u32 v9, s2, v9
	s_delay_alu instid0(VALU_DEP_1) | instskip(SKIP_1) | instid1(SALU_CYCLE_1)
	v_cmp_ge_u32_e64 s0, s13, v9
	s_or_b32 s0, vcc_lo, s0
	s_and_saveexec_b32 s6, s0
	s_cbranch_execz .LBB99_27
; %bb.22:
	v_cmp_gt_u32_e32 vcc_lo, s2, v8
                                        ; implicit-def: $vgpr1
	s_and_saveexec_b32 s0, vcc_lo
; %bb.23:
	v_lshlrev_b32_e32 v1, 2, v8
	ds_load_b32 v1, v1
; %bb.24:
	s_or_b32 exec_lo, exec_lo, s0
	v_cmp_le_u32_e64 s0, s13, v9
	s_mov_b32 s7, exec_lo
                                        ; implicit-def: $vgpr3
	v_cmpx_gt_u32_e64 s13, v9
; %bb.25:
	v_lshlrev_b32_e32 v3, 2, v9
	ds_load_b32 v3, v3
; %bb.26:
	s_or_b32 exec_lo, exec_lo, s7
	s_wait_dscnt 0x0
	v_and_b32_e32 v12, s3, v3
	v_and_b32_e32 v13, s3, v1
	s_delay_alu instid0(VALU_DEP_1) | instskip(SKIP_2) | instid1(SALU_CYCLE_1)
	v_cmp_le_u32_e64 s1, v13, v12
	v_mov_b32_e32 v13, s2
	s_and_b32 s1, vcc_lo, s1
	s_or_b32 vcc_lo, s0, s1
	v_cndmask_b32_e32 v12, v9, v8, vcc_lo
	s_delay_alu instid0(VALU_DEP_1) | instskip(NEXT) | instid1(VALU_DEP_1)
	v_dual_cndmask_b32 v13, s13, v13 :: v_dual_add_nc_u32 v14, 1, v12
	v_add_min_u32_e64 v13, v13, -1, v14
	s_delay_alu instid0(VALU_DEP_1) | instskip(NEXT) | instid1(VALU_DEP_1)
	v_dual_cndmask_b32 v8, v8, v14 :: v_dual_lshlrev_b32 v13, 2, v13
	v_cmp_gt_u32_e64 s0, s2, v8
	ds_load_b32 v13, v13
	s_wait_dscnt 0x0
	v_cndmask_b32_e32 v16, v1, v13, vcc_lo
	s_delay_alu instid0(VALU_DEP_1) | instskip(NEXT) | instid1(VALU_DEP_1)
	v_dual_cndmask_b32 v15, v13, v3, vcc_lo :: v_dual_bitop2_b32 v17, s3, v16 bitop3:0x40
	v_dual_cndmask_b32 v9, v14, v9, vcc_lo :: v_dual_bitop2_b32 v13, s3, v15 bitop3:0x40
	v_cndmask_b32_e32 v1, v3, v1, vcc_lo
	s_delay_alu instid0(VALU_DEP_2) | instskip(NEXT) | instid1(VALU_DEP_3)
	v_cmp_le_u32_e64 s1, v17, v13
	v_cmp_le_u32_e64 s2, s13, v9
	s_and_b32 s0, s0, s1
	s_delay_alu instid0(SALU_CYCLE_1)
	s_or_b32 vcc_lo, s2, s0
	v_cndmask_b32_e32 v3, v15, v16, vcc_lo
	v_cndmask_b32_e32 v13, v9, v8, vcc_lo
.LBB99_27:
	s_or_b32 exec_lo, exec_lo, s6
	v_lshl_add_u32 v14, v0, 2, v2
	s_barrier_signal -1
	s_barrier_wait -1
	ds_store_2addr_stride64_b64 v14, v[6:7], v[10:11] offset1:8
	v_dual_lshlrev_b32 v6, 3, v12 :: v_dual_lshlrev_b32 v8, 3, v13
	v_dual_lshrrev_b32 v10, 4, v0 :: v_dual_lshrrev_b32 v11, 5, v0
	s_wait_dscnt 0x0
	s_barrier_signal -1
	s_barrier_wait -1
	ds_load_b64 v[6:7], v6
	ds_load_b64 v[8:9], v8
	v_lshl_add_u32 v15, v10, 2, v14
	v_or_b32_e32 v12, 0x200, v0
	s_mov_b32 s13, 0
	s_wait_dscnt 0x0
	s_barrier_signal -1
	s_barrier_wait -1
	s_barrier_signal -1
	s_barrier_wait -1
	v_add_nc_u32_e32 v5, v10, v5
	ds_store_2addr_b32 v15, v1, v3 offset1:1
	v_dual_lshrrev_b32 v1, 5, v12 :: v_dual_mov_b32 v3, 0
	v_add_nc_u32_e32 v10, v11, v0
	s_lshl_b64 s[0:1], s[12:13], 2
	v_lshl_add_u32 v11, v11, 2, v2
	s_add_nc_u64 s[0:1], s[4:5], s[0:1]
	v_lshl_add_u32 v13, v1, 2, v2
	v_add_nc_u64_e32 v[2:3], s[0:1], v[2:3]
	v_lshl_add_u32 v5, v5, 2, v15
	v_lshl_add_u32 v1, v1, 3, v14
	s_and_b32 vcc_lo, exec_lo, s22
	s_mov_b32 s0, -1
	s_wait_dscnt 0x0
	s_cbranch_vccz .LBB99_29
; %bb.28:
	s_barrier_signal -1
	s_barrier_wait -1
	ds_load_b32 v14, v11
	ds_load_b32 v15, v13 offset:2048
	v_lshl_add_u32 v16, v10, 2, v11
	s_lshl_b64 s[0:1], s[12:13], 3
	s_wait_dscnt 0x1
	global_store_b32 v[2:3], v14, off
	s_wait_dscnt 0x0
	global_store_b32 v[2:3], v15, off offset:2048
	s_wait_storecnt 0x0
	s_barrier_signal -1
	s_barrier_wait -1
	ds_store_2addr_b64 v5, v[6:7], v[8:9] offset1:1
	s_wait_dscnt 0x0
	s_barrier_signal -1
	s_barrier_wait -1
	s_wait_xcnt 0x0
	ds_load_b64 v[14:15], v16
	ds_load_b64 v[16:17], v1 offset:4096
	s_add_nc_u64 s[2:3], s[8:9], s[0:1]
	s_mov_b32 s0, s13
	s_wait_dscnt 0x1
	global_store_b64 v0, v[14:15], s[2:3] scale_offset
	s_wait_dscnt 0x0
	global_store_b64 v0, v[16:17], s[2:3] offset:4096 scale_offset
.LBB99_29:
	s_and_not1_b32 vcc_lo, exec_lo, s0
	s_cbranch_vccnz .LBB99_38
; %bb.30:
	s_barrier_signal -1
	s_barrier_wait -1
	s_wait_storecnt 0x0
	ds_load_b32 v13, v13 offset:2048
	s_sub_co_i32 s0, s10, s12
	s_delay_alu instid0(SALU_CYCLE_1)
	v_cmp_gt_u32_e32 vcc_lo, s0, v0
	s_wait_xcnt 0x0
	s_and_saveexec_b32 s1, vcc_lo
	s_cbranch_execz .LBB99_32
; %bb.31:
	ds_load_b32 v0, v11
	s_wait_dscnt 0x0
	global_store_b32 v[2:3], v0, off
.LBB99_32:
	s_wait_xcnt 0x0
	s_or_b32 exec_lo, exec_lo, s1
	v_cmp_gt_u32_e64 s0, s0, v12
	s_and_saveexec_b32 s1, s0
	s_cbranch_execz .LBB99_34
; %bb.33:
	s_wait_dscnt 0x0
	global_store_b32 v[2:3], v13, off offset:2048
.LBB99_34:
	s_wait_xcnt 0x0
	s_or_b32 exec_lo, exec_lo, s1
	s_wait_storecnt_dscnt 0x0
	s_barrier_signal -1
	s_barrier_wait -1
	ds_store_2addr_b64 v5, v[6:7], v[8:9] offset1:1
	s_wait_dscnt 0x0
	s_barrier_signal -1
	s_barrier_wait -1
	ds_load_b64 v[0:1], v1 offset:4096
	v_mov_b32_e32 v5, 0
	s_lshl_b64 s[2:3], s[12:13], 3
	s_delay_alu instid0(SALU_CYCLE_1)
	s_add_nc_u64 s[2:3], s[8:9], s[2:3]
	s_delay_alu instid0(VALU_DEP_1) | instid1(SALU_CYCLE_1)
	v_add_nc_u64_e32 v[2:3], s[2:3], v[4:5]
	s_and_saveexec_b32 s1, vcc_lo
	s_cbranch_execz .LBB99_36
; %bb.35:
	v_lshl_add_u32 v4, v10, 2, v11
	ds_load_b64 v[4:5], v4
	s_wait_dscnt 0x0
	global_store_b64 v[2:3], v[4:5], off
.LBB99_36:
	s_wait_xcnt 0x0
	s_or_b32 exec_lo, exec_lo, s1
	s_and_saveexec_b32 s1, s0
	s_cbranch_execz .LBB99_38
; %bb.37:
	s_wait_dscnt 0x0
	global_store_b64 v[2:3], v[0:1], off offset:4096
.LBB99_38:
	s_endpgm
	.section	.rodata,"a",@progbits
	.p2align	6, 0x0
	.amdhsa_kernel _ZN7rocprim17ROCPRIM_400000_NS6detail17trampoline_kernelINS0_14default_configENS1_38merge_sort_block_merge_config_selectorIjN6thrust23THRUST_200600_302600_NS5tupleIffNS6_9null_typeES8_S8_S8_S8_S8_S8_S8_EEEEZZNS1_27merge_sort_block_merge_implIS3_NS6_6detail15normal_iteratorINS6_10device_ptrIjEEEENSD_INSE_IS9_EEEEjNS1_19radix_merge_compareILb0ELb1EjNS0_19identity_decomposerEEEEE10hipError_tT0_T1_T2_jT3_P12ihipStream_tbPNSt15iterator_traitsISN_E10value_typeEPNST_ISO_E10value_typeEPSP_NS1_7vsmem_tEENKUlT_SN_SO_SP_E_clIPjSG_PS9_SI_EESM_S12_SN_SO_SP_EUlS12_E0_NS1_11comp_targetILNS1_3genE0ELNS1_11target_archE4294967295ELNS1_3gpuE0ELNS1_3repE0EEENS1_38merge_mergepath_config_static_selectorELNS0_4arch9wavefront6targetE0EEEvSO_
		.amdhsa_group_segment_fixed_size 8448
		.amdhsa_private_segment_fixed_size 0
		.amdhsa_kernarg_size 320
		.amdhsa_user_sgpr_count 2
		.amdhsa_user_sgpr_dispatch_ptr 0
		.amdhsa_user_sgpr_queue_ptr 0
		.amdhsa_user_sgpr_kernarg_segment_ptr 1
		.amdhsa_user_sgpr_dispatch_id 0
		.amdhsa_user_sgpr_kernarg_preload_length 0
		.amdhsa_user_sgpr_kernarg_preload_offset 0
		.amdhsa_user_sgpr_private_segment_size 0
		.amdhsa_wavefront_size32 1
		.amdhsa_uses_dynamic_stack 0
		.amdhsa_enable_private_segment 0
		.amdhsa_system_sgpr_workgroup_id_x 1
		.amdhsa_system_sgpr_workgroup_id_y 1
		.amdhsa_system_sgpr_workgroup_id_z 1
		.amdhsa_system_sgpr_workgroup_info 0
		.amdhsa_system_vgpr_workitem_id 0
		.amdhsa_next_free_vgpr 18
		.amdhsa_next_free_sgpr 32
		.amdhsa_named_barrier_count 0
		.amdhsa_reserve_vcc 1
		.amdhsa_float_round_mode_32 0
		.amdhsa_float_round_mode_16_64 0
		.amdhsa_float_denorm_mode_32 3
		.amdhsa_float_denorm_mode_16_64 3
		.amdhsa_fp16_overflow 0
		.amdhsa_memory_ordered 1
		.amdhsa_forward_progress 1
		.amdhsa_inst_pref_size 18
		.amdhsa_round_robin_scheduling 0
		.amdhsa_exception_fp_ieee_invalid_op 0
		.amdhsa_exception_fp_denorm_src 0
		.amdhsa_exception_fp_ieee_div_zero 0
		.amdhsa_exception_fp_ieee_overflow 0
		.amdhsa_exception_fp_ieee_underflow 0
		.amdhsa_exception_fp_ieee_inexact 0
		.amdhsa_exception_int_div_zero 0
	.end_amdhsa_kernel
	.section	.text._ZN7rocprim17ROCPRIM_400000_NS6detail17trampoline_kernelINS0_14default_configENS1_38merge_sort_block_merge_config_selectorIjN6thrust23THRUST_200600_302600_NS5tupleIffNS6_9null_typeES8_S8_S8_S8_S8_S8_S8_EEEEZZNS1_27merge_sort_block_merge_implIS3_NS6_6detail15normal_iteratorINS6_10device_ptrIjEEEENSD_INSE_IS9_EEEEjNS1_19radix_merge_compareILb0ELb1EjNS0_19identity_decomposerEEEEE10hipError_tT0_T1_T2_jT3_P12ihipStream_tbPNSt15iterator_traitsISN_E10value_typeEPNST_ISO_E10value_typeEPSP_NS1_7vsmem_tEENKUlT_SN_SO_SP_E_clIPjSG_PS9_SI_EESM_S12_SN_SO_SP_EUlS12_E0_NS1_11comp_targetILNS1_3genE0ELNS1_11target_archE4294967295ELNS1_3gpuE0ELNS1_3repE0EEENS1_38merge_mergepath_config_static_selectorELNS0_4arch9wavefront6targetE0EEEvSO_,"axG",@progbits,_ZN7rocprim17ROCPRIM_400000_NS6detail17trampoline_kernelINS0_14default_configENS1_38merge_sort_block_merge_config_selectorIjN6thrust23THRUST_200600_302600_NS5tupleIffNS6_9null_typeES8_S8_S8_S8_S8_S8_S8_EEEEZZNS1_27merge_sort_block_merge_implIS3_NS6_6detail15normal_iteratorINS6_10device_ptrIjEEEENSD_INSE_IS9_EEEEjNS1_19radix_merge_compareILb0ELb1EjNS0_19identity_decomposerEEEEE10hipError_tT0_T1_T2_jT3_P12ihipStream_tbPNSt15iterator_traitsISN_E10value_typeEPNST_ISO_E10value_typeEPSP_NS1_7vsmem_tEENKUlT_SN_SO_SP_E_clIPjSG_PS9_SI_EESM_S12_SN_SO_SP_EUlS12_E0_NS1_11comp_targetILNS1_3genE0ELNS1_11target_archE4294967295ELNS1_3gpuE0ELNS1_3repE0EEENS1_38merge_mergepath_config_static_selectorELNS0_4arch9wavefront6targetE0EEEvSO_,comdat
.Lfunc_end99:
	.size	_ZN7rocprim17ROCPRIM_400000_NS6detail17trampoline_kernelINS0_14default_configENS1_38merge_sort_block_merge_config_selectorIjN6thrust23THRUST_200600_302600_NS5tupleIffNS6_9null_typeES8_S8_S8_S8_S8_S8_S8_EEEEZZNS1_27merge_sort_block_merge_implIS3_NS6_6detail15normal_iteratorINS6_10device_ptrIjEEEENSD_INSE_IS9_EEEEjNS1_19radix_merge_compareILb0ELb1EjNS0_19identity_decomposerEEEEE10hipError_tT0_T1_T2_jT3_P12ihipStream_tbPNSt15iterator_traitsISN_E10value_typeEPNST_ISO_E10value_typeEPSP_NS1_7vsmem_tEENKUlT_SN_SO_SP_E_clIPjSG_PS9_SI_EESM_S12_SN_SO_SP_EUlS12_E0_NS1_11comp_targetILNS1_3genE0ELNS1_11target_archE4294967295ELNS1_3gpuE0ELNS1_3repE0EEENS1_38merge_mergepath_config_static_selectorELNS0_4arch9wavefront6targetE0EEEvSO_, .Lfunc_end99-_ZN7rocprim17ROCPRIM_400000_NS6detail17trampoline_kernelINS0_14default_configENS1_38merge_sort_block_merge_config_selectorIjN6thrust23THRUST_200600_302600_NS5tupleIffNS6_9null_typeES8_S8_S8_S8_S8_S8_S8_EEEEZZNS1_27merge_sort_block_merge_implIS3_NS6_6detail15normal_iteratorINS6_10device_ptrIjEEEENSD_INSE_IS9_EEEEjNS1_19radix_merge_compareILb0ELb1EjNS0_19identity_decomposerEEEEE10hipError_tT0_T1_T2_jT3_P12ihipStream_tbPNSt15iterator_traitsISN_E10value_typeEPNST_ISO_E10value_typeEPSP_NS1_7vsmem_tEENKUlT_SN_SO_SP_E_clIPjSG_PS9_SI_EESM_S12_SN_SO_SP_EUlS12_E0_NS1_11comp_targetILNS1_3genE0ELNS1_11target_archE4294967295ELNS1_3gpuE0ELNS1_3repE0EEENS1_38merge_mergepath_config_static_selectorELNS0_4arch9wavefront6targetE0EEEvSO_
                                        ; -- End function
	.set _ZN7rocprim17ROCPRIM_400000_NS6detail17trampoline_kernelINS0_14default_configENS1_38merge_sort_block_merge_config_selectorIjN6thrust23THRUST_200600_302600_NS5tupleIffNS6_9null_typeES8_S8_S8_S8_S8_S8_S8_EEEEZZNS1_27merge_sort_block_merge_implIS3_NS6_6detail15normal_iteratorINS6_10device_ptrIjEEEENSD_INSE_IS9_EEEEjNS1_19radix_merge_compareILb0ELb1EjNS0_19identity_decomposerEEEEE10hipError_tT0_T1_T2_jT3_P12ihipStream_tbPNSt15iterator_traitsISN_E10value_typeEPNST_ISO_E10value_typeEPSP_NS1_7vsmem_tEENKUlT_SN_SO_SP_E_clIPjSG_PS9_SI_EESM_S12_SN_SO_SP_EUlS12_E0_NS1_11comp_targetILNS1_3genE0ELNS1_11target_archE4294967295ELNS1_3gpuE0ELNS1_3repE0EEENS1_38merge_mergepath_config_static_selectorELNS0_4arch9wavefront6targetE0EEEvSO_.num_vgpr, 18
	.set _ZN7rocprim17ROCPRIM_400000_NS6detail17trampoline_kernelINS0_14default_configENS1_38merge_sort_block_merge_config_selectorIjN6thrust23THRUST_200600_302600_NS5tupleIffNS6_9null_typeES8_S8_S8_S8_S8_S8_S8_EEEEZZNS1_27merge_sort_block_merge_implIS3_NS6_6detail15normal_iteratorINS6_10device_ptrIjEEEENSD_INSE_IS9_EEEEjNS1_19radix_merge_compareILb0ELb1EjNS0_19identity_decomposerEEEEE10hipError_tT0_T1_T2_jT3_P12ihipStream_tbPNSt15iterator_traitsISN_E10value_typeEPNST_ISO_E10value_typeEPSP_NS1_7vsmem_tEENKUlT_SN_SO_SP_E_clIPjSG_PS9_SI_EESM_S12_SN_SO_SP_EUlS12_E0_NS1_11comp_targetILNS1_3genE0ELNS1_11target_archE4294967295ELNS1_3gpuE0ELNS1_3repE0EEENS1_38merge_mergepath_config_static_selectorELNS0_4arch9wavefront6targetE0EEEvSO_.num_agpr, 0
	.set _ZN7rocprim17ROCPRIM_400000_NS6detail17trampoline_kernelINS0_14default_configENS1_38merge_sort_block_merge_config_selectorIjN6thrust23THRUST_200600_302600_NS5tupleIffNS6_9null_typeES8_S8_S8_S8_S8_S8_S8_EEEEZZNS1_27merge_sort_block_merge_implIS3_NS6_6detail15normal_iteratorINS6_10device_ptrIjEEEENSD_INSE_IS9_EEEEjNS1_19radix_merge_compareILb0ELb1EjNS0_19identity_decomposerEEEEE10hipError_tT0_T1_T2_jT3_P12ihipStream_tbPNSt15iterator_traitsISN_E10value_typeEPNST_ISO_E10value_typeEPSP_NS1_7vsmem_tEENKUlT_SN_SO_SP_E_clIPjSG_PS9_SI_EESM_S12_SN_SO_SP_EUlS12_E0_NS1_11comp_targetILNS1_3genE0ELNS1_11target_archE4294967295ELNS1_3gpuE0ELNS1_3repE0EEENS1_38merge_mergepath_config_static_selectorELNS0_4arch9wavefront6targetE0EEEvSO_.numbered_sgpr, 32
	.set _ZN7rocprim17ROCPRIM_400000_NS6detail17trampoline_kernelINS0_14default_configENS1_38merge_sort_block_merge_config_selectorIjN6thrust23THRUST_200600_302600_NS5tupleIffNS6_9null_typeES8_S8_S8_S8_S8_S8_S8_EEEEZZNS1_27merge_sort_block_merge_implIS3_NS6_6detail15normal_iteratorINS6_10device_ptrIjEEEENSD_INSE_IS9_EEEEjNS1_19radix_merge_compareILb0ELb1EjNS0_19identity_decomposerEEEEE10hipError_tT0_T1_T2_jT3_P12ihipStream_tbPNSt15iterator_traitsISN_E10value_typeEPNST_ISO_E10value_typeEPSP_NS1_7vsmem_tEENKUlT_SN_SO_SP_E_clIPjSG_PS9_SI_EESM_S12_SN_SO_SP_EUlS12_E0_NS1_11comp_targetILNS1_3genE0ELNS1_11target_archE4294967295ELNS1_3gpuE0ELNS1_3repE0EEENS1_38merge_mergepath_config_static_selectorELNS0_4arch9wavefront6targetE0EEEvSO_.num_named_barrier, 0
	.set _ZN7rocprim17ROCPRIM_400000_NS6detail17trampoline_kernelINS0_14default_configENS1_38merge_sort_block_merge_config_selectorIjN6thrust23THRUST_200600_302600_NS5tupleIffNS6_9null_typeES8_S8_S8_S8_S8_S8_S8_EEEEZZNS1_27merge_sort_block_merge_implIS3_NS6_6detail15normal_iteratorINS6_10device_ptrIjEEEENSD_INSE_IS9_EEEEjNS1_19radix_merge_compareILb0ELb1EjNS0_19identity_decomposerEEEEE10hipError_tT0_T1_T2_jT3_P12ihipStream_tbPNSt15iterator_traitsISN_E10value_typeEPNST_ISO_E10value_typeEPSP_NS1_7vsmem_tEENKUlT_SN_SO_SP_E_clIPjSG_PS9_SI_EESM_S12_SN_SO_SP_EUlS12_E0_NS1_11comp_targetILNS1_3genE0ELNS1_11target_archE4294967295ELNS1_3gpuE0ELNS1_3repE0EEENS1_38merge_mergepath_config_static_selectorELNS0_4arch9wavefront6targetE0EEEvSO_.private_seg_size, 0
	.set _ZN7rocprim17ROCPRIM_400000_NS6detail17trampoline_kernelINS0_14default_configENS1_38merge_sort_block_merge_config_selectorIjN6thrust23THRUST_200600_302600_NS5tupleIffNS6_9null_typeES8_S8_S8_S8_S8_S8_S8_EEEEZZNS1_27merge_sort_block_merge_implIS3_NS6_6detail15normal_iteratorINS6_10device_ptrIjEEEENSD_INSE_IS9_EEEEjNS1_19radix_merge_compareILb0ELb1EjNS0_19identity_decomposerEEEEE10hipError_tT0_T1_T2_jT3_P12ihipStream_tbPNSt15iterator_traitsISN_E10value_typeEPNST_ISO_E10value_typeEPSP_NS1_7vsmem_tEENKUlT_SN_SO_SP_E_clIPjSG_PS9_SI_EESM_S12_SN_SO_SP_EUlS12_E0_NS1_11comp_targetILNS1_3genE0ELNS1_11target_archE4294967295ELNS1_3gpuE0ELNS1_3repE0EEENS1_38merge_mergepath_config_static_selectorELNS0_4arch9wavefront6targetE0EEEvSO_.uses_vcc, 1
	.set _ZN7rocprim17ROCPRIM_400000_NS6detail17trampoline_kernelINS0_14default_configENS1_38merge_sort_block_merge_config_selectorIjN6thrust23THRUST_200600_302600_NS5tupleIffNS6_9null_typeES8_S8_S8_S8_S8_S8_S8_EEEEZZNS1_27merge_sort_block_merge_implIS3_NS6_6detail15normal_iteratorINS6_10device_ptrIjEEEENSD_INSE_IS9_EEEEjNS1_19radix_merge_compareILb0ELb1EjNS0_19identity_decomposerEEEEE10hipError_tT0_T1_T2_jT3_P12ihipStream_tbPNSt15iterator_traitsISN_E10value_typeEPNST_ISO_E10value_typeEPSP_NS1_7vsmem_tEENKUlT_SN_SO_SP_E_clIPjSG_PS9_SI_EESM_S12_SN_SO_SP_EUlS12_E0_NS1_11comp_targetILNS1_3genE0ELNS1_11target_archE4294967295ELNS1_3gpuE0ELNS1_3repE0EEENS1_38merge_mergepath_config_static_selectorELNS0_4arch9wavefront6targetE0EEEvSO_.uses_flat_scratch, 0
	.set _ZN7rocprim17ROCPRIM_400000_NS6detail17trampoline_kernelINS0_14default_configENS1_38merge_sort_block_merge_config_selectorIjN6thrust23THRUST_200600_302600_NS5tupleIffNS6_9null_typeES8_S8_S8_S8_S8_S8_S8_EEEEZZNS1_27merge_sort_block_merge_implIS3_NS6_6detail15normal_iteratorINS6_10device_ptrIjEEEENSD_INSE_IS9_EEEEjNS1_19radix_merge_compareILb0ELb1EjNS0_19identity_decomposerEEEEE10hipError_tT0_T1_T2_jT3_P12ihipStream_tbPNSt15iterator_traitsISN_E10value_typeEPNST_ISO_E10value_typeEPSP_NS1_7vsmem_tEENKUlT_SN_SO_SP_E_clIPjSG_PS9_SI_EESM_S12_SN_SO_SP_EUlS12_E0_NS1_11comp_targetILNS1_3genE0ELNS1_11target_archE4294967295ELNS1_3gpuE0ELNS1_3repE0EEENS1_38merge_mergepath_config_static_selectorELNS0_4arch9wavefront6targetE0EEEvSO_.has_dyn_sized_stack, 0
	.set _ZN7rocprim17ROCPRIM_400000_NS6detail17trampoline_kernelINS0_14default_configENS1_38merge_sort_block_merge_config_selectorIjN6thrust23THRUST_200600_302600_NS5tupleIffNS6_9null_typeES8_S8_S8_S8_S8_S8_S8_EEEEZZNS1_27merge_sort_block_merge_implIS3_NS6_6detail15normal_iteratorINS6_10device_ptrIjEEEENSD_INSE_IS9_EEEEjNS1_19radix_merge_compareILb0ELb1EjNS0_19identity_decomposerEEEEE10hipError_tT0_T1_T2_jT3_P12ihipStream_tbPNSt15iterator_traitsISN_E10value_typeEPNST_ISO_E10value_typeEPSP_NS1_7vsmem_tEENKUlT_SN_SO_SP_E_clIPjSG_PS9_SI_EESM_S12_SN_SO_SP_EUlS12_E0_NS1_11comp_targetILNS1_3genE0ELNS1_11target_archE4294967295ELNS1_3gpuE0ELNS1_3repE0EEENS1_38merge_mergepath_config_static_selectorELNS0_4arch9wavefront6targetE0EEEvSO_.has_recursion, 0
	.set _ZN7rocprim17ROCPRIM_400000_NS6detail17trampoline_kernelINS0_14default_configENS1_38merge_sort_block_merge_config_selectorIjN6thrust23THRUST_200600_302600_NS5tupleIffNS6_9null_typeES8_S8_S8_S8_S8_S8_S8_EEEEZZNS1_27merge_sort_block_merge_implIS3_NS6_6detail15normal_iteratorINS6_10device_ptrIjEEEENSD_INSE_IS9_EEEEjNS1_19radix_merge_compareILb0ELb1EjNS0_19identity_decomposerEEEEE10hipError_tT0_T1_T2_jT3_P12ihipStream_tbPNSt15iterator_traitsISN_E10value_typeEPNST_ISO_E10value_typeEPSP_NS1_7vsmem_tEENKUlT_SN_SO_SP_E_clIPjSG_PS9_SI_EESM_S12_SN_SO_SP_EUlS12_E0_NS1_11comp_targetILNS1_3genE0ELNS1_11target_archE4294967295ELNS1_3gpuE0ELNS1_3repE0EEENS1_38merge_mergepath_config_static_selectorELNS0_4arch9wavefront6targetE0EEEvSO_.has_indirect_call, 0
	.section	.AMDGPU.csdata,"",@progbits
; Kernel info:
; codeLenInByte = 2228
; TotalNumSgprs: 34
; NumVgprs: 18
; ScratchSize: 0
; MemoryBound: 0
; FloatMode: 240
; IeeeMode: 1
; LDSByteSize: 8448 bytes/workgroup (compile time only)
; SGPRBlocks: 0
; VGPRBlocks: 1
; NumSGPRsForWavesPerEU: 34
; NumVGPRsForWavesPerEU: 18
; NamedBarCnt: 0
; Occupancy: 16
; WaveLimiterHint : 1
; COMPUTE_PGM_RSRC2:SCRATCH_EN: 0
; COMPUTE_PGM_RSRC2:USER_SGPR: 2
; COMPUTE_PGM_RSRC2:TRAP_HANDLER: 0
; COMPUTE_PGM_RSRC2:TGID_X_EN: 1
; COMPUTE_PGM_RSRC2:TGID_Y_EN: 1
; COMPUTE_PGM_RSRC2:TGID_Z_EN: 1
; COMPUTE_PGM_RSRC2:TIDIG_COMP_CNT: 0
	.section	.text._ZN7rocprim17ROCPRIM_400000_NS6detail17trampoline_kernelINS0_14default_configENS1_38merge_sort_block_merge_config_selectorIjN6thrust23THRUST_200600_302600_NS5tupleIffNS6_9null_typeES8_S8_S8_S8_S8_S8_S8_EEEEZZNS1_27merge_sort_block_merge_implIS3_NS6_6detail15normal_iteratorINS6_10device_ptrIjEEEENSD_INSE_IS9_EEEEjNS1_19radix_merge_compareILb0ELb1EjNS0_19identity_decomposerEEEEE10hipError_tT0_T1_T2_jT3_P12ihipStream_tbPNSt15iterator_traitsISN_E10value_typeEPNST_ISO_E10value_typeEPSP_NS1_7vsmem_tEENKUlT_SN_SO_SP_E_clIPjSG_PS9_SI_EESM_S12_SN_SO_SP_EUlS12_E0_NS1_11comp_targetILNS1_3genE10ELNS1_11target_archE1201ELNS1_3gpuE5ELNS1_3repE0EEENS1_38merge_mergepath_config_static_selectorELNS0_4arch9wavefront6targetE0EEEvSO_,"axG",@progbits,_ZN7rocprim17ROCPRIM_400000_NS6detail17trampoline_kernelINS0_14default_configENS1_38merge_sort_block_merge_config_selectorIjN6thrust23THRUST_200600_302600_NS5tupleIffNS6_9null_typeES8_S8_S8_S8_S8_S8_S8_EEEEZZNS1_27merge_sort_block_merge_implIS3_NS6_6detail15normal_iteratorINS6_10device_ptrIjEEEENSD_INSE_IS9_EEEEjNS1_19radix_merge_compareILb0ELb1EjNS0_19identity_decomposerEEEEE10hipError_tT0_T1_T2_jT3_P12ihipStream_tbPNSt15iterator_traitsISN_E10value_typeEPNST_ISO_E10value_typeEPSP_NS1_7vsmem_tEENKUlT_SN_SO_SP_E_clIPjSG_PS9_SI_EESM_S12_SN_SO_SP_EUlS12_E0_NS1_11comp_targetILNS1_3genE10ELNS1_11target_archE1201ELNS1_3gpuE5ELNS1_3repE0EEENS1_38merge_mergepath_config_static_selectorELNS0_4arch9wavefront6targetE0EEEvSO_,comdat
	.protected	_ZN7rocprim17ROCPRIM_400000_NS6detail17trampoline_kernelINS0_14default_configENS1_38merge_sort_block_merge_config_selectorIjN6thrust23THRUST_200600_302600_NS5tupleIffNS6_9null_typeES8_S8_S8_S8_S8_S8_S8_EEEEZZNS1_27merge_sort_block_merge_implIS3_NS6_6detail15normal_iteratorINS6_10device_ptrIjEEEENSD_INSE_IS9_EEEEjNS1_19radix_merge_compareILb0ELb1EjNS0_19identity_decomposerEEEEE10hipError_tT0_T1_T2_jT3_P12ihipStream_tbPNSt15iterator_traitsISN_E10value_typeEPNST_ISO_E10value_typeEPSP_NS1_7vsmem_tEENKUlT_SN_SO_SP_E_clIPjSG_PS9_SI_EESM_S12_SN_SO_SP_EUlS12_E0_NS1_11comp_targetILNS1_3genE10ELNS1_11target_archE1201ELNS1_3gpuE5ELNS1_3repE0EEENS1_38merge_mergepath_config_static_selectorELNS0_4arch9wavefront6targetE0EEEvSO_ ; -- Begin function _ZN7rocprim17ROCPRIM_400000_NS6detail17trampoline_kernelINS0_14default_configENS1_38merge_sort_block_merge_config_selectorIjN6thrust23THRUST_200600_302600_NS5tupleIffNS6_9null_typeES8_S8_S8_S8_S8_S8_S8_EEEEZZNS1_27merge_sort_block_merge_implIS3_NS6_6detail15normal_iteratorINS6_10device_ptrIjEEEENSD_INSE_IS9_EEEEjNS1_19radix_merge_compareILb0ELb1EjNS0_19identity_decomposerEEEEE10hipError_tT0_T1_T2_jT3_P12ihipStream_tbPNSt15iterator_traitsISN_E10value_typeEPNST_ISO_E10value_typeEPSP_NS1_7vsmem_tEENKUlT_SN_SO_SP_E_clIPjSG_PS9_SI_EESM_S12_SN_SO_SP_EUlS12_E0_NS1_11comp_targetILNS1_3genE10ELNS1_11target_archE1201ELNS1_3gpuE5ELNS1_3repE0EEENS1_38merge_mergepath_config_static_selectorELNS0_4arch9wavefront6targetE0EEEvSO_
	.globl	_ZN7rocprim17ROCPRIM_400000_NS6detail17trampoline_kernelINS0_14default_configENS1_38merge_sort_block_merge_config_selectorIjN6thrust23THRUST_200600_302600_NS5tupleIffNS6_9null_typeES8_S8_S8_S8_S8_S8_S8_EEEEZZNS1_27merge_sort_block_merge_implIS3_NS6_6detail15normal_iteratorINS6_10device_ptrIjEEEENSD_INSE_IS9_EEEEjNS1_19radix_merge_compareILb0ELb1EjNS0_19identity_decomposerEEEEE10hipError_tT0_T1_T2_jT3_P12ihipStream_tbPNSt15iterator_traitsISN_E10value_typeEPNST_ISO_E10value_typeEPSP_NS1_7vsmem_tEENKUlT_SN_SO_SP_E_clIPjSG_PS9_SI_EESM_S12_SN_SO_SP_EUlS12_E0_NS1_11comp_targetILNS1_3genE10ELNS1_11target_archE1201ELNS1_3gpuE5ELNS1_3repE0EEENS1_38merge_mergepath_config_static_selectorELNS0_4arch9wavefront6targetE0EEEvSO_
	.p2align	8
	.type	_ZN7rocprim17ROCPRIM_400000_NS6detail17trampoline_kernelINS0_14default_configENS1_38merge_sort_block_merge_config_selectorIjN6thrust23THRUST_200600_302600_NS5tupleIffNS6_9null_typeES8_S8_S8_S8_S8_S8_S8_EEEEZZNS1_27merge_sort_block_merge_implIS3_NS6_6detail15normal_iteratorINS6_10device_ptrIjEEEENSD_INSE_IS9_EEEEjNS1_19radix_merge_compareILb0ELb1EjNS0_19identity_decomposerEEEEE10hipError_tT0_T1_T2_jT3_P12ihipStream_tbPNSt15iterator_traitsISN_E10value_typeEPNST_ISO_E10value_typeEPSP_NS1_7vsmem_tEENKUlT_SN_SO_SP_E_clIPjSG_PS9_SI_EESM_S12_SN_SO_SP_EUlS12_E0_NS1_11comp_targetILNS1_3genE10ELNS1_11target_archE1201ELNS1_3gpuE5ELNS1_3repE0EEENS1_38merge_mergepath_config_static_selectorELNS0_4arch9wavefront6targetE0EEEvSO_,@function
_ZN7rocprim17ROCPRIM_400000_NS6detail17trampoline_kernelINS0_14default_configENS1_38merge_sort_block_merge_config_selectorIjN6thrust23THRUST_200600_302600_NS5tupleIffNS6_9null_typeES8_S8_S8_S8_S8_S8_S8_EEEEZZNS1_27merge_sort_block_merge_implIS3_NS6_6detail15normal_iteratorINS6_10device_ptrIjEEEENSD_INSE_IS9_EEEEjNS1_19radix_merge_compareILb0ELb1EjNS0_19identity_decomposerEEEEE10hipError_tT0_T1_T2_jT3_P12ihipStream_tbPNSt15iterator_traitsISN_E10value_typeEPNST_ISO_E10value_typeEPSP_NS1_7vsmem_tEENKUlT_SN_SO_SP_E_clIPjSG_PS9_SI_EESM_S12_SN_SO_SP_EUlS12_E0_NS1_11comp_targetILNS1_3genE10ELNS1_11target_archE1201ELNS1_3gpuE5ELNS1_3repE0EEENS1_38merge_mergepath_config_static_selectorELNS0_4arch9wavefront6targetE0EEEvSO_: ; @_ZN7rocprim17ROCPRIM_400000_NS6detail17trampoline_kernelINS0_14default_configENS1_38merge_sort_block_merge_config_selectorIjN6thrust23THRUST_200600_302600_NS5tupleIffNS6_9null_typeES8_S8_S8_S8_S8_S8_S8_EEEEZZNS1_27merge_sort_block_merge_implIS3_NS6_6detail15normal_iteratorINS6_10device_ptrIjEEEENSD_INSE_IS9_EEEEjNS1_19radix_merge_compareILb0ELb1EjNS0_19identity_decomposerEEEEE10hipError_tT0_T1_T2_jT3_P12ihipStream_tbPNSt15iterator_traitsISN_E10value_typeEPNST_ISO_E10value_typeEPSP_NS1_7vsmem_tEENKUlT_SN_SO_SP_E_clIPjSG_PS9_SI_EESM_S12_SN_SO_SP_EUlS12_E0_NS1_11comp_targetILNS1_3genE10ELNS1_11target_archE1201ELNS1_3gpuE5ELNS1_3repE0EEENS1_38merge_mergepath_config_static_selectorELNS0_4arch9wavefront6targetE0EEEvSO_
; %bb.0:
	.section	.rodata,"a",@progbits
	.p2align	6, 0x0
	.amdhsa_kernel _ZN7rocprim17ROCPRIM_400000_NS6detail17trampoline_kernelINS0_14default_configENS1_38merge_sort_block_merge_config_selectorIjN6thrust23THRUST_200600_302600_NS5tupleIffNS6_9null_typeES8_S8_S8_S8_S8_S8_S8_EEEEZZNS1_27merge_sort_block_merge_implIS3_NS6_6detail15normal_iteratorINS6_10device_ptrIjEEEENSD_INSE_IS9_EEEEjNS1_19radix_merge_compareILb0ELb1EjNS0_19identity_decomposerEEEEE10hipError_tT0_T1_T2_jT3_P12ihipStream_tbPNSt15iterator_traitsISN_E10value_typeEPNST_ISO_E10value_typeEPSP_NS1_7vsmem_tEENKUlT_SN_SO_SP_E_clIPjSG_PS9_SI_EESM_S12_SN_SO_SP_EUlS12_E0_NS1_11comp_targetILNS1_3genE10ELNS1_11target_archE1201ELNS1_3gpuE5ELNS1_3repE0EEENS1_38merge_mergepath_config_static_selectorELNS0_4arch9wavefront6targetE0EEEvSO_
		.amdhsa_group_segment_fixed_size 0
		.amdhsa_private_segment_fixed_size 0
		.amdhsa_kernarg_size 64
		.amdhsa_user_sgpr_count 2
		.amdhsa_user_sgpr_dispatch_ptr 0
		.amdhsa_user_sgpr_queue_ptr 0
		.amdhsa_user_sgpr_kernarg_segment_ptr 1
		.amdhsa_user_sgpr_dispatch_id 0
		.amdhsa_user_sgpr_kernarg_preload_length 0
		.amdhsa_user_sgpr_kernarg_preload_offset 0
		.amdhsa_user_sgpr_private_segment_size 0
		.amdhsa_wavefront_size32 1
		.amdhsa_uses_dynamic_stack 0
		.amdhsa_enable_private_segment 0
		.amdhsa_system_sgpr_workgroup_id_x 1
		.amdhsa_system_sgpr_workgroup_id_y 0
		.amdhsa_system_sgpr_workgroup_id_z 0
		.amdhsa_system_sgpr_workgroup_info 0
		.amdhsa_system_vgpr_workitem_id 0
		.amdhsa_next_free_vgpr 1
		.amdhsa_next_free_sgpr 1
		.amdhsa_named_barrier_count 0
		.amdhsa_reserve_vcc 0
		.amdhsa_float_round_mode_32 0
		.amdhsa_float_round_mode_16_64 0
		.amdhsa_float_denorm_mode_32 3
		.amdhsa_float_denorm_mode_16_64 3
		.amdhsa_fp16_overflow 0
		.amdhsa_memory_ordered 1
		.amdhsa_forward_progress 1
		.amdhsa_inst_pref_size 0
		.amdhsa_round_robin_scheduling 0
		.amdhsa_exception_fp_ieee_invalid_op 0
		.amdhsa_exception_fp_denorm_src 0
		.amdhsa_exception_fp_ieee_div_zero 0
		.amdhsa_exception_fp_ieee_overflow 0
		.amdhsa_exception_fp_ieee_underflow 0
		.amdhsa_exception_fp_ieee_inexact 0
		.amdhsa_exception_int_div_zero 0
	.end_amdhsa_kernel
	.section	.text._ZN7rocprim17ROCPRIM_400000_NS6detail17trampoline_kernelINS0_14default_configENS1_38merge_sort_block_merge_config_selectorIjN6thrust23THRUST_200600_302600_NS5tupleIffNS6_9null_typeES8_S8_S8_S8_S8_S8_S8_EEEEZZNS1_27merge_sort_block_merge_implIS3_NS6_6detail15normal_iteratorINS6_10device_ptrIjEEEENSD_INSE_IS9_EEEEjNS1_19radix_merge_compareILb0ELb1EjNS0_19identity_decomposerEEEEE10hipError_tT0_T1_T2_jT3_P12ihipStream_tbPNSt15iterator_traitsISN_E10value_typeEPNST_ISO_E10value_typeEPSP_NS1_7vsmem_tEENKUlT_SN_SO_SP_E_clIPjSG_PS9_SI_EESM_S12_SN_SO_SP_EUlS12_E0_NS1_11comp_targetILNS1_3genE10ELNS1_11target_archE1201ELNS1_3gpuE5ELNS1_3repE0EEENS1_38merge_mergepath_config_static_selectorELNS0_4arch9wavefront6targetE0EEEvSO_,"axG",@progbits,_ZN7rocprim17ROCPRIM_400000_NS6detail17trampoline_kernelINS0_14default_configENS1_38merge_sort_block_merge_config_selectorIjN6thrust23THRUST_200600_302600_NS5tupleIffNS6_9null_typeES8_S8_S8_S8_S8_S8_S8_EEEEZZNS1_27merge_sort_block_merge_implIS3_NS6_6detail15normal_iteratorINS6_10device_ptrIjEEEENSD_INSE_IS9_EEEEjNS1_19radix_merge_compareILb0ELb1EjNS0_19identity_decomposerEEEEE10hipError_tT0_T1_T2_jT3_P12ihipStream_tbPNSt15iterator_traitsISN_E10value_typeEPNST_ISO_E10value_typeEPSP_NS1_7vsmem_tEENKUlT_SN_SO_SP_E_clIPjSG_PS9_SI_EESM_S12_SN_SO_SP_EUlS12_E0_NS1_11comp_targetILNS1_3genE10ELNS1_11target_archE1201ELNS1_3gpuE5ELNS1_3repE0EEENS1_38merge_mergepath_config_static_selectorELNS0_4arch9wavefront6targetE0EEEvSO_,comdat
.Lfunc_end100:
	.size	_ZN7rocprim17ROCPRIM_400000_NS6detail17trampoline_kernelINS0_14default_configENS1_38merge_sort_block_merge_config_selectorIjN6thrust23THRUST_200600_302600_NS5tupleIffNS6_9null_typeES8_S8_S8_S8_S8_S8_S8_EEEEZZNS1_27merge_sort_block_merge_implIS3_NS6_6detail15normal_iteratorINS6_10device_ptrIjEEEENSD_INSE_IS9_EEEEjNS1_19radix_merge_compareILb0ELb1EjNS0_19identity_decomposerEEEEE10hipError_tT0_T1_T2_jT3_P12ihipStream_tbPNSt15iterator_traitsISN_E10value_typeEPNST_ISO_E10value_typeEPSP_NS1_7vsmem_tEENKUlT_SN_SO_SP_E_clIPjSG_PS9_SI_EESM_S12_SN_SO_SP_EUlS12_E0_NS1_11comp_targetILNS1_3genE10ELNS1_11target_archE1201ELNS1_3gpuE5ELNS1_3repE0EEENS1_38merge_mergepath_config_static_selectorELNS0_4arch9wavefront6targetE0EEEvSO_, .Lfunc_end100-_ZN7rocprim17ROCPRIM_400000_NS6detail17trampoline_kernelINS0_14default_configENS1_38merge_sort_block_merge_config_selectorIjN6thrust23THRUST_200600_302600_NS5tupleIffNS6_9null_typeES8_S8_S8_S8_S8_S8_S8_EEEEZZNS1_27merge_sort_block_merge_implIS3_NS6_6detail15normal_iteratorINS6_10device_ptrIjEEEENSD_INSE_IS9_EEEEjNS1_19radix_merge_compareILb0ELb1EjNS0_19identity_decomposerEEEEE10hipError_tT0_T1_T2_jT3_P12ihipStream_tbPNSt15iterator_traitsISN_E10value_typeEPNST_ISO_E10value_typeEPSP_NS1_7vsmem_tEENKUlT_SN_SO_SP_E_clIPjSG_PS9_SI_EESM_S12_SN_SO_SP_EUlS12_E0_NS1_11comp_targetILNS1_3genE10ELNS1_11target_archE1201ELNS1_3gpuE5ELNS1_3repE0EEENS1_38merge_mergepath_config_static_selectorELNS0_4arch9wavefront6targetE0EEEvSO_
                                        ; -- End function
	.set _ZN7rocprim17ROCPRIM_400000_NS6detail17trampoline_kernelINS0_14default_configENS1_38merge_sort_block_merge_config_selectorIjN6thrust23THRUST_200600_302600_NS5tupleIffNS6_9null_typeES8_S8_S8_S8_S8_S8_S8_EEEEZZNS1_27merge_sort_block_merge_implIS3_NS6_6detail15normal_iteratorINS6_10device_ptrIjEEEENSD_INSE_IS9_EEEEjNS1_19radix_merge_compareILb0ELb1EjNS0_19identity_decomposerEEEEE10hipError_tT0_T1_T2_jT3_P12ihipStream_tbPNSt15iterator_traitsISN_E10value_typeEPNST_ISO_E10value_typeEPSP_NS1_7vsmem_tEENKUlT_SN_SO_SP_E_clIPjSG_PS9_SI_EESM_S12_SN_SO_SP_EUlS12_E0_NS1_11comp_targetILNS1_3genE10ELNS1_11target_archE1201ELNS1_3gpuE5ELNS1_3repE0EEENS1_38merge_mergepath_config_static_selectorELNS0_4arch9wavefront6targetE0EEEvSO_.num_vgpr, 0
	.set _ZN7rocprim17ROCPRIM_400000_NS6detail17trampoline_kernelINS0_14default_configENS1_38merge_sort_block_merge_config_selectorIjN6thrust23THRUST_200600_302600_NS5tupleIffNS6_9null_typeES8_S8_S8_S8_S8_S8_S8_EEEEZZNS1_27merge_sort_block_merge_implIS3_NS6_6detail15normal_iteratorINS6_10device_ptrIjEEEENSD_INSE_IS9_EEEEjNS1_19radix_merge_compareILb0ELb1EjNS0_19identity_decomposerEEEEE10hipError_tT0_T1_T2_jT3_P12ihipStream_tbPNSt15iterator_traitsISN_E10value_typeEPNST_ISO_E10value_typeEPSP_NS1_7vsmem_tEENKUlT_SN_SO_SP_E_clIPjSG_PS9_SI_EESM_S12_SN_SO_SP_EUlS12_E0_NS1_11comp_targetILNS1_3genE10ELNS1_11target_archE1201ELNS1_3gpuE5ELNS1_3repE0EEENS1_38merge_mergepath_config_static_selectorELNS0_4arch9wavefront6targetE0EEEvSO_.num_agpr, 0
	.set _ZN7rocprim17ROCPRIM_400000_NS6detail17trampoline_kernelINS0_14default_configENS1_38merge_sort_block_merge_config_selectorIjN6thrust23THRUST_200600_302600_NS5tupleIffNS6_9null_typeES8_S8_S8_S8_S8_S8_S8_EEEEZZNS1_27merge_sort_block_merge_implIS3_NS6_6detail15normal_iteratorINS6_10device_ptrIjEEEENSD_INSE_IS9_EEEEjNS1_19radix_merge_compareILb0ELb1EjNS0_19identity_decomposerEEEEE10hipError_tT0_T1_T2_jT3_P12ihipStream_tbPNSt15iterator_traitsISN_E10value_typeEPNST_ISO_E10value_typeEPSP_NS1_7vsmem_tEENKUlT_SN_SO_SP_E_clIPjSG_PS9_SI_EESM_S12_SN_SO_SP_EUlS12_E0_NS1_11comp_targetILNS1_3genE10ELNS1_11target_archE1201ELNS1_3gpuE5ELNS1_3repE0EEENS1_38merge_mergepath_config_static_selectorELNS0_4arch9wavefront6targetE0EEEvSO_.numbered_sgpr, 0
	.set _ZN7rocprim17ROCPRIM_400000_NS6detail17trampoline_kernelINS0_14default_configENS1_38merge_sort_block_merge_config_selectorIjN6thrust23THRUST_200600_302600_NS5tupleIffNS6_9null_typeES8_S8_S8_S8_S8_S8_S8_EEEEZZNS1_27merge_sort_block_merge_implIS3_NS6_6detail15normal_iteratorINS6_10device_ptrIjEEEENSD_INSE_IS9_EEEEjNS1_19radix_merge_compareILb0ELb1EjNS0_19identity_decomposerEEEEE10hipError_tT0_T1_T2_jT3_P12ihipStream_tbPNSt15iterator_traitsISN_E10value_typeEPNST_ISO_E10value_typeEPSP_NS1_7vsmem_tEENKUlT_SN_SO_SP_E_clIPjSG_PS9_SI_EESM_S12_SN_SO_SP_EUlS12_E0_NS1_11comp_targetILNS1_3genE10ELNS1_11target_archE1201ELNS1_3gpuE5ELNS1_3repE0EEENS1_38merge_mergepath_config_static_selectorELNS0_4arch9wavefront6targetE0EEEvSO_.num_named_barrier, 0
	.set _ZN7rocprim17ROCPRIM_400000_NS6detail17trampoline_kernelINS0_14default_configENS1_38merge_sort_block_merge_config_selectorIjN6thrust23THRUST_200600_302600_NS5tupleIffNS6_9null_typeES8_S8_S8_S8_S8_S8_S8_EEEEZZNS1_27merge_sort_block_merge_implIS3_NS6_6detail15normal_iteratorINS6_10device_ptrIjEEEENSD_INSE_IS9_EEEEjNS1_19radix_merge_compareILb0ELb1EjNS0_19identity_decomposerEEEEE10hipError_tT0_T1_T2_jT3_P12ihipStream_tbPNSt15iterator_traitsISN_E10value_typeEPNST_ISO_E10value_typeEPSP_NS1_7vsmem_tEENKUlT_SN_SO_SP_E_clIPjSG_PS9_SI_EESM_S12_SN_SO_SP_EUlS12_E0_NS1_11comp_targetILNS1_3genE10ELNS1_11target_archE1201ELNS1_3gpuE5ELNS1_3repE0EEENS1_38merge_mergepath_config_static_selectorELNS0_4arch9wavefront6targetE0EEEvSO_.private_seg_size, 0
	.set _ZN7rocprim17ROCPRIM_400000_NS6detail17trampoline_kernelINS0_14default_configENS1_38merge_sort_block_merge_config_selectorIjN6thrust23THRUST_200600_302600_NS5tupleIffNS6_9null_typeES8_S8_S8_S8_S8_S8_S8_EEEEZZNS1_27merge_sort_block_merge_implIS3_NS6_6detail15normal_iteratorINS6_10device_ptrIjEEEENSD_INSE_IS9_EEEEjNS1_19radix_merge_compareILb0ELb1EjNS0_19identity_decomposerEEEEE10hipError_tT0_T1_T2_jT3_P12ihipStream_tbPNSt15iterator_traitsISN_E10value_typeEPNST_ISO_E10value_typeEPSP_NS1_7vsmem_tEENKUlT_SN_SO_SP_E_clIPjSG_PS9_SI_EESM_S12_SN_SO_SP_EUlS12_E0_NS1_11comp_targetILNS1_3genE10ELNS1_11target_archE1201ELNS1_3gpuE5ELNS1_3repE0EEENS1_38merge_mergepath_config_static_selectorELNS0_4arch9wavefront6targetE0EEEvSO_.uses_vcc, 0
	.set _ZN7rocprim17ROCPRIM_400000_NS6detail17trampoline_kernelINS0_14default_configENS1_38merge_sort_block_merge_config_selectorIjN6thrust23THRUST_200600_302600_NS5tupleIffNS6_9null_typeES8_S8_S8_S8_S8_S8_S8_EEEEZZNS1_27merge_sort_block_merge_implIS3_NS6_6detail15normal_iteratorINS6_10device_ptrIjEEEENSD_INSE_IS9_EEEEjNS1_19radix_merge_compareILb0ELb1EjNS0_19identity_decomposerEEEEE10hipError_tT0_T1_T2_jT3_P12ihipStream_tbPNSt15iterator_traitsISN_E10value_typeEPNST_ISO_E10value_typeEPSP_NS1_7vsmem_tEENKUlT_SN_SO_SP_E_clIPjSG_PS9_SI_EESM_S12_SN_SO_SP_EUlS12_E0_NS1_11comp_targetILNS1_3genE10ELNS1_11target_archE1201ELNS1_3gpuE5ELNS1_3repE0EEENS1_38merge_mergepath_config_static_selectorELNS0_4arch9wavefront6targetE0EEEvSO_.uses_flat_scratch, 0
	.set _ZN7rocprim17ROCPRIM_400000_NS6detail17trampoline_kernelINS0_14default_configENS1_38merge_sort_block_merge_config_selectorIjN6thrust23THRUST_200600_302600_NS5tupleIffNS6_9null_typeES8_S8_S8_S8_S8_S8_S8_EEEEZZNS1_27merge_sort_block_merge_implIS3_NS6_6detail15normal_iteratorINS6_10device_ptrIjEEEENSD_INSE_IS9_EEEEjNS1_19radix_merge_compareILb0ELb1EjNS0_19identity_decomposerEEEEE10hipError_tT0_T1_T2_jT3_P12ihipStream_tbPNSt15iterator_traitsISN_E10value_typeEPNST_ISO_E10value_typeEPSP_NS1_7vsmem_tEENKUlT_SN_SO_SP_E_clIPjSG_PS9_SI_EESM_S12_SN_SO_SP_EUlS12_E0_NS1_11comp_targetILNS1_3genE10ELNS1_11target_archE1201ELNS1_3gpuE5ELNS1_3repE0EEENS1_38merge_mergepath_config_static_selectorELNS0_4arch9wavefront6targetE0EEEvSO_.has_dyn_sized_stack, 0
	.set _ZN7rocprim17ROCPRIM_400000_NS6detail17trampoline_kernelINS0_14default_configENS1_38merge_sort_block_merge_config_selectorIjN6thrust23THRUST_200600_302600_NS5tupleIffNS6_9null_typeES8_S8_S8_S8_S8_S8_S8_EEEEZZNS1_27merge_sort_block_merge_implIS3_NS6_6detail15normal_iteratorINS6_10device_ptrIjEEEENSD_INSE_IS9_EEEEjNS1_19radix_merge_compareILb0ELb1EjNS0_19identity_decomposerEEEEE10hipError_tT0_T1_T2_jT3_P12ihipStream_tbPNSt15iterator_traitsISN_E10value_typeEPNST_ISO_E10value_typeEPSP_NS1_7vsmem_tEENKUlT_SN_SO_SP_E_clIPjSG_PS9_SI_EESM_S12_SN_SO_SP_EUlS12_E0_NS1_11comp_targetILNS1_3genE10ELNS1_11target_archE1201ELNS1_3gpuE5ELNS1_3repE0EEENS1_38merge_mergepath_config_static_selectorELNS0_4arch9wavefront6targetE0EEEvSO_.has_recursion, 0
	.set _ZN7rocprim17ROCPRIM_400000_NS6detail17trampoline_kernelINS0_14default_configENS1_38merge_sort_block_merge_config_selectorIjN6thrust23THRUST_200600_302600_NS5tupleIffNS6_9null_typeES8_S8_S8_S8_S8_S8_S8_EEEEZZNS1_27merge_sort_block_merge_implIS3_NS6_6detail15normal_iteratorINS6_10device_ptrIjEEEENSD_INSE_IS9_EEEEjNS1_19radix_merge_compareILb0ELb1EjNS0_19identity_decomposerEEEEE10hipError_tT0_T1_T2_jT3_P12ihipStream_tbPNSt15iterator_traitsISN_E10value_typeEPNST_ISO_E10value_typeEPSP_NS1_7vsmem_tEENKUlT_SN_SO_SP_E_clIPjSG_PS9_SI_EESM_S12_SN_SO_SP_EUlS12_E0_NS1_11comp_targetILNS1_3genE10ELNS1_11target_archE1201ELNS1_3gpuE5ELNS1_3repE0EEENS1_38merge_mergepath_config_static_selectorELNS0_4arch9wavefront6targetE0EEEvSO_.has_indirect_call, 0
	.section	.AMDGPU.csdata,"",@progbits
; Kernel info:
; codeLenInByte = 0
; TotalNumSgprs: 0
; NumVgprs: 0
; ScratchSize: 0
; MemoryBound: 0
; FloatMode: 240
; IeeeMode: 1
; LDSByteSize: 0 bytes/workgroup (compile time only)
; SGPRBlocks: 0
; VGPRBlocks: 0
; NumSGPRsForWavesPerEU: 1
; NumVGPRsForWavesPerEU: 1
; NamedBarCnt: 0
; Occupancy: 16
; WaveLimiterHint : 0
; COMPUTE_PGM_RSRC2:SCRATCH_EN: 0
; COMPUTE_PGM_RSRC2:USER_SGPR: 2
; COMPUTE_PGM_RSRC2:TRAP_HANDLER: 0
; COMPUTE_PGM_RSRC2:TGID_X_EN: 1
; COMPUTE_PGM_RSRC2:TGID_Y_EN: 0
; COMPUTE_PGM_RSRC2:TGID_Z_EN: 0
; COMPUTE_PGM_RSRC2:TIDIG_COMP_CNT: 0
	.section	.text._ZN7rocprim17ROCPRIM_400000_NS6detail17trampoline_kernelINS0_14default_configENS1_38merge_sort_block_merge_config_selectorIjN6thrust23THRUST_200600_302600_NS5tupleIffNS6_9null_typeES8_S8_S8_S8_S8_S8_S8_EEEEZZNS1_27merge_sort_block_merge_implIS3_NS6_6detail15normal_iteratorINS6_10device_ptrIjEEEENSD_INSE_IS9_EEEEjNS1_19radix_merge_compareILb0ELb1EjNS0_19identity_decomposerEEEEE10hipError_tT0_T1_T2_jT3_P12ihipStream_tbPNSt15iterator_traitsISN_E10value_typeEPNST_ISO_E10value_typeEPSP_NS1_7vsmem_tEENKUlT_SN_SO_SP_E_clIPjSG_PS9_SI_EESM_S12_SN_SO_SP_EUlS12_E0_NS1_11comp_targetILNS1_3genE5ELNS1_11target_archE942ELNS1_3gpuE9ELNS1_3repE0EEENS1_38merge_mergepath_config_static_selectorELNS0_4arch9wavefront6targetE0EEEvSO_,"axG",@progbits,_ZN7rocprim17ROCPRIM_400000_NS6detail17trampoline_kernelINS0_14default_configENS1_38merge_sort_block_merge_config_selectorIjN6thrust23THRUST_200600_302600_NS5tupleIffNS6_9null_typeES8_S8_S8_S8_S8_S8_S8_EEEEZZNS1_27merge_sort_block_merge_implIS3_NS6_6detail15normal_iteratorINS6_10device_ptrIjEEEENSD_INSE_IS9_EEEEjNS1_19radix_merge_compareILb0ELb1EjNS0_19identity_decomposerEEEEE10hipError_tT0_T1_T2_jT3_P12ihipStream_tbPNSt15iterator_traitsISN_E10value_typeEPNST_ISO_E10value_typeEPSP_NS1_7vsmem_tEENKUlT_SN_SO_SP_E_clIPjSG_PS9_SI_EESM_S12_SN_SO_SP_EUlS12_E0_NS1_11comp_targetILNS1_3genE5ELNS1_11target_archE942ELNS1_3gpuE9ELNS1_3repE0EEENS1_38merge_mergepath_config_static_selectorELNS0_4arch9wavefront6targetE0EEEvSO_,comdat
	.protected	_ZN7rocprim17ROCPRIM_400000_NS6detail17trampoline_kernelINS0_14default_configENS1_38merge_sort_block_merge_config_selectorIjN6thrust23THRUST_200600_302600_NS5tupleIffNS6_9null_typeES8_S8_S8_S8_S8_S8_S8_EEEEZZNS1_27merge_sort_block_merge_implIS3_NS6_6detail15normal_iteratorINS6_10device_ptrIjEEEENSD_INSE_IS9_EEEEjNS1_19radix_merge_compareILb0ELb1EjNS0_19identity_decomposerEEEEE10hipError_tT0_T1_T2_jT3_P12ihipStream_tbPNSt15iterator_traitsISN_E10value_typeEPNST_ISO_E10value_typeEPSP_NS1_7vsmem_tEENKUlT_SN_SO_SP_E_clIPjSG_PS9_SI_EESM_S12_SN_SO_SP_EUlS12_E0_NS1_11comp_targetILNS1_3genE5ELNS1_11target_archE942ELNS1_3gpuE9ELNS1_3repE0EEENS1_38merge_mergepath_config_static_selectorELNS0_4arch9wavefront6targetE0EEEvSO_ ; -- Begin function _ZN7rocprim17ROCPRIM_400000_NS6detail17trampoline_kernelINS0_14default_configENS1_38merge_sort_block_merge_config_selectorIjN6thrust23THRUST_200600_302600_NS5tupleIffNS6_9null_typeES8_S8_S8_S8_S8_S8_S8_EEEEZZNS1_27merge_sort_block_merge_implIS3_NS6_6detail15normal_iteratorINS6_10device_ptrIjEEEENSD_INSE_IS9_EEEEjNS1_19radix_merge_compareILb0ELb1EjNS0_19identity_decomposerEEEEE10hipError_tT0_T1_T2_jT3_P12ihipStream_tbPNSt15iterator_traitsISN_E10value_typeEPNST_ISO_E10value_typeEPSP_NS1_7vsmem_tEENKUlT_SN_SO_SP_E_clIPjSG_PS9_SI_EESM_S12_SN_SO_SP_EUlS12_E0_NS1_11comp_targetILNS1_3genE5ELNS1_11target_archE942ELNS1_3gpuE9ELNS1_3repE0EEENS1_38merge_mergepath_config_static_selectorELNS0_4arch9wavefront6targetE0EEEvSO_
	.globl	_ZN7rocprim17ROCPRIM_400000_NS6detail17trampoline_kernelINS0_14default_configENS1_38merge_sort_block_merge_config_selectorIjN6thrust23THRUST_200600_302600_NS5tupleIffNS6_9null_typeES8_S8_S8_S8_S8_S8_S8_EEEEZZNS1_27merge_sort_block_merge_implIS3_NS6_6detail15normal_iteratorINS6_10device_ptrIjEEEENSD_INSE_IS9_EEEEjNS1_19radix_merge_compareILb0ELb1EjNS0_19identity_decomposerEEEEE10hipError_tT0_T1_T2_jT3_P12ihipStream_tbPNSt15iterator_traitsISN_E10value_typeEPNST_ISO_E10value_typeEPSP_NS1_7vsmem_tEENKUlT_SN_SO_SP_E_clIPjSG_PS9_SI_EESM_S12_SN_SO_SP_EUlS12_E0_NS1_11comp_targetILNS1_3genE5ELNS1_11target_archE942ELNS1_3gpuE9ELNS1_3repE0EEENS1_38merge_mergepath_config_static_selectorELNS0_4arch9wavefront6targetE0EEEvSO_
	.p2align	8
	.type	_ZN7rocprim17ROCPRIM_400000_NS6detail17trampoline_kernelINS0_14default_configENS1_38merge_sort_block_merge_config_selectorIjN6thrust23THRUST_200600_302600_NS5tupleIffNS6_9null_typeES8_S8_S8_S8_S8_S8_S8_EEEEZZNS1_27merge_sort_block_merge_implIS3_NS6_6detail15normal_iteratorINS6_10device_ptrIjEEEENSD_INSE_IS9_EEEEjNS1_19radix_merge_compareILb0ELb1EjNS0_19identity_decomposerEEEEE10hipError_tT0_T1_T2_jT3_P12ihipStream_tbPNSt15iterator_traitsISN_E10value_typeEPNST_ISO_E10value_typeEPSP_NS1_7vsmem_tEENKUlT_SN_SO_SP_E_clIPjSG_PS9_SI_EESM_S12_SN_SO_SP_EUlS12_E0_NS1_11comp_targetILNS1_3genE5ELNS1_11target_archE942ELNS1_3gpuE9ELNS1_3repE0EEENS1_38merge_mergepath_config_static_selectorELNS0_4arch9wavefront6targetE0EEEvSO_,@function
_ZN7rocprim17ROCPRIM_400000_NS6detail17trampoline_kernelINS0_14default_configENS1_38merge_sort_block_merge_config_selectorIjN6thrust23THRUST_200600_302600_NS5tupleIffNS6_9null_typeES8_S8_S8_S8_S8_S8_S8_EEEEZZNS1_27merge_sort_block_merge_implIS3_NS6_6detail15normal_iteratorINS6_10device_ptrIjEEEENSD_INSE_IS9_EEEEjNS1_19radix_merge_compareILb0ELb1EjNS0_19identity_decomposerEEEEE10hipError_tT0_T1_T2_jT3_P12ihipStream_tbPNSt15iterator_traitsISN_E10value_typeEPNST_ISO_E10value_typeEPSP_NS1_7vsmem_tEENKUlT_SN_SO_SP_E_clIPjSG_PS9_SI_EESM_S12_SN_SO_SP_EUlS12_E0_NS1_11comp_targetILNS1_3genE5ELNS1_11target_archE942ELNS1_3gpuE9ELNS1_3repE0EEENS1_38merge_mergepath_config_static_selectorELNS0_4arch9wavefront6targetE0EEEvSO_: ; @_ZN7rocprim17ROCPRIM_400000_NS6detail17trampoline_kernelINS0_14default_configENS1_38merge_sort_block_merge_config_selectorIjN6thrust23THRUST_200600_302600_NS5tupleIffNS6_9null_typeES8_S8_S8_S8_S8_S8_S8_EEEEZZNS1_27merge_sort_block_merge_implIS3_NS6_6detail15normal_iteratorINS6_10device_ptrIjEEEENSD_INSE_IS9_EEEEjNS1_19radix_merge_compareILb0ELb1EjNS0_19identity_decomposerEEEEE10hipError_tT0_T1_T2_jT3_P12ihipStream_tbPNSt15iterator_traitsISN_E10value_typeEPNST_ISO_E10value_typeEPSP_NS1_7vsmem_tEENKUlT_SN_SO_SP_E_clIPjSG_PS9_SI_EESM_S12_SN_SO_SP_EUlS12_E0_NS1_11comp_targetILNS1_3genE5ELNS1_11target_archE942ELNS1_3gpuE9ELNS1_3repE0EEENS1_38merge_mergepath_config_static_selectorELNS0_4arch9wavefront6targetE0EEEvSO_
; %bb.0:
	.section	.rodata,"a",@progbits
	.p2align	6, 0x0
	.amdhsa_kernel _ZN7rocprim17ROCPRIM_400000_NS6detail17trampoline_kernelINS0_14default_configENS1_38merge_sort_block_merge_config_selectorIjN6thrust23THRUST_200600_302600_NS5tupleIffNS6_9null_typeES8_S8_S8_S8_S8_S8_S8_EEEEZZNS1_27merge_sort_block_merge_implIS3_NS6_6detail15normal_iteratorINS6_10device_ptrIjEEEENSD_INSE_IS9_EEEEjNS1_19radix_merge_compareILb0ELb1EjNS0_19identity_decomposerEEEEE10hipError_tT0_T1_T2_jT3_P12ihipStream_tbPNSt15iterator_traitsISN_E10value_typeEPNST_ISO_E10value_typeEPSP_NS1_7vsmem_tEENKUlT_SN_SO_SP_E_clIPjSG_PS9_SI_EESM_S12_SN_SO_SP_EUlS12_E0_NS1_11comp_targetILNS1_3genE5ELNS1_11target_archE942ELNS1_3gpuE9ELNS1_3repE0EEENS1_38merge_mergepath_config_static_selectorELNS0_4arch9wavefront6targetE0EEEvSO_
		.amdhsa_group_segment_fixed_size 0
		.amdhsa_private_segment_fixed_size 0
		.amdhsa_kernarg_size 64
		.amdhsa_user_sgpr_count 2
		.amdhsa_user_sgpr_dispatch_ptr 0
		.amdhsa_user_sgpr_queue_ptr 0
		.amdhsa_user_sgpr_kernarg_segment_ptr 1
		.amdhsa_user_sgpr_dispatch_id 0
		.amdhsa_user_sgpr_kernarg_preload_length 0
		.amdhsa_user_sgpr_kernarg_preload_offset 0
		.amdhsa_user_sgpr_private_segment_size 0
		.amdhsa_wavefront_size32 1
		.amdhsa_uses_dynamic_stack 0
		.amdhsa_enable_private_segment 0
		.amdhsa_system_sgpr_workgroup_id_x 1
		.amdhsa_system_sgpr_workgroup_id_y 0
		.amdhsa_system_sgpr_workgroup_id_z 0
		.amdhsa_system_sgpr_workgroup_info 0
		.amdhsa_system_vgpr_workitem_id 0
		.amdhsa_next_free_vgpr 1
		.amdhsa_next_free_sgpr 1
		.amdhsa_named_barrier_count 0
		.amdhsa_reserve_vcc 0
		.amdhsa_float_round_mode_32 0
		.amdhsa_float_round_mode_16_64 0
		.amdhsa_float_denorm_mode_32 3
		.amdhsa_float_denorm_mode_16_64 3
		.amdhsa_fp16_overflow 0
		.amdhsa_memory_ordered 1
		.amdhsa_forward_progress 1
		.amdhsa_inst_pref_size 0
		.amdhsa_round_robin_scheduling 0
		.amdhsa_exception_fp_ieee_invalid_op 0
		.amdhsa_exception_fp_denorm_src 0
		.amdhsa_exception_fp_ieee_div_zero 0
		.amdhsa_exception_fp_ieee_overflow 0
		.amdhsa_exception_fp_ieee_underflow 0
		.amdhsa_exception_fp_ieee_inexact 0
		.amdhsa_exception_int_div_zero 0
	.end_amdhsa_kernel
	.section	.text._ZN7rocprim17ROCPRIM_400000_NS6detail17trampoline_kernelINS0_14default_configENS1_38merge_sort_block_merge_config_selectorIjN6thrust23THRUST_200600_302600_NS5tupleIffNS6_9null_typeES8_S8_S8_S8_S8_S8_S8_EEEEZZNS1_27merge_sort_block_merge_implIS3_NS6_6detail15normal_iteratorINS6_10device_ptrIjEEEENSD_INSE_IS9_EEEEjNS1_19radix_merge_compareILb0ELb1EjNS0_19identity_decomposerEEEEE10hipError_tT0_T1_T2_jT3_P12ihipStream_tbPNSt15iterator_traitsISN_E10value_typeEPNST_ISO_E10value_typeEPSP_NS1_7vsmem_tEENKUlT_SN_SO_SP_E_clIPjSG_PS9_SI_EESM_S12_SN_SO_SP_EUlS12_E0_NS1_11comp_targetILNS1_3genE5ELNS1_11target_archE942ELNS1_3gpuE9ELNS1_3repE0EEENS1_38merge_mergepath_config_static_selectorELNS0_4arch9wavefront6targetE0EEEvSO_,"axG",@progbits,_ZN7rocprim17ROCPRIM_400000_NS6detail17trampoline_kernelINS0_14default_configENS1_38merge_sort_block_merge_config_selectorIjN6thrust23THRUST_200600_302600_NS5tupleIffNS6_9null_typeES8_S8_S8_S8_S8_S8_S8_EEEEZZNS1_27merge_sort_block_merge_implIS3_NS6_6detail15normal_iteratorINS6_10device_ptrIjEEEENSD_INSE_IS9_EEEEjNS1_19radix_merge_compareILb0ELb1EjNS0_19identity_decomposerEEEEE10hipError_tT0_T1_T2_jT3_P12ihipStream_tbPNSt15iterator_traitsISN_E10value_typeEPNST_ISO_E10value_typeEPSP_NS1_7vsmem_tEENKUlT_SN_SO_SP_E_clIPjSG_PS9_SI_EESM_S12_SN_SO_SP_EUlS12_E0_NS1_11comp_targetILNS1_3genE5ELNS1_11target_archE942ELNS1_3gpuE9ELNS1_3repE0EEENS1_38merge_mergepath_config_static_selectorELNS0_4arch9wavefront6targetE0EEEvSO_,comdat
.Lfunc_end101:
	.size	_ZN7rocprim17ROCPRIM_400000_NS6detail17trampoline_kernelINS0_14default_configENS1_38merge_sort_block_merge_config_selectorIjN6thrust23THRUST_200600_302600_NS5tupleIffNS6_9null_typeES8_S8_S8_S8_S8_S8_S8_EEEEZZNS1_27merge_sort_block_merge_implIS3_NS6_6detail15normal_iteratorINS6_10device_ptrIjEEEENSD_INSE_IS9_EEEEjNS1_19radix_merge_compareILb0ELb1EjNS0_19identity_decomposerEEEEE10hipError_tT0_T1_T2_jT3_P12ihipStream_tbPNSt15iterator_traitsISN_E10value_typeEPNST_ISO_E10value_typeEPSP_NS1_7vsmem_tEENKUlT_SN_SO_SP_E_clIPjSG_PS9_SI_EESM_S12_SN_SO_SP_EUlS12_E0_NS1_11comp_targetILNS1_3genE5ELNS1_11target_archE942ELNS1_3gpuE9ELNS1_3repE0EEENS1_38merge_mergepath_config_static_selectorELNS0_4arch9wavefront6targetE0EEEvSO_, .Lfunc_end101-_ZN7rocprim17ROCPRIM_400000_NS6detail17trampoline_kernelINS0_14default_configENS1_38merge_sort_block_merge_config_selectorIjN6thrust23THRUST_200600_302600_NS5tupleIffNS6_9null_typeES8_S8_S8_S8_S8_S8_S8_EEEEZZNS1_27merge_sort_block_merge_implIS3_NS6_6detail15normal_iteratorINS6_10device_ptrIjEEEENSD_INSE_IS9_EEEEjNS1_19radix_merge_compareILb0ELb1EjNS0_19identity_decomposerEEEEE10hipError_tT0_T1_T2_jT3_P12ihipStream_tbPNSt15iterator_traitsISN_E10value_typeEPNST_ISO_E10value_typeEPSP_NS1_7vsmem_tEENKUlT_SN_SO_SP_E_clIPjSG_PS9_SI_EESM_S12_SN_SO_SP_EUlS12_E0_NS1_11comp_targetILNS1_3genE5ELNS1_11target_archE942ELNS1_3gpuE9ELNS1_3repE0EEENS1_38merge_mergepath_config_static_selectorELNS0_4arch9wavefront6targetE0EEEvSO_
                                        ; -- End function
	.set _ZN7rocprim17ROCPRIM_400000_NS6detail17trampoline_kernelINS0_14default_configENS1_38merge_sort_block_merge_config_selectorIjN6thrust23THRUST_200600_302600_NS5tupleIffNS6_9null_typeES8_S8_S8_S8_S8_S8_S8_EEEEZZNS1_27merge_sort_block_merge_implIS3_NS6_6detail15normal_iteratorINS6_10device_ptrIjEEEENSD_INSE_IS9_EEEEjNS1_19radix_merge_compareILb0ELb1EjNS0_19identity_decomposerEEEEE10hipError_tT0_T1_T2_jT3_P12ihipStream_tbPNSt15iterator_traitsISN_E10value_typeEPNST_ISO_E10value_typeEPSP_NS1_7vsmem_tEENKUlT_SN_SO_SP_E_clIPjSG_PS9_SI_EESM_S12_SN_SO_SP_EUlS12_E0_NS1_11comp_targetILNS1_3genE5ELNS1_11target_archE942ELNS1_3gpuE9ELNS1_3repE0EEENS1_38merge_mergepath_config_static_selectorELNS0_4arch9wavefront6targetE0EEEvSO_.num_vgpr, 0
	.set _ZN7rocprim17ROCPRIM_400000_NS6detail17trampoline_kernelINS0_14default_configENS1_38merge_sort_block_merge_config_selectorIjN6thrust23THRUST_200600_302600_NS5tupleIffNS6_9null_typeES8_S8_S8_S8_S8_S8_S8_EEEEZZNS1_27merge_sort_block_merge_implIS3_NS6_6detail15normal_iteratorINS6_10device_ptrIjEEEENSD_INSE_IS9_EEEEjNS1_19radix_merge_compareILb0ELb1EjNS0_19identity_decomposerEEEEE10hipError_tT0_T1_T2_jT3_P12ihipStream_tbPNSt15iterator_traitsISN_E10value_typeEPNST_ISO_E10value_typeEPSP_NS1_7vsmem_tEENKUlT_SN_SO_SP_E_clIPjSG_PS9_SI_EESM_S12_SN_SO_SP_EUlS12_E0_NS1_11comp_targetILNS1_3genE5ELNS1_11target_archE942ELNS1_3gpuE9ELNS1_3repE0EEENS1_38merge_mergepath_config_static_selectorELNS0_4arch9wavefront6targetE0EEEvSO_.num_agpr, 0
	.set _ZN7rocprim17ROCPRIM_400000_NS6detail17trampoline_kernelINS0_14default_configENS1_38merge_sort_block_merge_config_selectorIjN6thrust23THRUST_200600_302600_NS5tupleIffNS6_9null_typeES8_S8_S8_S8_S8_S8_S8_EEEEZZNS1_27merge_sort_block_merge_implIS3_NS6_6detail15normal_iteratorINS6_10device_ptrIjEEEENSD_INSE_IS9_EEEEjNS1_19radix_merge_compareILb0ELb1EjNS0_19identity_decomposerEEEEE10hipError_tT0_T1_T2_jT3_P12ihipStream_tbPNSt15iterator_traitsISN_E10value_typeEPNST_ISO_E10value_typeEPSP_NS1_7vsmem_tEENKUlT_SN_SO_SP_E_clIPjSG_PS9_SI_EESM_S12_SN_SO_SP_EUlS12_E0_NS1_11comp_targetILNS1_3genE5ELNS1_11target_archE942ELNS1_3gpuE9ELNS1_3repE0EEENS1_38merge_mergepath_config_static_selectorELNS0_4arch9wavefront6targetE0EEEvSO_.numbered_sgpr, 0
	.set _ZN7rocprim17ROCPRIM_400000_NS6detail17trampoline_kernelINS0_14default_configENS1_38merge_sort_block_merge_config_selectorIjN6thrust23THRUST_200600_302600_NS5tupleIffNS6_9null_typeES8_S8_S8_S8_S8_S8_S8_EEEEZZNS1_27merge_sort_block_merge_implIS3_NS6_6detail15normal_iteratorINS6_10device_ptrIjEEEENSD_INSE_IS9_EEEEjNS1_19radix_merge_compareILb0ELb1EjNS0_19identity_decomposerEEEEE10hipError_tT0_T1_T2_jT3_P12ihipStream_tbPNSt15iterator_traitsISN_E10value_typeEPNST_ISO_E10value_typeEPSP_NS1_7vsmem_tEENKUlT_SN_SO_SP_E_clIPjSG_PS9_SI_EESM_S12_SN_SO_SP_EUlS12_E0_NS1_11comp_targetILNS1_3genE5ELNS1_11target_archE942ELNS1_3gpuE9ELNS1_3repE0EEENS1_38merge_mergepath_config_static_selectorELNS0_4arch9wavefront6targetE0EEEvSO_.num_named_barrier, 0
	.set _ZN7rocprim17ROCPRIM_400000_NS6detail17trampoline_kernelINS0_14default_configENS1_38merge_sort_block_merge_config_selectorIjN6thrust23THRUST_200600_302600_NS5tupleIffNS6_9null_typeES8_S8_S8_S8_S8_S8_S8_EEEEZZNS1_27merge_sort_block_merge_implIS3_NS6_6detail15normal_iteratorINS6_10device_ptrIjEEEENSD_INSE_IS9_EEEEjNS1_19radix_merge_compareILb0ELb1EjNS0_19identity_decomposerEEEEE10hipError_tT0_T1_T2_jT3_P12ihipStream_tbPNSt15iterator_traitsISN_E10value_typeEPNST_ISO_E10value_typeEPSP_NS1_7vsmem_tEENKUlT_SN_SO_SP_E_clIPjSG_PS9_SI_EESM_S12_SN_SO_SP_EUlS12_E0_NS1_11comp_targetILNS1_3genE5ELNS1_11target_archE942ELNS1_3gpuE9ELNS1_3repE0EEENS1_38merge_mergepath_config_static_selectorELNS0_4arch9wavefront6targetE0EEEvSO_.private_seg_size, 0
	.set _ZN7rocprim17ROCPRIM_400000_NS6detail17trampoline_kernelINS0_14default_configENS1_38merge_sort_block_merge_config_selectorIjN6thrust23THRUST_200600_302600_NS5tupleIffNS6_9null_typeES8_S8_S8_S8_S8_S8_S8_EEEEZZNS1_27merge_sort_block_merge_implIS3_NS6_6detail15normal_iteratorINS6_10device_ptrIjEEEENSD_INSE_IS9_EEEEjNS1_19radix_merge_compareILb0ELb1EjNS0_19identity_decomposerEEEEE10hipError_tT0_T1_T2_jT3_P12ihipStream_tbPNSt15iterator_traitsISN_E10value_typeEPNST_ISO_E10value_typeEPSP_NS1_7vsmem_tEENKUlT_SN_SO_SP_E_clIPjSG_PS9_SI_EESM_S12_SN_SO_SP_EUlS12_E0_NS1_11comp_targetILNS1_3genE5ELNS1_11target_archE942ELNS1_3gpuE9ELNS1_3repE0EEENS1_38merge_mergepath_config_static_selectorELNS0_4arch9wavefront6targetE0EEEvSO_.uses_vcc, 0
	.set _ZN7rocprim17ROCPRIM_400000_NS6detail17trampoline_kernelINS0_14default_configENS1_38merge_sort_block_merge_config_selectorIjN6thrust23THRUST_200600_302600_NS5tupleIffNS6_9null_typeES8_S8_S8_S8_S8_S8_S8_EEEEZZNS1_27merge_sort_block_merge_implIS3_NS6_6detail15normal_iteratorINS6_10device_ptrIjEEEENSD_INSE_IS9_EEEEjNS1_19radix_merge_compareILb0ELb1EjNS0_19identity_decomposerEEEEE10hipError_tT0_T1_T2_jT3_P12ihipStream_tbPNSt15iterator_traitsISN_E10value_typeEPNST_ISO_E10value_typeEPSP_NS1_7vsmem_tEENKUlT_SN_SO_SP_E_clIPjSG_PS9_SI_EESM_S12_SN_SO_SP_EUlS12_E0_NS1_11comp_targetILNS1_3genE5ELNS1_11target_archE942ELNS1_3gpuE9ELNS1_3repE0EEENS1_38merge_mergepath_config_static_selectorELNS0_4arch9wavefront6targetE0EEEvSO_.uses_flat_scratch, 0
	.set _ZN7rocprim17ROCPRIM_400000_NS6detail17trampoline_kernelINS0_14default_configENS1_38merge_sort_block_merge_config_selectorIjN6thrust23THRUST_200600_302600_NS5tupleIffNS6_9null_typeES8_S8_S8_S8_S8_S8_S8_EEEEZZNS1_27merge_sort_block_merge_implIS3_NS6_6detail15normal_iteratorINS6_10device_ptrIjEEEENSD_INSE_IS9_EEEEjNS1_19radix_merge_compareILb0ELb1EjNS0_19identity_decomposerEEEEE10hipError_tT0_T1_T2_jT3_P12ihipStream_tbPNSt15iterator_traitsISN_E10value_typeEPNST_ISO_E10value_typeEPSP_NS1_7vsmem_tEENKUlT_SN_SO_SP_E_clIPjSG_PS9_SI_EESM_S12_SN_SO_SP_EUlS12_E0_NS1_11comp_targetILNS1_3genE5ELNS1_11target_archE942ELNS1_3gpuE9ELNS1_3repE0EEENS1_38merge_mergepath_config_static_selectorELNS0_4arch9wavefront6targetE0EEEvSO_.has_dyn_sized_stack, 0
	.set _ZN7rocprim17ROCPRIM_400000_NS6detail17trampoline_kernelINS0_14default_configENS1_38merge_sort_block_merge_config_selectorIjN6thrust23THRUST_200600_302600_NS5tupleIffNS6_9null_typeES8_S8_S8_S8_S8_S8_S8_EEEEZZNS1_27merge_sort_block_merge_implIS3_NS6_6detail15normal_iteratorINS6_10device_ptrIjEEEENSD_INSE_IS9_EEEEjNS1_19radix_merge_compareILb0ELb1EjNS0_19identity_decomposerEEEEE10hipError_tT0_T1_T2_jT3_P12ihipStream_tbPNSt15iterator_traitsISN_E10value_typeEPNST_ISO_E10value_typeEPSP_NS1_7vsmem_tEENKUlT_SN_SO_SP_E_clIPjSG_PS9_SI_EESM_S12_SN_SO_SP_EUlS12_E0_NS1_11comp_targetILNS1_3genE5ELNS1_11target_archE942ELNS1_3gpuE9ELNS1_3repE0EEENS1_38merge_mergepath_config_static_selectorELNS0_4arch9wavefront6targetE0EEEvSO_.has_recursion, 0
	.set _ZN7rocprim17ROCPRIM_400000_NS6detail17trampoline_kernelINS0_14default_configENS1_38merge_sort_block_merge_config_selectorIjN6thrust23THRUST_200600_302600_NS5tupleIffNS6_9null_typeES8_S8_S8_S8_S8_S8_S8_EEEEZZNS1_27merge_sort_block_merge_implIS3_NS6_6detail15normal_iteratorINS6_10device_ptrIjEEEENSD_INSE_IS9_EEEEjNS1_19radix_merge_compareILb0ELb1EjNS0_19identity_decomposerEEEEE10hipError_tT0_T1_T2_jT3_P12ihipStream_tbPNSt15iterator_traitsISN_E10value_typeEPNST_ISO_E10value_typeEPSP_NS1_7vsmem_tEENKUlT_SN_SO_SP_E_clIPjSG_PS9_SI_EESM_S12_SN_SO_SP_EUlS12_E0_NS1_11comp_targetILNS1_3genE5ELNS1_11target_archE942ELNS1_3gpuE9ELNS1_3repE0EEENS1_38merge_mergepath_config_static_selectorELNS0_4arch9wavefront6targetE0EEEvSO_.has_indirect_call, 0
	.section	.AMDGPU.csdata,"",@progbits
; Kernel info:
; codeLenInByte = 0
; TotalNumSgprs: 0
; NumVgprs: 0
; ScratchSize: 0
; MemoryBound: 0
; FloatMode: 240
; IeeeMode: 1
; LDSByteSize: 0 bytes/workgroup (compile time only)
; SGPRBlocks: 0
; VGPRBlocks: 0
; NumSGPRsForWavesPerEU: 1
; NumVGPRsForWavesPerEU: 1
; NamedBarCnt: 0
; Occupancy: 16
; WaveLimiterHint : 0
; COMPUTE_PGM_RSRC2:SCRATCH_EN: 0
; COMPUTE_PGM_RSRC2:USER_SGPR: 2
; COMPUTE_PGM_RSRC2:TRAP_HANDLER: 0
; COMPUTE_PGM_RSRC2:TGID_X_EN: 1
; COMPUTE_PGM_RSRC2:TGID_Y_EN: 0
; COMPUTE_PGM_RSRC2:TGID_Z_EN: 0
; COMPUTE_PGM_RSRC2:TIDIG_COMP_CNT: 0
	.section	.text._ZN7rocprim17ROCPRIM_400000_NS6detail17trampoline_kernelINS0_14default_configENS1_38merge_sort_block_merge_config_selectorIjN6thrust23THRUST_200600_302600_NS5tupleIffNS6_9null_typeES8_S8_S8_S8_S8_S8_S8_EEEEZZNS1_27merge_sort_block_merge_implIS3_NS6_6detail15normal_iteratorINS6_10device_ptrIjEEEENSD_INSE_IS9_EEEEjNS1_19radix_merge_compareILb0ELb1EjNS0_19identity_decomposerEEEEE10hipError_tT0_T1_T2_jT3_P12ihipStream_tbPNSt15iterator_traitsISN_E10value_typeEPNST_ISO_E10value_typeEPSP_NS1_7vsmem_tEENKUlT_SN_SO_SP_E_clIPjSG_PS9_SI_EESM_S12_SN_SO_SP_EUlS12_E0_NS1_11comp_targetILNS1_3genE4ELNS1_11target_archE910ELNS1_3gpuE8ELNS1_3repE0EEENS1_38merge_mergepath_config_static_selectorELNS0_4arch9wavefront6targetE0EEEvSO_,"axG",@progbits,_ZN7rocprim17ROCPRIM_400000_NS6detail17trampoline_kernelINS0_14default_configENS1_38merge_sort_block_merge_config_selectorIjN6thrust23THRUST_200600_302600_NS5tupleIffNS6_9null_typeES8_S8_S8_S8_S8_S8_S8_EEEEZZNS1_27merge_sort_block_merge_implIS3_NS6_6detail15normal_iteratorINS6_10device_ptrIjEEEENSD_INSE_IS9_EEEEjNS1_19radix_merge_compareILb0ELb1EjNS0_19identity_decomposerEEEEE10hipError_tT0_T1_T2_jT3_P12ihipStream_tbPNSt15iterator_traitsISN_E10value_typeEPNST_ISO_E10value_typeEPSP_NS1_7vsmem_tEENKUlT_SN_SO_SP_E_clIPjSG_PS9_SI_EESM_S12_SN_SO_SP_EUlS12_E0_NS1_11comp_targetILNS1_3genE4ELNS1_11target_archE910ELNS1_3gpuE8ELNS1_3repE0EEENS1_38merge_mergepath_config_static_selectorELNS0_4arch9wavefront6targetE0EEEvSO_,comdat
	.protected	_ZN7rocprim17ROCPRIM_400000_NS6detail17trampoline_kernelINS0_14default_configENS1_38merge_sort_block_merge_config_selectorIjN6thrust23THRUST_200600_302600_NS5tupleIffNS6_9null_typeES8_S8_S8_S8_S8_S8_S8_EEEEZZNS1_27merge_sort_block_merge_implIS3_NS6_6detail15normal_iteratorINS6_10device_ptrIjEEEENSD_INSE_IS9_EEEEjNS1_19radix_merge_compareILb0ELb1EjNS0_19identity_decomposerEEEEE10hipError_tT0_T1_T2_jT3_P12ihipStream_tbPNSt15iterator_traitsISN_E10value_typeEPNST_ISO_E10value_typeEPSP_NS1_7vsmem_tEENKUlT_SN_SO_SP_E_clIPjSG_PS9_SI_EESM_S12_SN_SO_SP_EUlS12_E0_NS1_11comp_targetILNS1_3genE4ELNS1_11target_archE910ELNS1_3gpuE8ELNS1_3repE0EEENS1_38merge_mergepath_config_static_selectorELNS0_4arch9wavefront6targetE0EEEvSO_ ; -- Begin function _ZN7rocprim17ROCPRIM_400000_NS6detail17trampoline_kernelINS0_14default_configENS1_38merge_sort_block_merge_config_selectorIjN6thrust23THRUST_200600_302600_NS5tupleIffNS6_9null_typeES8_S8_S8_S8_S8_S8_S8_EEEEZZNS1_27merge_sort_block_merge_implIS3_NS6_6detail15normal_iteratorINS6_10device_ptrIjEEEENSD_INSE_IS9_EEEEjNS1_19radix_merge_compareILb0ELb1EjNS0_19identity_decomposerEEEEE10hipError_tT0_T1_T2_jT3_P12ihipStream_tbPNSt15iterator_traitsISN_E10value_typeEPNST_ISO_E10value_typeEPSP_NS1_7vsmem_tEENKUlT_SN_SO_SP_E_clIPjSG_PS9_SI_EESM_S12_SN_SO_SP_EUlS12_E0_NS1_11comp_targetILNS1_3genE4ELNS1_11target_archE910ELNS1_3gpuE8ELNS1_3repE0EEENS1_38merge_mergepath_config_static_selectorELNS0_4arch9wavefront6targetE0EEEvSO_
	.globl	_ZN7rocprim17ROCPRIM_400000_NS6detail17trampoline_kernelINS0_14default_configENS1_38merge_sort_block_merge_config_selectorIjN6thrust23THRUST_200600_302600_NS5tupleIffNS6_9null_typeES8_S8_S8_S8_S8_S8_S8_EEEEZZNS1_27merge_sort_block_merge_implIS3_NS6_6detail15normal_iteratorINS6_10device_ptrIjEEEENSD_INSE_IS9_EEEEjNS1_19radix_merge_compareILb0ELb1EjNS0_19identity_decomposerEEEEE10hipError_tT0_T1_T2_jT3_P12ihipStream_tbPNSt15iterator_traitsISN_E10value_typeEPNST_ISO_E10value_typeEPSP_NS1_7vsmem_tEENKUlT_SN_SO_SP_E_clIPjSG_PS9_SI_EESM_S12_SN_SO_SP_EUlS12_E0_NS1_11comp_targetILNS1_3genE4ELNS1_11target_archE910ELNS1_3gpuE8ELNS1_3repE0EEENS1_38merge_mergepath_config_static_selectorELNS0_4arch9wavefront6targetE0EEEvSO_
	.p2align	8
	.type	_ZN7rocprim17ROCPRIM_400000_NS6detail17trampoline_kernelINS0_14default_configENS1_38merge_sort_block_merge_config_selectorIjN6thrust23THRUST_200600_302600_NS5tupleIffNS6_9null_typeES8_S8_S8_S8_S8_S8_S8_EEEEZZNS1_27merge_sort_block_merge_implIS3_NS6_6detail15normal_iteratorINS6_10device_ptrIjEEEENSD_INSE_IS9_EEEEjNS1_19radix_merge_compareILb0ELb1EjNS0_19identity_decomposerEEEEE10hipError_tT0_T1_T2_jT3_P12ihipStream_tbPNSt15iterator_traitsISN_E10value_typeEPNST_ISO_E10value_typeEPSP_NS1_7vsmem_tEENKUlT_SN_SO_SP_E_clIPjSG_PS9_SI_EESM_S12_SN_SO_SP_EUlS12_E0_NS1_11comp_targetILNS1_3genE4ELNS1_11target_archE910ELNS1_3gpuE8ELNS1_3repE0EEENS1_38merge_mergepath_config_static_selectorELNS0_4arch9wavefront6targetE0EEEvSO_,@function
_ZN7rocprim17ROCPRIM_400000_NS6detail17trampoline_kernelINS0_14default_configENS1_38merge_sort_block_merge_config_selectorIjN6thrust23THRUST_200600_302600_NS5tupleIffNS6_9null_typeES8_S8_S8_S8_S8_S8_S8_EEEEZZNS1_27merge_sort_block_merge_implIS3_NS6_6detail15normal_iteratorINS6_10device_ptrIjEEEENSD_INSE_IS9_EEEEjNS1_19radix_merge_compareILb0ELb1EjNS0_19identity_decomposerEEEEE10hipError_tT0_T1_T2_jT3_P12ihipStream_tbPNSt15iterator_traitsISN_E10value_typeEPNST_ISO_E10value_typeEPSP_NS1_7vsmem_tEENKUlT_SN_SO_SP_E_clIPjSG_PS9_SI_EESM_S12_SN_SO_SP_EUlS12_E0_NS1_11comp_targetILNS1_3genE4ELNS1_11target_archE910ELNS1_3gpuE8ELNS1_3repE0EEENS1_38merge_mergepath_config_static_selectorELNS0_4arch9wavefront6targetE0EEEvSO_: ; @_ZN7rocprim17ROCPRIM_400000_NS6detail17trampoline_kernelINS0_14default_configENS1_38merge_sort_block_merge_config_selectorIjN6thrust23THRUST_200600_302600_NS5tupleIffNS6_9null_typeES8_S8_S8_S8_S8_S8_S8_EEEEZZNS1_27merge_sort_block_merge_implIS3_NS6_6detail15normal_iteratorINS6_10device_ptrIjEEEENSD_INSE_IS9_EEEEjNS1_19radix_merge_compareILb0ELb1EjNS0_19identity_decomposerEEEEE10hipError_tT0_T1_T2_jT3_P12ihipStream_tbPNSt15iterator_traitsISN_E10value_typeEPNST_ISO_E10value_typeEPSP_NS1_7vsmem_tEENKUlT_SN_SO_SP_E_clIPjSG_PS9_SI_EESM_S12_SN_SO_SP_EUlS12_E0_NS1_11comp_targetILNS1_3genE4ELNS1_11target_archE910ELNS1_3gpuE8ELNS1_3repE0EEENS1_38merge_mergepath_config_static_selectorELNS0_4arch9wavefront6targetE0EEEvSO_
; %bb.0:
	.section	.rodata,"a",@progbits
	.p2align	6, 0x0
	.amdhsa_kernel _ZN7rocprim17ROCPRIM_400000_NS6detail17trampoline_kernelINS0_14default_configENS1_38merge_sort_block_merge_config_selectorIjN6thrust23THRUST_200600_302600_NS5tupleIffNS6_9null_typeES8_S8_S8_S8_S8_S8_S8_EEEEZZNS1_27merge_sort_block_merge_implIS3_NS6_6detail15normal_iteratorINS6_10device_ptrIjEEEENSD_INSE_IS9_EEEEjNS1_19radix_merge_compareILb0ELb1EjNS0_19identity_decomposerEEEEE10hipError_tT0_T1_T2_jT3_P12ihipStream_tbPNSt15iterator_traitsISN_E10value_typeEPNST_ISO_E10value_typeEPSP_NS1_7vsmem_tEENKUlT_SN_SO_SP_E_clIPjSG_PS9_SI_EESM_S12_SN_SO_SP_EUlS12_E0_NS1_11comp_targetILNS1_3genE4ELNS1_11target_archE910ELNS1_3gpuE8ELNS1_3repE0EEENS1_38merge_mergepath_config_static_selectorELNS0_4arch9wavefront6targetE0EEEvSO_
		.amdhsa_group_segment_fixed_size 0
		.amdhsa_private_segment_fixed_size 0
		.amdhsa_kernarg_size 64
		.amdhsa_user_sgpr_count 2
		.amdhsa_user_sgpr_dispatch_ptr 0
		.amdhsa_user_sgpr_queue_ptr 0
		.amdhsa_user_sgpr_kernarg_segment_ptr 1
		.amdhsa_user_sgpr_dispatch_id 0
		.amdhsa_user_sgpr_kernarg_preload_length 0
		.amdhsa_user_sgpr_kernarg_preload_offset 0
		.amdhsa_user_sgpr_private_segment_size 0
		.amdhsa_wavefront_size32 1
		.amdhsa_uses_dynamic_stack 0
		.amdhsa_enable_private_segment 0
		.amdhsa_system_sgpr_workgroup_id_x 1
		.amdhsa_system_sgpr_workgroup_id_y 0
		.amdhsa_system_sgpr_workgroup_id_z 0
		.amdhsa_system_sgpr_workgroup_info 0
		.amdhsa_system_vgpr_workitem_id 0
		.amdhsa_next_free_vgpr 1
		.amdhsa_next_free_sgpr 1
		.amdhsa_named_barrier_count 0
		.amdhsa_reserve_vcc 0
		.amdhsa_float_round_mode_32 0
		.amdhsa_float_round_mode_16_64 0
		.amdhsa_float_denorm_mode_32 3
		.amdhsa_float_denorm_mode_16_64 3
		.amdhsa_fp16_overflow 0
		.amdhsa_memory_ordered 1
		.amdhsa_forward_progress 1
		.amdhsa_inst_pref_size 0
		.amdhsa_round_robin_scheduling 0
		.amdhsa_exception_fp_ieee_invalid_op 0
		.amdhsa_exception_fp_denorm_src 0
		.amdhsa_exception_fp_ieee_div_zero 0
		.amdhsa_exception_fp_ieee_overflow 0
		.amdhsa_exception_fp_ieee_underflow 0
		.amdhsa_exception_fp_ieee_inexact 0
		.amdhsa_exception_int_div_zero 0
	.end_amdhsa_kernel
	.section	.text._ZN7rocprim17ROCPRIM_400000_NS6detail17trampoline_kernelINS0_14default_configENS1_38merge_sort_block_merge_config_selectorIjN6thrust23THRUST_200600_302600_NS5tupleIffNS6_9null_typeES8_S8_S8_S8_S8_S8_S8_EEEEZZNS1_27merge_sort_block_merge_implIS3_NS6_6detail15normal_iteratorINS6_10device_ptrIjEEEENSD_INSE_IS9_EEEEjNS1_19radix_merge_compareILb0ELb1EjNS0_19identity_decomposerEEEEE10hipError_tT0_T1_T2_jT3_P12ihipStream_tbPNSt15iterator_traitsISN_E10value_typeEPNST_ISO_E10value_typeEPSP_NS1_7vsmem_tEENKUlT_SN_SO_SP_E_clIPjSG_PS9_SI_EESM_S12_SN_SO_SP_EUlS12_E0_NS1_11comp_targetILNS1_3genE4ELNS1_11target_archE910ELNS1_3gpuE8ELNS1_3repE0EEENS1_38merge_mergepath_config_static_selectorELNS0_4arch9wavefront6targetE0EEEvSO_,"axG",@progbits,_ZN7rocprim17ROCPRIM_400000_NS6detail17trampoline_kernelINS0_14default_configENS1_38merge_sort_block_merge_config_selectorIjN6thrust23THRUST_200600_302600_NS5tupleIffNS6_9null_typeES8_S8_S8_S8_S8_S8_S8_EEEEZZNS1_27merge_sort_block_merge_implIS3_NS6_6detail15normal_iteratorINS6_10device_ptrIjEEEENSD_INSE_IS9_EEEEjNS1_19radix_merge_compareILb0ELb1EjNS0_19identity_decomposerEEEEE10hipError_tT0_T1_T2_jT3_P12ihipStream_tbPNSt15iterator_traitsISN_E10value_typeEPNST_ISO_E10value_typeEPSP_NS1_7vsmem_tEENKUlT_SN_SO_SP_E_clIPjSG_PS9_SI_EESM_S12_SN_SO_SP_EUlS12_E0_NS1_11comp_targetILNS1_3genE4ELNS1_11target_archE910ELNS1_3gpuE8ELNS1_3repE0EEENS1_38merge_mergepath_config_static_selectorELNS0_4arch9wavefront6targetE0EEEvSO_,comdat
.Lfunc_end102:
	.size	_ZN7rocprim17ROCPRIM_400000_NS6detail17trampoline_kernelINS0_14default_configENS1_38merge_sort_block_merge_config_selectorIjN6thrust23THRUST_200600_302600_NS5tupleIffNS6_9null_typeES8_S8_S8_S8_S8_S8_S8_EEEEZZNS1_27merge_sort_block_merge_implIS3_NS6_6detail15normal_iteratorINS6_10device_ptrIjEEEENSD_INSE_IS9_EEEEjNS1_19radix_merge_compareILb0ELb1EjNS0_19identity_decomposerEEEEE10hipError_tT0_T1_T2_jT3_P12ihipStream_tbPNSt15iterator_traitsISN_E10value_typeEPNST_ISO_E10value_typeEPSP_NS1_7vsmem_tEENKUlT_SN_SO_SP_E_clIPjSG_PS9_SI_EESM_S12_SN_SO_SP_EUlS12_E0_NS1_11comp_targetILNS1_3genE4ELNS1_11target_archE910ELNS1_3gpuE8ELNS1_3repE0EEENS1_38merge_mergepath_config_static_selectorELNS0_4arch9wavefront6targetE0EEEvSO_, .Lfunc_end102-_ZN7rocprim17ROCPRIM_400000_NS6detail17trampoline_kernelINS0_14default_configENS1_38merge_sort_block_merge_config_selectorIjN6thrust23THRUST_200600_302600_NS5tupleIffNS6_9null_typeES8_S8_S8_S8_S8_S8_S8_EEEEZZNS1_27merge_sort_block_merge_implIS3_NS6_6detail15normal_iteratorINS6_10device_ptrIjEEEENSD_INSE_IS9_EEEEjNS1_19radix_merge_compareILb0ELb1EjNS0_19identity_decomposerEEEEE10hipError_tT0_T1_T2_jT3_P12ihipStream_tbPNSt15iterator_traitsISN_E10value_typeEPNST_ISO_E10value_typeEPSP_NS1_7vsmem_tEENKUlT_SN_SO_SP_E_clIPjSG_PS9_SI_EESM_S12_SN_SO_SP_EUlS12_E0_NS1_11comp_targetILNS1_3genE4ELNS1_11target_archE910ELNS1_3gpuE8ELNS1_3repE0EEENS1_38merge_mergepath_config_static_selectorELNS0_4arch9wavefront6targetE0EEEvSO_
                                        ; -- End function
	.set _ZN7rocprim17ROCPRIM_400000_NS6detail17trampoline_kernelINS0_14default_configENS1_38merge_sort_block_merge_config_selectorIjN6thrust23THRUST_200600_302600_NS5tupleIffNS6_9null_typeES8_S8_S8_S8_S8_S8_S8_EEEEZZNS1_27merge_sort_block_merge_implIS3_NS6_6detail15normal_iteratorINS6_10device_ptrIjEEEENSD_INSE_IS9_EEEEjNS1_19radix_merge_compareILb0ELb1EjNS0_19identity_decomposerEEEEE10hipError_tT0_T1_T2_jT3_P12ihipStream_tbPNSt15iterator_traitsISN_E10value_typeEPNST_ISO_E10value_typeEPSP_NS1_7vsmem_tEENKUlT_SN_SO_SP_E_clIPjSG_PS9_SI_EESM_S12_SN_SO_SP_EUlS12_E0_NS1_11comp_targetILNS1_3genE4ELNS1_11target_archE910ELNS1_3gpuE8ELNS1_3repE0EEENS1_38merge_mergepath_config_static_selectorELNS0_4arch9wavefront6targetE0EEEvSO_.num_vgpr, 0
	.set _ZN7rocprim17ROCPRIM_400000_NS6detail17trampoline_kernelINS0_14default_configENS1_38merge_sort_block_merge_config_selectorIjN6thrust23THRUST_200600_302600_NS5tupleIffNS6_9null_typeES8_S8_S8_S8_S8_S8_S8_EEEEZZNS1_27merge_sort_block_merge_implIS3_NS6_6detail15normal_iteratorINS6_10device_ptrIjEEEENSD_INSE_IS9_EEEEjNS1_19radix_merge_compareILb0ELb1EjNS0_19identity_decomposerEEEEE10hipError_tT0_T1_T2_jT3_P12ihipStream_tbPNSt15iterator_traitsISN_E10value_typeEPNST_ISO_E10value_typeEPSP_NS1_7vsmem_tEENKUlT_SN_SO_SP_E_clIPjSG_PS9_SI_EESM_S12_SN_SO_SP_EUlS12_E0_NS1_11comp_targetILNS1_3genE4ELNS1_11target_archE910ELNS1_3gpuE8ELNS1_3repE0EEENS1_38merge_mergepath_config_static_selectorELNS0_4arch9wavefront6targetE0EEEvSO_.num_agpr, 0
	.set _ZN7rocprim17ROCPRIM_400000_NS6detail17trampoline_kernelINS0_14default_configENS1_38merge_sort_block_merge_config_selectorIjN6thrust23THRUST_200600_302600_NS5tupleIffNS6_9null_typeES8_S8_S8_S8_S8_S8_S8_EEEEZZNS1_27merge_sort_block_merge_implIS3_NS6_6detail15normal_iteratorINS6_10device_ptrIjEEEENSD_INSE_IS9_EEEEjNS1_19radix_merge_compareILb0ELb1EjNS0_19identity_decomposerEEEEE10hipError_tT0_T1_T2_jT3_P12ihipStream_tbPNSt15iterator_traitsISN_E10value_typeEPNST_ISO_E10value_typeEPSP_NS1_7vsmem_tEENKUlT_SN_SO_SP_E_clIPjSG_PS9_SI_EESM_S12_SN_SO_SP_EUlS12_E0_NS1_11comp_targetILNS1_3genE4ELNS1_11target_archE910ELNS1_3gpuE8ELNS1_3repE0EEENS1_38merge_mergepath_config_static_selectorELNS0_4arch9wavefront6targetE0EEEvSO_.numbered_sgpr, 0
	.set _ZN7rocprim17ROCPRIM_400000_NS6detail17trampoline_kernelINS0_14default_configENS1_38merge_sort_block_merge_config_selectorIjN6thrust23THRUST_200600_302600_NS5tupleIffNS6_9null_typeES8_S8_S8_S8_S8_S8_S8_EEEEZZNS1_27merge_sort_block_merge_implIS3_NS6_6detail15normal_iteratorINS6_10device_ptrIjEEEENSD_INSE_IS9_EEEEjNS1_19radix_merge_compareILb0ELb1EjNS0_19identity_decomposerEEEEE10hipError_tT0_T1_T2_jT3_P12ihipStream_tbPNSt15iterator_traitsISN_E10value_typeEPNST_ISO_E10value_typeEPSP_NS1_7vsmem_tEENKUlT_SN_SO_SP_E_clIPjSG_PS9_SI_EESM_S12_SN_SO_SP_EUlS12_E0_NS1_11comp_targetILNS1_3genE4ELNS1_11target_archE910ELNS1_3gpuE8ELNS1_3repE0EEENS1_38merge_mergepath_config_static_selectorELNS0_4arch9wavefront6targetE0EEEvSO_.num_named_barrier, 0
	.set _ZN7rocprim17ROCPRIM_400000_NS6detail17trampoline_kernelINS0_14default_configENS1_38merge_sort_block_merge_config_selectorIjN6thrust23THRUST_200600_302600_NS5tupleIffNS6_9null_typeES8_S8_S8_S8_S8_S8_S8_EEEEZZNS1_27merge_sort_block_merge_implIS3_NS6_6detail15normal_iteratorINS6_10device_ptrIjEEEENSD_INSE_IS9_EEEEjNS1_19radix_merge_compareILb0ELb1EjNS0_19identity_decomposerEEEEE10hipError_tT0_T1_T2_jT3_P12ihipStream_tbPNSt15iterator_traitsISN_E10value_typeEPNST_ISO_E10value_typeEPSP_NS1_7vsmem_tEENKUlT_SN_SO_SP_E_clIPjSG_PS9_SI_EESM_S12_SN_SO_SP_EUlS12_E0_NS1_11comp_targetILNS1_3genE4ELNS1_11target_archE910ELNS1_3gpuE8ELNS1_3repE0EEENS1_38merge_mergepath_config_static_selectorELNS0_4arch9wavefront6targetE0EEEvSO_.private_seg_size, 0
	.set _ZN7rocprim17ROCPRIM_400000_NS6detail17trampoline_kernelINS0_14default_configENS1_38merge_sort_block_merge_config_selectorIjN6thrust23THRUST_200600_302600_NS5tupleIffNS6_9null_typeES8_S8_S8_S8_S8_S8_S8_EEEEZZNS1_27merge_sort_block_merge_implIS3_NS6_6detail15normal_iteratorINS6_10device_ptrIjEEEENSD_INSE_IS9_EEEEjNS1_19radix_merge_compareILb0ELb1EjNS0_19identity_decomposerEEEEE10hipError_tT0_T1_T2_jT3_P12ihipStream_tbPNSt15iterator_traitsISN_E10value_typeEPNST_ISO_E10value_typeEPSP_NS1_7vsmem_tEENKUlT_SN_SO_SP_E_clIPjSG_PS9_SI_EESM_S12_SN_SO_SP_EUlS12_E0_NS1_11comp_targetILNS1_3genE4ELNS1_11target_archE910ELNS1_3gpuE8ELNS1_3repE0EEENS1_38merge_mergepath_config_static_selectorELNS0_4arch9wavefront6targetE0EEEvSO_.uses_vcc, 0
	.set _ZN7rocprim17ROCPRIM_400000_NS6detail17trampoline_kernelINS0_14default_configENS1_38merge_sort_block_merge_config_selectorIjN6thrust23THRUST_200600_302600_NS5tupleIffNS6_9null_typeES8_S8_S8_S8_S8_S8_S8_EEEEZZNS1_27merge_sort_block_merge_implIS3_NS6_6detail15normal_iteratorINS6_10device_ptrIjEEEENSD_INSE_IS9_EEEEjNS1_19radix_merge_compareILb0ELb1EjNS0_19identity_decomposerEEEEE10hipError_tT0_T1_T2_jT3_P12ihipStream_tbPNSt15iterator_traitsISN_E10value_typeEPNST_ISO_E10value_typeEPSP_NS1_7vsmem_tEENKUlT_SN_SO_SP_E_clIPjSG_PS9_SI_EESM_S12_SN_SO_SP_EUlS12_E0_NS1_11comp_targetILNS1_3genE4ELNS1_11target_archE910ELNS1_3gpuE8ELNS1_3repE0EEENS1_38merge_mergepath_config_static_selectorELNS0_4arch9wavefront6targetE0EEEvSO_.uses_flat_scratch, 0
	.set _ZN7rocprim17ROCPRIM_400000_NS6detail17trampoline_kernelINS0_14default_configENS1_38merge_sort_block_merge_config_selectorIjN6thrust23THRUST_200600_302600_NS5tupleIffNS6_9null_typeES8_S8_S8_S8_S8_S8_S8_EEEEZZNS1_27merge_sort_block_merge_implIS3_NS6_6detail15normal_iteratorINS6_10device_ptrIjEEEENSD_INSE_IS9_EEEEjNS1_19radix_merge_compareILb0ELb1EjNS0_19identity_decomposerEEEEE10hipError_tT0_T1_T2_jT3_P12ihipStream_tbPNSt15iterator_traitsISN_E10value_typeEPNST_ISO_E10value_typeEPSP_NS1_7vsmem_tEENKUlT_SN_SO_SP_E_clIPjSG_PS9_SI_EESM_S12_SN_SO_SP_EUlS12_E0_NS1_11comp_targetILNS1_3genE4ELNS1_11target_archE910ELNS1_3gpuE8ELNS1_3repE0EEENS1_38merge_mergepath_config_static_selectorELNS0_4arch9wavefront6targetE0EEEvSO_.has_dyn_sized_stack, 0
	.set _ZN7rocprim17ROCPRIM_400000_NS6detail17trampoline_kernelINS0_14default_configENS1_38merge_sort_block_merge_config_selectorIjN6thrust23THRUST_200600_302600_NS5tupleIffNS6_9null_typeES8_S8_S8_S8_S8_S8_S8_EEEEZZNS1_27merge_sort_block_merge_implIS3_NS6_6detail15normal_iteratorINS6_10device_ptrIjEEEENSD_INSE_IS9_EEEEjNS1_19radix_merge_compareILb0ELb1EjNS0_19identity_decomposerEEEEE10hipError_tT0_T1_T2_jT3_P12ihipStream_tbPNSt15iterator_traitsISN_E10value_typeEPNST_ISO_E10value_typeEPSP_NS1_7vsmem_tEENKUlT_SN_SO_SP_E_clIPjSG_PS9_SI_EESM_S12_SN_SO_SP_EUlS12_E0_NS1_11comp_targetILNS1_3genE4ELNS1_11target_archE910ELNS1_3gpuE8ELNS1_3repE0EEENS1_38merge_mergepath_config_static_selectorELNS0_4arch9wavefront6targetE0EEEvSO_.has_recursion, 0
	.set _ZN7rocprim17ROCPRIM_400000_NS6detail17trampoline_kernelINS0_14default_configENS1_38merge_sort_block_merge_config_selectorIjN6thrust23THRUST_200600_302600_NS5tupleIffNS6_9null_typeES8_S8_S8_S8_S8_S8_S8_EEEEZZNS1_27merge_sort_block_merge_implIS3_NS6_6detail15normal_iteratorINS6_10device_ptrIjEEEENSD_INSE_IS9_EEEEjNS1_19radix_merge_compareILb0ELb1EjNS0_19identity_decomposerEEEEE10hipError_tT0_T1_T2_jT3_P12ihipStream_tbPNSt15iterator_traitsISN_E10value_typeEPNST_ISO_E10value_typeEPSP_NS1_7vsmem_tEENKUlT_SN_SO_SP_E_clIPjSG_PS9_SI_EESM_S12_SN_SO_SP_EUlS12_E0_NS1_11comp_targetILNS1_3genE4ELNS1_11target_archE910ELNS1_3gpuE8ELNS1_3repE0EEENS1_38merge_mergepath_config_static_selectorELNS0_4arch9wavefront6targetE0EEEvSO_.has_indirect_call, 0
	.section	.AMDGPU.csdata,"",@progbits
; Kernel info:
; codeLenInByte = 0
; TotalNumSgprs: 0
; NumVgprs: 0
; ScratchSize: 0
; MemoryBound: 0
; FloatMode: 240
; IeeeMode: 1
; LDSByteSize: 0 bytes/workgroup (compile time only)
; SGPRBlocks: 0
; VGPRBlocks: 0
; NumSGPRsForWavesPerEU: 1
; NumVGPRsForWavesPerEU: 1
; NamedBarCnt: 0
; Occupancy: 16
; WaveLimiterHint : 0
; COMPUTE_PGM_RSRC2:SCRATCH_EN: 0
; COMPUTE_PGM_RSRC2:USER_SGPR: 2
; COMPUTE_PGM_RSRC2:TRAP_HANDLER: 0
; COMPUTE_PGM_RSRC2:TGID_X_EN: 1
; COMPUTE_PGM_RSRC2:TGID_Y_EN: 0
; COMPUTE_PGM_RSRC2:TGID_Z_EN: 0
; COMPUTE_PGM_RSRC2:TIDIG_COMP_CNT: 0
	.section	.text._ZN7rocprim17ROCPRIM_400000_NS6detail17trampoline_kernelINS0_14default_configENS1_38merge_sort_block_merge_config_selectorIjN6thrust23THRUST_200600_302600_NS5tupleIffNS6_9null_typeES8_S8_S8_S8_S8_S8_S8_EEEEZZNS1_27merge_sort_block_merge_implIS3_NS6_6detail15normal_iteratorINS6_10device_ptrIjEEEENSD_INSE_IS9_EEEEjNS1_19radix_merge_compareILb0ELb1EjNS0_19identity_decomposerEEEEE10hipError_tT0_T1_T2_jT3_P12ihipStream_tbPNSt15iterator_traitsISN_E10value_typeEPNST_ISO_E10value_typeEPSP_NS1_7vsmem_tEENKUlT_SN_SO_SP_E_clIPjSG_PS9_SI_EESM_S12_SN_SO_SP_EUlS12_E0_NS1_11comp_targetILNS1_3genE3ELNS1_11target_archE908ELNS1_3gpuE7ELNS1_3repE0EEENS1_38merge_mergepath_config_static_selectorELNS0_4arch9wavefront6targetE0EEEvSO_,"axG",@progbits,_ZN7rocprim17ROCPRIM_400000_NS6detail17trampoline_kernelINS0_14default_configENS1_38merge_sort_block_merge_config_selectorIjN6thrust23THRUST_200600_302600_NS5tupleIffNS6_9null_typeES8_S8_S8_S8_S8_S8_S8_EEEEZZNS1_27merge_sort_block_merge_implIS3_NS6_6detail15normal_iteratorINS6_10device_ptrIjEEEENSD_INSE_IS9_EEEEjNS1_19radix_merge_compareILb0ELb1EjNS0_19identity_decomposerEEEEE10hipError_tT0_T1_T2_jT3_P12ihipStream_tbPNSt15iterator_traitsISN_E10value_typeEPNST_ISO_E10value_typeEPSP_NS1_7vsmem_tEENKUlT_SN_SO_SP_E_clIPjSG_PS9_SI_EESM_S12_SN_SO_SP_EUlS12_E0_NS1_11comp_targetILNS1_3genE3ELNS1_11target_archE908ELNS1_3gpuE7ELNS1_3repE0EEENS1_38merge_mergepath_config_static_selectorELNS0_4arch9wavefront6targetE0EEEvSO_,comdat
	.protected	_ZN7rocprim17ROCPRIM_400000_NS6detail17trampoline_kernelINS0_14default_configENS1_38merge_sort_block_merge_config_selectorIjN6thrust23THRUST_200600_302600_NS5tupleIffNS6_9null_typeES8_S8_S8_S8_S8_S8_S8_EEEEZZNS1_27merge_sort_block_merge_implIS3_NS6_6detail15normal_iteratorINS6_10device_ptrIjEEEENSD_INSE_IS9_EEEEjNS1_19radix_merge_compareILb0ELb1EjNS0_19identity_decomposerEEEEE10hipError_tT0_T1_T2_jT3_P12ihipStream_tbPNSt15iterator_traitsISN_E10value_typeEPNST_ISO_E10value_typeEPSP_NS1_7vsmem_tEENKUlT_SN_SO_SP_E_clIPjSG_PS9_SI_EESM_S12_SN_SO_SP_EUlS12_E0_NS1_11comp_targetILNS1_3genE3ELNS1_11target_archE908ELNS1_3gpuE7ELNS1_3repE0EEENS1_38merge_mergepath_config_static_selectorELNS0_4arch9wavefront6targetE0EEEvSO_ ; -- Begin function _ZN7rocprim17ROCPRIM_400000_NS6detail17trampoline_kernelINS0_14default_configENS1_38merge_sort_block_merge_config_selectorIjN6thrust23THRUST_200600_302600_NS5tupleIffNS6_9null_typeES8_S8_S8_S8_S8_S8_S8_EEEEZZNS1_27merge_sort_block_merge_implIS3_NS6_6detail15normal_iteratorINS6_10device_ptrIjEEEENSD_INSE_IS9_EEEEjNS1_19radix_merge_compareILb0ELb1EjNS0_19identity_decomposerEEEEE10hipError_tT0_T1_T2_jT3_P12ihipStream_tbPNSt15iterator_traitsISN_E10value_typeEPNST_ISO_E10value_typeEPSP_NS1_7vsmem_tEENKUlT_SN_SO_SP_E_clIPjSG_PS9_SI_EESM_S12_SN_SO_SP_EUlS12_E0_NS1_11comp_targetILNS1_3genE3ELNS1_11target_archE908ELNS1_3gpuE7ELNS1_3repE0EEENS1_38merge_mergepath_config_static_selectorELNS0_4arch9wavefront6targetE0EEEvSO_
	.globl	_ZN7rocprim17ROCPRIM_400000_NS6detail17trampoline_kernelINS0_14default_configENS1_38merge_sort_block_merge_config_selectorIjN6thrust23THRUST_200600_302600_NS5tupleIffNS6_9null_typeES8_S8_S8_S8_S8_S8_S8_EEEEZZNS1_27merge_sort_block_merge_implIS3_NS6_6detail15normal_iteratorINS6_10device_ptrIjEEEENSD_INSE_IS9_EEEEjNS1_19radix_merge_compareILb0ELb1EjNS0_19identity_decomposerEEEEE10hipError_tT0_T1_T2_jT3_P12ihipStream_tbPNSt15iterator_traitsISN_E10value_typeEPNST_ISO_E10value_typeEPSP_NS1_7vsmem_tEENKUlT_SN_SO_SP_E_clIPjSG_PS9_SI_EESM_S12_SN_SO_SP_EUlS12_E0_NS1_11comp_targetILNS1_3genE3ELNS1_11target_archE908ELNS1_3gpuE7ELNS1_3repE0EEENS1_38merge_mergepath_config_static_selectorELNS0_4arch9wavefront6targetE0EEEvSO_
	.p2align	8
	.type	_ZN7rocprim17ROCPRIM_400000_NS6detail17trampoline_kernelINS0_14default_configENS1_38merge_sort_block_merge_config_selectorIjN6thrust23THRUST_200600_302600_NS5tupleIffNS6_9null_typeES8_S8_S8_S8_S8_S8_S8_EEEEZZNS1_27merge_sort_block_merge_implIS3_NS6_6detail15normal_iteratorINS6_10device_ptrIjEEEENSD_INSE_IS9_EEEEjNS1_19radix_merge_compareILb0ELb1EjNS0_19identity_decomposerEEEEE10hipError_tT0_T1_T2_jT3_P12ihipStream_tbPNSt15iterator_traitsISN_E10value_typeEPNST_ISO_E10value_typeEPSP_NS1_7vsmem_tEENKUlT_SN_SO_SP_E_clIPjSG_PS9_SI_EESM_S12_SN_SO_SP_EUlS12_E0_NS1_11comp_targetILNS1_3genE3ELNS1_11target_archE908ELNS1_3gpuE7ELNS1_3repE0EEENS1_38merge_mergepath_config_static_selectorELNS0_4arch9wavefront6targetE0EEEvSO_,@function
_ZN7rocprim17ROCPRIM_400000_NS6detail17trampoline_kernelINS0_14default_configENS1_38merge_sort_block_merge_config_selectorIjN6thrust23THRUST_200600_302600_NS5tupleIffNS6_9null_typeES8_S8_S8_S8_S8_S8_S8_EEEEZZNS1_27merge_sort_block_merge_implIS3_NS6_6detail15normal_iteratorINS6_10device_ptrIjEEEENSD_INSE_IS9_EEEEjNS1_19radix_merge_compareILb0ELb1EjNS0_19identity_decomposerEEEEE10hipError_tT0_T1_T2_jT3_P12ihipStream_tbPNSt15iterator_traitsISN_E10value_typeEPNST_ISO_E10value_typeEPSP_NS1_7vsmem_tEENKUlT_SN_SO_SP_E_clIPjSG_PS9_SI_EESM_S12_SN_SO_SP_EUlS12_E0_NS1_11comp_targetILNS1_3genE3ELNS1_11target_archE908ELNS1_3gpuE7ELNS1_3repE0EEENS1_38merge_mergepath_config_static_selectorELNS0_4arch9wavefront6targetE0EEEvSO_: ; @_ZN7rocprim17ROCPRIM_400000_NS6detail17trampoline_kernelINS0_14default_configENS1_38merge_sort_block_merge_config_selectorIjN6thrust23THRUST_200600_302600_NS5tupleIffNS6_9null_typeES8_S8_S8_S8_S8_S8_S8_EEEEZZNS1_27merge_sort_block_merge_implIS3_NS6_6detail15normal_iteratorINS6_10device_ptrIjEEEENSD_INSE_IS9_EEEEjNS1_19radix_merge_compareILb0ELb1EjNS0_19identity_decomposerEEEEE10hipError_tT0_T1_T2_jT3_P12ihipStream_tbPNSt15iterator_traitsISN_E10value_typeEPNST_ISO_E10value_typeEPSP_NS1_7vsmem_tEENKUlT_SN_SO_SP_E_clIPjSG_PS9_SI_EESM_S12_SN_SO_SP_EUlS12_E0_NS1_11comp_targetILNS1_3genE3ELNS1_11target_archE908ELNS1_3gpuE7ELNS1_3repE0EEENS1_38merge_mergepath_config_static_selectorELNS0_4arch9wavefront6targetE0EEEvSO_
; %bb.0:
	.section	.rodata,"a",@progbits
	.p2align	6, 0x0
	.amdhsa_kernel _ZN7rocprim17ROCPRIM_400000_NS6detail17trampoline_kernelINS0_14default_configENS1_38merge_sort_block_merge_config_selectorIjN6thrust23THRUST_200600_302600_NS5tupleIffNS6_9null_typeES8_S8_S8_S8_S8_S8_S8_EEEEZZNS1_27merge_sort_block_merge_implIS3_NS6_6detail15normal_iteratorINS6_10device_ptrIjEEEENSD_INSE_IS9_EEEEjNS1_19radix_merge_compareILb0ELb1EjNS0_19identity_decomposerEEEEE10hipError_tT0_T1_T2_jT3_P12ihipStream_tbPNSt15iterator_traitsISN_E10value_typeEPNST_ISO_E10value_typeEPSP_NS1_7vsmem_tEENKUlT_SN_SO_SP_E_clIPjSG_PS9_SI_EESM_S12_SN_SO_SP_EUlS12_E0_NS1_11comp_targetILNS1_3genE3ELNS1_11target_archE908ELNS1_3gpuE7ELNS1_3repE0EEENS1_38merge_mergepath_config_static_selectorELNS0_4arch9wavefront6targetE0EEEvSO_
		.amdhsa_group_segment_fixed_size 0
		.amdhsa_private_segment_fixed_size 0
		.amdhsa_kernarg_size 64
		.amdhsa_user_sgpr_count 2
		.amdhsa_user_sgpr_dispatch_ptr 0
		.amdhsa_user_sgpr_queue_ptr 0
		.amdhsa_user_sgpr_kernarg_segment_ptr 1
		.amdhsa_user_sgpr_dispatch_id 0
		.amdhsa_user_sgpr_kernarg_preload_length 0
		.amdhsa_user_sgpr_kernarg_preload_offset 0
		.amdhsa_user_sgpr_private_segment_size 0
		.amdhsa_wavefront_size32 1
		.amdhsa_uses_dynamic_stack 0
		.amdhsa_enable_private_segment 0
		.amdhsa_system_sgpr_workgroup_id_x 1
		.amdhsa_system_sgpr_workgroup_id_y 0
		.amdhsa_system_sgpr_workgroup_id_z 0
		.amdhsa_system_sgpr_workgroup_info 0
		.amdhsa_system_vgpr_workitem_id 0
		.amdhsa_next_free_vgpr 1
		.amdhsa_next_free_sgpr 1
		.amdhsa_named_barrier_count 0
		.amdhsa_reserve_vcc 0
		.amdhsa_float_round_mode_32 0
		.amdhsa_float_round_mode_16_64 0
		.amdhsa_float_denorm_mode_32 3
		.amdhsa_float_denorm_mode_16_64 3
		.amdhsa_fp16_overflow 0
		.amdhsa_memory_ordered 1
		.amdhsa_forward_progress 1
		.amdhsa_inst_pref_size 0
		.amdhsa_round_robin_scheduling 0
		.amdhsa_exception_fp_ieee_invalid_op 0
		.amdhsa_exception_fp_denorm_src 0
		.amdhsa_exception_fp_ieee_div_zero 0
		.amdhsa_exception_fp_ieee_overflow 0
		.amdhsa_exception_fp_ieee_underflow 0
		.amdhsa_exception_fp_ieee_inexact 0
		.amdhsa_exception_int_div_zero 0
	.end_amdhsa_kernel
	.section	.text._ZN7rocprim17ROCPRIM_400000_NS6detail17trampoline_kernelINS0_14default_configENS1_38merge_sort_block_merge_config_selectorIjN6thrust23THRUST_200600_302600_NS5tupleIffNS6_9null_typeES8_S8_S8_S8_S8_S8_S8_EEEEZZNS1_27merge_sort_block_merge_implIS3_NS6_6detail15normal_iteratorINS6_10device_ptrIjEEEENSD_INSE_IS9_EEEEjNS1_19radix_merge_compareILb0ELb1EjNS0_19identity_decomposerEEEEE10hipError_tT0_T1_T2_jT3_P12ihipStream_tbPNSt15iterator_traitsISN_E10value_typeEPNST_ISO_E10value_typeEPSP_NS1_7vsmem_tEENKUlT_SN_SO_SP_E_clIPjSG_PS9_SI_EESM_S12_SN_SO_SP_EUlS12_E0_NS1_11comp_targetILNS1_3genE3ELNS1_11target_archE908ELNS1_3gpuE7ELNS1_3repE0EEENS1_38merge_mergepath_config_static_selectorELNS0_4arch9wavefront6targetE0EEEvSO_,"axG",@progbits,_ZN7rocprim17ROCPRIM_400000_NS6detail17trampoline_kernelINS0_14default_configENS1_38merge_sort_block_merge_config_selectorIjN6thrust23THRUST_200600_302600_NS5tupleIffNS6_9null_typeES8_S8_S8_S8_S8_S8_S8_EEEEZZNS1_27merge_sort_block_merge_implIS3_NS6_6detail15normal_iteratorINS6_10device_ptrIjEEEENSD_INSE_IS9_EEEEjNS1_19radix_merge_compareILb0ELb1EjNS0_19identity_decomposerEEEEE10hipError_tT0_T1_T2_jT3_P12ihipStream_tbPNSt15iterator_traitsISN_E10value_typeEPNST_ISO_E10value_typeEPSP_NS1_7vsmem_tEENKUlT_SN_SO_SP_E_clIPjSG_PS9_SI_EESM_S12_SN_SO_SP_EUlS12_E0_NS1_11comp_targetILNS1_3genE3ELNS1_11target_archE908ELNS1_3gpuE7ELNS1_3repE0EEENS1_38merge_mergepath_config_static_selectorELNS0_4arch9wavefront6targetE0EEEvSO_,comdat
.Lfunc_end103:
	.size	_ZN7rocprim17ROCPRIM_400000_NS6detail17trampoline_kernelINS0_14default_configENS1_38merge_sort_block_merge_config_selectorIjN6thrust23THRUST_200600_302600_NS5tupleIffNS6_9null_typeES8_S8_S8_S8_S8_S8_S8_EEEEZZNS1_27merge_sort_block_merge_implIS3_NS6_6detail15normal_iteratorINS6_10device_ptrIjEEEENSD_INSE_IS9_EEEEjNS1_19radix_merge_compareILb0ELb1EjNS0_19identity_decomposerEEEEE10hipError_tT0_T1_T2_jT3_P12ihipStream_tbPNSt15iterator_traitsISN_E10value_typeEPNST_ISO_E10value_typeEPSP_NS1_7vsmem_tEENKUlT_SN_SO_SP_E_clIPjSG_PS9_SI_EESM_S12_SN_SO_SP_EUlS12_E0_NS1_11comp_targetILNS1_3genE3ELNS1_11target_archE908ELNS1_3gpuE7ELNS1_3repE0EEENS1_38merge_mergepath_config_static_selectorELNS0_4arch9wavefront6targetE0EEEvSO_, .Lfunc_end103-_ZN7rocprim17ROCPRIM_400000_NS6detail17trampoline_kernelINS0_14default_configENS1_38merge_sort_block_merge_config_selectorIjN6thrust23THRUST_200600_302600_NS5tupleIffNS6_9null_typeES8_S8_S8_S8_S8_S8_S8_EEEEZZNS1_27merge_sort_block_merge_implIS3_NS6_6detail15normal_iteratorINS6_10device_ptrIjEEEENSD_INSE_IS9_EEEEjNS1_19radix_merge_compareILb0ELb1EjNS0_19identity_decomposerEEEEE10hipError_tT0_T1_T2_jT3_P12ihipStream_tbPNSt15iterator_traitsISN_E10value_typeEPNST_ISO_E10value_typeEPSP_NS1_7vsmem_tEENKUlT_SN_SO_SP_E_clIPjSG_PS9_SI_EESM_S12_SN_SO_SP_EUlS12_E0_NS1_11comp_targetILNS1_3genE3ELNS1_11target_archE908ELNS1_3gpuE7ELNS1_3repE0EEENS1_38merge_mergepath_config_static_selectorELNS0_4arch9wavefront6targetE0EEEvSO_
                                        ; -- End function
	.set _ZN7rocprim17ROCPRIM_400000_NS6detail17trampoline_kernelINS0_14default_configENS1_38merge_sort_block_merge_config_selectorIjN6thrust23THRUST_200600_302600_NS5tupleIffNS6_9null_typeES8_S8_S8_S8_S8_S8_S8_EEEEZZNS1_27merge_sort_block_merge_implIS3_NS6_6detail15normal_iteratorINS6_10device_ptrIjEEEENSD_INSE_IS9_EEEEjNS1_19radix_merge_compareILb0ELb1EjNS0_19identity_decomposerEEEEE10hipError_tT0_T1_T2_jT3_P12ihipStream_tbPNSt15iterator_traitsISN_E10value_typeEPNST_ISO_E10value_typeEPSP_NS1_7vsmem_tEENKUlT_SN_SO_SP_E_clIPjSG_PS9_SI_EESM_S12_SN_SO_SP_EUlS12_E0_NS1_11comp_targetILNS1_3genE3ELNS1_11target_archE908ELNS1_3gpuE7ELNS1_3repE0EEENS1_38merge_mergepath_config_static_selectorELNS0_4arch9wavefront6targetE0EEEvSO_.num_vgpr, 0
	.set _ZN7rocprim17ROCPRIM_400000_NS6detail17trampoline_kernelINS0_14default_configENS1_38merge_sort_block_merge_config_selectorIjN6thrust23THRUST_200600_302600_NS5tupleIffNS6_9null_typeES8_S8_S8_S8_S8_S8_S8_EEEEZZNS1_27merge_sort_block_merge_implIS3_NS6_6detail15normal_iteratorINS6_10device_ptrIjEEEENSD_INSE_IS9_EEEEjNS1_19radix_merge_compareILb0ELb1EjNS0_19identity_decomposerEEEEE10hipError_tT0_T1_T2_jT3_P12ihipStream_tbPNSt15iterator_traitsISN_E10value_typeEPNST_ISO_E10value_typeEPSP_NS1_7vsmem_tEENKUlT_SN_SO_SP_E_clIPjSG_PS9_SI_EESM_S12_SN_SO_SP_EUlS12_E0_NS1_11comp_targetILNS1_3genE3ELNS1_11target_archE908ELNS1_3gpuE7ELNS1_3repE0EEENS1_38merge_mergepath_config_static_selectorELNS0_4arch9wavefront6targetE0EEEvSO_.num_agpr, 0
	.set _ZN7rocprim17ROCPRIM_400000_NS6detail17trampoline_kernelINS0_14default_configENS1_38merge_sort_block_merge_config_selectorIjN6thrust23THRUST_200600_302600_NS5tupleIffNS6_9null_typeES8_S8_S8_S8_S8_S8_S8_EEEEZZNS1_27merge_sort_block_merge_implIS3_NS6_6detail15normal_iteratorINS6_10device_ptrIjEEEENSD_INSE_IS9_EEEEjNS1_19radix_merge_compareILb0ELb1EjNS0_19identity_decomposerEEEEE10hipError_tT0_T1_T2_jT3_P12ihipStream_tbPNSt15iterator_traitsISN_E10value_typeEPNST_ISO_E10value_typeEPSP_NS1_7vsmem_tEENKUlT_SN_SO_SP_E_clIPjSG_PS9_SI_EESM_S12_SN_SO_SP_EUlS12_E0_NS1_11comp_targetILNS1_3genE3ELNS1_11target_archE908ELNS1_3gpuE7ELNS1_3repE0EEENS1_38merge_mergepath_config_static_selectorELNS0_4arch9wavefront6targetE0EEEvSO_.numbered_sgpr, 0
	.set _ZN7rocprim17ROCPRIM_400000_NS6detail17trampoline_kernelINS0_14default_configENS1_38merge_sort_block_merge_config_selectorIjN6thrust23THRUST_200600_302600_NS5tupleIffNS6_9null_typeES8_S8_S8_S8_S8_S8_S8_EEEEZZNS1_27merge_sort_block_merge_implIS3_NS6_6detail15normal_iteratorINS6_10device_ptrIjEEEENSD_INSE_IS9_EEEEjNS1_19radix_merge_compareILb0ELb1EjNS0_19identity_decomposerEEEEE10hipError_tT0_T1_T2_jT3_P12ihipStream_tbPNSt15iterator_traitsISN_E10value_typeEPNST_ISO_E10value_typeEPSP_NS1_7vsmem_tEENKUlT_SN_SO_SP_E_clIPjSG_PS9_SI_EESM_S12_SN_SO_SP_EUlS12_E0_NS1_11comp_targetILNS1_3genE3ELNS1_11target_archE908ELNS1_3gpuE7ELNS1_3repE0EEENS1_38merge_mergepath_config_static_selectorELNS0_4arch9wavefront6targetE0EEEvSO_.num_named_barrier, 0
	.set _ZN7rocprim17ROCPRIM_400000_NS6detail17trampoline_kernelINS0_14default_configENS1_38merge_sort_block_merge_config_selectorIjN6thrust23THRUST_200600_302600_NS5tupleIffNS6_9null_typeES8_S8_S8_S8_S8_S8_S8_EEEEZZNS1_27merge_sort_block_merge_implIS3_NS6_6detail15normal_iteratorINS6_10device_ptrIjEEEENSD_INSE_IS9_EEEEjNS1_19radix_merge_compareILb0ELb1EjNS0_19identity_decomposerEEEEE10hipError_tT0_T1_T2_jT3_P12ihipStream_tbPNSt15iterator_traitsISN_E10value_typeEPNST_ISO_E10value_typeEPSP_NS1_7vsmem_tEENKUlT_SN_SO_SP_E_clIPjSG_PS9_SI_EESM_S12_SN_SO_SP_EUlS12_E0_NS1_11comp_targetILNS1_3genE3ELNS1_11target_archE908ELNS1_3gpuE7ELNS1_3repE0EEENS1_38merge_mergepath_config_static_selectorELNS0_4arch9wavefront6targetE0EEEvSO_.private_seg_size, 0
	.set _ZN7rocprim17ROCPRIM_400000_NS6detail17trampoline_kernelINS0_14default_configENS1_38merge_sort_block_merge_config_selectorIjN6thrust23THRUST_200600_302600_NS5tupleIffNS6_9null_typeES8_S8_S8_S8_S8_S8_S8_EEEEZZNS1_27merge_sort_block_merge_implIS3_NS6_6detail15normal_iteratorINS6_10device_ptrIjEEEENSD_INSE_IS9_EEEEjNS1_19radix_merge_compareILb0ELb1EjNS0_19identity_decomposerEEEEE10hipError_tT0_T1_T2_jT3_P12ihipStream_tbPNSt15iterator_traitsISN_E10value_typeEPNST_ISO_E10value_typeEPSP_NS1_7vsmem_tEENKUlT_SN_SO_SP_E_clIPjSG_PS9_SI_EESM_S12_SN_SO_SP_EUlS12_E0_NS1_11comp_targetILNS1_3genE3ELNS1_11target_archE908ELNS1_3gpuE7ELNS1_3repE0EEENS1_38merge_mergepath_config_static_selectorELNS0_4arch9wavefront6targetE0EEEvSO_.uses_vcc, 0
	.set _ZN7rocprim17ROCPRIM_400000_NS6detail17trampoline_kernelINS0_14default_configENS1_38merge_sort_block_merge_config_selectorIjN6thrust23THRUST_200600_302600_NS5tupleIffNS6_9null_typeES8_S8_S8_S8_S8_S8_S8_EEEEZZNS1_27merge_sort_block_merge_implIS3_NS6_6detail15normal_iteratorINS6_10device_ptrIjEEEENSD_INSE_IS9_EEEEjNS1_19radix_merge_compareILb0ELb1EjNS0_19identity_decomposerEEEEE10hipError_tT0_T1_T2_jT3_P12ihipStream_tbPNSt15iterator_traitsISN_E10value_typeEPNST_ISO_E10value_typeEPSP_NS1_7vsmem_tEENKUlT_SN_SO_SP_E_clIPjSG_PS9_SI_EESM_S12_SN_SO_SP_EUlS12_E0_NS1_11comp_targetILNS1_3genE3ELNS1_11target_archE908ELNS1_3gpuE7ELNS1_3repE0EEENS1_38merge_mergepath_config_static_selectorELNS0_4arch9wavefront6targetE0EEEvSO_.uses_flat_scratch, 0
	.set _ZN7rocprim17ROCPRIM_400000_NS6detail17trampoline_kernelINS0_14default_configENS1_38merge_sort_block_merge_config_selectorIjN6thrust23THRUST_200600_302600_NS5tupleIffNS6_9null_typeES8_S8_S8_S8_S8_S8_S8_EEEEZZNS1_27merge_sort_block_merge_implIS3_NS6_6detail15normal_iteratorINS6_10device_ptrIjEEEENSD_INSE_IS9_EEEEjNS1_19radix_merge_compareILb0ELb1EjNS0_19identity_decomposerEEEEE10hipError_tT0_T1_T2_jT3_P12ihipStream_tbPNSt15iterator_traitsISN_E10value_typeEPNST_ISO_E10value_typeEPSP_NS1_7vsmem_tEENKUlT_SN_SO_SP_E_clIPjSG_PS9_SI_EESM_S12_SN_SO_SP_EUlS12_E0_NS1_11comp_targetILNS1_3genE3ELNS1_11target_archE908ELNS1_3gpuE7ELNS1_3repE0EEENS1_38merge_mergepath_config_static_selectorELNS0_4arch9wavefront6targetE0EEEvSO_.has_dyn_sized_stack, 0
	.set _ZN7rocprim17ROCPRIM_400000_NS6detail17trampoline_kernelINS0_14default_configENS1_38merge_sort_block_merge_config_selectorIjN6thrust23THRUST_200600_302600_NS5tupleIffNS6_9null_typeES8_S8_S8_S8_S8_S8_S8_EEEEZZNS1_27merge_sort_block_merge_implIS3_NS6_6detail15normal_iteratorINS6_10device_ptrIjEEEENSD_INSE_IS9_EEEEjNS1_19radix_merge_compareILb0ELb1EjNS0_19identity_decomposerEEEEE10hipError_tT0_T1_T2_jT3_P12ihipStream_tbPNSt15iterator_traitsISN_E10value_typeEPNST_ISO_E10value_typeEPSP_NS1_7vsmem_tEENKUlT_SN_SO_SP_E_clIPjSG_PS9_SI_EESM_S12_SN_SO_SP_EUlS12_E0_NS1_11comp_targetILNS1_3genE3ELNS1_11target_archE908ELNS1_3gpuE7ELNS1_3repE0EEENS1_38merge_mergepath_config_static_selectorELNS0_4arch9wavefront6targetE0EEEvSO_.has_recursion, 0
	.set _ZN7rocprim17ROCPRIM_400000_NS6detail17trampoline_kernelINS0_14default_configENS1_38merge_sort_block_merge_config_selectorIjN6thrust23THRUST_200600_302600_NS5tupleIffNS6_9null_typeES8_S8_S8_S8_S8_S8_S8_EEEEZZNS1_27merge_sort_block_merge_implIS3_NS6_6detail15normal_iteratorINS6_10device_ptrIjEEEENSD_INSE_IS9_EEEEjNS1_19radix_merge_compareILb0ELb1EjNS0_19identity_decomposerEEEEE10hipError_tT0_T1_T2_jT3_P12ihipStream_tbPNSt15iterator_traitsISN_E10value_typeEPNST_ISO_E10value_typeEPSP_NS1_7vsmem_tEENKUlT_SN_SO_SP_E_clIPjSG_PS9_SI_EESM_S12_SN_SO_SP_EUlS12_E0_NS1_11comp_targetILNS1_3genE3ELNS1_11target_archE908ELNS1_3gpuE7ELNS1_3repE0EEENS1_38merge_mergepath_config_static_selectorELNS0_4arch9wavefront6targetE0EEEvSO_.has_indirect_call, 0
	.section	.AMDGPU.csdata,"",@progbits
; Kernel info:
; codeLenInByte = 0
; TotalNumSgprs: 0
; NumVgprs: 0
; ScratchSize: 0
; MemoryBound: 0
; FloatMode: 240
; IeeeMode: 1
; LDSByteSize: 0 bytes/workgroup (compile time only)
; SGPRBlocks: 0
; VGPRBlocks: 0
; NumSGPRsForWavesPerEU: 1
; NumVGPRsForWavesPerEU: 1
; NamedBarCnt: 0
; Occupancy: 16
; WaveLimiterHint : 0
; COMPUTE_PGM_RSRC2:SCRATCH_EN: 0
; COMPUTE_PGM_RSRC2:USER_SGPR: 2
; COMPUTE_PGM_RSRC2:TRAP_HANDLER: 0
; COMPUTE_PGM_RSRC2:TGID_X_EN: 1
; COMPUTE_PGM_RSRC2:TGID_Y_EN: 0
; COMPUTE_PGM_RSRC2:TGID_Z_EN: 0
; COMPUTE_PGM_RSRC2:TIDIG_COMP_CNT: 0
	.section	.text._ZN7rocprim17ROCPRIM_400000_NS6detail17trampoline_kernelINS0_14default_configENS1_38merge_sort_block_merge_config_selectorIjN6thrust23THRUST_200600_302600_NS5tupleIffNS6_9null_typeES8_S8_S8_S8_S8_S8_S8_EEEEZZNS1_27merge_sort_block_merge_implIS3_NS6_6detail15normal_iteratorINS6_10device_ptrIjEEEENSD_INSE_IS9_EEEEjNS1_19radix_merge_compareILb0ELb1EjNS0_19identity_decomposerEEEEE10hipError_tT0_T1_T2_jT3_P12ihipStream_tbPNSt15iterator_traitsISN_E10value_typeEPNST_ISO_E10value_typeEPSP_NS1_7vsmem_tEENKUlT_SN_SO_SP_E_clIPjSG_PS9_SI_EESM_S12_SN_SO_SP_EUlS12_E0_NS1_11comp_targetILNS1_3genE2ELNS1_11target_archE906ELNS1_3gpuE6ELNS1_3repE0EEENS1_38merge_mergepath_config_static_selectorELNS0_4arch9wavefront6targetE0EEEvSO_,"axG",@progbits,_ZN7rocprim17ROCPRIM_400000_NS6detail17trampoline_kernelINS0_14default_configENS1_38merge_sort_block_merge_config_selectorIjN6thrust23THRUST_200600_302600_NS5tupleIffNS6_9null_typeES8_S8_S8_S8_S8_S8_S8_EEEEZZNS1_27merge_sort_block_merge_implIS3_NS6_6detail15normal_iteratorINS6_10device_ptrIjEEEENSD_INSE_IS9_EEEEjNS1_19radix_merge_compareILb0ELb1EjNS0_19identity_decomposerEEEEE10hipError_tT0_T1_T2_jT3_P12ihipStream_tbPNSt15iterator_traitsISN_E10value_typeEPNST_ISO_E10value_typeEPSP_NS1_7vsmem_tEENKUlT_SN_SO_SP_E_clIPjSG_PS9_SI_EESM_S12_SN_SO_SP_EUlS12_E0_NS1_11comp_targetILNS1_3genE2ELNS1_11target_archE906ELNS1_3gpuE6ELNS1_3repE0EEENS1_38merge_mergepath_config_static_selectorELNS0_4arch9wavefront6targetE0EEEvSO_,comdat
	.protected	_ZN7rocprim17ROCPRIM_400000_NS6detail17trampoline_kernelINS0_14default_configENS1_38merge_sort_block_merge_config_selectorIjN6thrust23THRUST_200600_302600_NS5tupleIffNS6_9null_typeES8_S8_S8_S8_S8_S8_S8_EEEEZZNS1_27merge_sort_block_merge_implIS3_NS6_6detail15normal_iteratorINS6_10device_ptrIjEEEENSD_INSE_IS9_EEEEjNS1_19radix_merge_compareILb0ELb1EjNS0_19identity_decomposerEEEEE10hipError_tT0_T1_T2_jT3_P12ihipStream_tbPNSt15iterator_traitsISN_E10value_typeEPNST_ISO_E10value_typeEPSP_NS1_7vsmem_tEENKUlT_SN_SO_SP_E_clIPjSG_PS9_SI_EESM_S12_SN_SO_SP_EUlS12_E0_NS1_11comp_targetILNS1_3genE2ELNS1_11target_archE906ELNS1_3gpuE6ELNS1_3repE0EEENS1_38merge_mergepath_config_static_selectorELNS0_4arch9wavefront6targetE0EEEvSO_ ; -- Begin function _ZN7rocprim17ROCPRIM_400000_NS6detail17trampoline_kernelINS0_14default_configENS1_38merge_sort_block_merge_config_selectorIjN6thrust23THRUST_200600_302600_NS5tupleIffNS6_9null_typeES8_S8_S8_S8_S8_S8_S8_EEEEZZNS1_27merge_sort_block_merge_implIS3_NS6_6detail15normal_iteratorINS6_10device_ptrIjEEEENSD_INSE_IS9_EEEEjNS1_19radix_merge_compareILb0ELb1EjNS0_19identity_decomposerEEEEE10hipError_tT0_T1_T2_jT3_P12ihipStream_tbPNSt15iterator_traitsISN_E10value_typeEPNST_ISO_E10value_typeEPSP_NS1_7vsmem_tEENKUlT_SN_SO_SP_E_clIPjSG_PS9_SI_EESM_S12_SN_SO_SP_EUlS12_E0_NS1_11comp_targetILNS1_3genE2ELNS1_11target_archE906ELNS1_3gpuE6ELNS1_3repE0EEENS1_38merge_mergepath_config_static_selectorELNS0_4arch9wavefront6targetE0EEEvSO_
	.globl	_ZN7rocprim17ROCPRIM_400000_NS6detail17trampoline_kernelINS0_14default_configENS1_38merge_sort_block_merge_config_selectorIjN6thrust23THRUST_200600_302600_NS5tupleIffNS6_9null_typeES8_S8_S8_S8_S8_S8_S8_EEEEZZNS1_27merge_sort_block_merge_implIS3_NS6_6detail15normal_iteratorINS6_10device_ptrIjEEEENSD_INSE_IS9_EEEEjNS1_19radix_merge_compareILb0ELb1EjNS0_19identity_decomposerEEEEE10hipError_tT0_T1_T2_jT3_P12ihipStream_tbPNSt15iterator_traitsISN_E10value_typeEPNST_ISO_E10value_typeEPSP_NS1_7vsmem_tEENKUlT_SN_SO_SP_E_clIPjSG_PS9_SI_EESM_S12_SN_SO_SP_EUlS12_E0_NS1_11comp_targetILNS1_3genE2ELNS1_11target_archE906ELNS1_3gpuE6ELNS1_3repE0EEENS1_38merge_mergepath_config_static_selectorELNS0_4arch9wavefront6targetE0EEEvSO_
	.p2align	8
	.type	_ZN7rocprim17ROCPRIM_400000_NS6detail17trampoline_kernelINS0_14default_configENS1_38merge_sort_block_merge_config_selectorIjN6thrust23THRUST_200600_302600_NS5tupleIffNS6_9null_typeES8_S8_S8_S8_S8_S8_S8_EEEEZZNS1_27merge_sort_block_merge_implIS3_NS6_6detail15normal_iteratorINS6_10device_ptrIjEEEENSD_INSE_IS9_EEEEjNS1_19radix_merge_compareILb0ELb1EjNS0_19identity_decomposerEEEEE10hipError_tT0_T1_T2_jT3_P12ihipStream_tbPNSt15iterator_traitsISN_E10value_typeEPNST_ISO_E10value_typeEPSP_NS1_7vsmem_tEENKUlT_SN_SO_SP_E_clIPjSG_PS9_SI_EESM_S12_SN_SO_SP_EUlS12_E0_NS1_11comp_targetILNS1_3genE2ELNS1_11target_archE906ELNS1_3gpuE6ELNS1_3repE0EEENS1_38merge_mergepath_config_static_selectorELNS0_4arch9wavefront6targetE0EEEvSO_,@function
_ZN7rocprim17ROCPRIM_400000_NS6detail17trampoline_kernelINS0_14default_configENS1_38merge_sort_block_merge_config_selectorIjN6thrust23THRUST_200600_302600_NS5tupleIffNS6_9null_typeES8_S8_S8_S8_S8_S8_S8_EEEEZZNS1_27merge_sort_block_merge_implIS3_NS6_6detail15normal_iteratorINS6_10device_ptrIjEEEENSD_INSE_IS9_EEEEjNS1_19radix_merge_compareILb0ELb1EjNS0_19identity_decomposerEEEEE10hipError_tT0_T1_T2_jT3_P12ihipStream_tbPNSt15iterator_traitsISN_E10value_typeEPNST_ISO_E10value_typeEPSP_NS1_7vsmem_tEENKUlT_SN_SO_SP_E_clIPjSG_PS9_SI_EESM_S12_SN_SO_SP_EUlS12_E0_NS1_11comp_targetILNS1_3genE2ELNS1_11target_archE906ELNS1_3gpuE6ELNS1_3repE0EEENS1_38merge_mergepath_config_static_selectorELNS0_4arch9wavefront6targetE0EEEvSO_: ; @_ZN7rocprim17ROCPRIM_400000_NS6detail17trampoline_kernelINS0_14default_configENS1_38merge_sort_block_merge_config_selectorIjN6thrust23THRUST_200600_302600_NS5tupleIffNS6_9null_typeES8_S8_S8_S8_S8_S8_S8_EEEEZZNS1_27merge_sort_block_merge_implIS3_NS6_6detail15normal_iteratorINS6_10device_ptrIjEEEENSD_INSE_IS9_EEEEjNS1_19radix_merge_compareILb0ELb1EjNS0_19identity_decomposerEEEEE10hipError_tT0_T1_T2_jT3_P12ihipStream_tbPNSt15iterator_traitsISN_E10value_typeEPNST_ISO_E10value_typeEPSP_NS1_7vsmem_tEENKUlT_SN_SO_SP_E_clIPjSG_PS9_SI_EESM_S12_SN_SO_SP_EUlS12_E0_NS1_11comp_targetILNS1_3genE2ELNS1_11target_archE906ELNS1_3gpuE6ELNS1_3repE0EEENS1_38merge_mergepath_config_static_selectorELNS0_4arch9wavefront6targetE0EEEvSO_
; %bb.0:
	.section	.rodata,"a",@progbits
	.p2align	6, 0x0
	.amdhsa_kernel _ZN7rocprim17ROCPRIM_400000_NS6detail17trampoline_kernelINS0_14default_configENS1_38merge_sort_block_merge_config_selectorIjN6thrust23THRUST_200600_302600_NS5tupleIffNS6_9null_typeES8_S8_S8_S8_S8_S8_S8_EEEEZZNS1_27merge_sort_block_merge_implIS3_NS6_6detail15normal_iteratorINS6_10device_ptrIjEEEENSD_INSE_IS9_EEEEjNS1_19radix_merge_compareILb0ELb1EjNS0_19identity_decomposerEEEEE10hipError_tT0_T1_T2_jT3_P12ihipStream_tbPNSt15iterator_traitsISN_E10value_typeEPNST_ISO_E10value_typeEPSP_NS1_7vsmem_tEENKUlT_SN_SO_SP_E_clIPjSG_PS9_SI_EESM_S12_SN_SO_SP_EUlS12_E0_NS1_11comp_targetILNS1_3genE2ELNS1_11target_archE906ELNS1_3gpuE6ELNS1_3repE0EEENS1_38merge_mergepath_config_static_selectorELNS0_4arch9wavefront6targetE0EEEvSO_
		.amdhsa_group_segment_fixed_size 0
		.amdhsa_private_segment_fixed_size 0
		.amdhsa_kernarg_size 64
		.amdhsa_user_sgpr_count 2
		.amdhsa_user_sgpr_dispatch_ptr 0
		.amdhsa_user_sgpr_queue_ptr 0
		.amdhsa_user_sgpr_kernarg_segment_ptr 1
		.amdhsa_user_sgpr_dispatch_id 0
		.amdhsa_user_sgpr_kernarg_preload_length 0
		.amdhsa_user_sgpr_kernarg_preload_offset 0
		.amdhsa_user_sgpr_private_segment_size 0
		.amdhsa_wavefront_size32 1
		.amdhsa_uses_dynamic_stack 0
		.amdhsa_enable_private_segment 0
		.amdhsa_system_sgpr_workgroup_id_x 1
		.amdhsa_system_sgpr_workgroup_id_y 0
		.amdhsa_system_sgpr_workgroup_id_z 0
		.amdhsa_system_sgpr_workgroup_info 0
		.amdhsa_system_vgpr_workitem_id 0
		.amdhsa_next_free_vgpr 1
		.amdhsa_next_free_sgpr 1
		.amdhsa_named_barrier_count 0
		.amdhsa_reserve_vcc 0
		.amdhsa_float_round_mode_32 0
		.amdhsa_float_round_mode_16_64 0
		.amdhsa_float_denorm_mode_32 3
		.amdhsa_float_denorm_mode_16_64 3
		.amdhsa_fp16_overflow 0
		.amdhsa_memory_ordered 1
		.amdhsa_forward_progress 1
		.amdhsa_inst_pref_size 0
		.amdhsa_round_robin_scheduling 0
		.amdhsa_exception_fp_ieee_invalid_op 0
		.amdhsa_exception_fp_denorm_src 0
		.amdhsa_exception_fp_ieee_div_zero 0
		.amdhsa_exception_fp_ieee_overflow 0
		.amdhsa_exception_fp_ieee_underflow 0
		.amdhsa_exception_fp_ieee_inexact 0
		.amdhsa_exception_int_div_zero 0
	.end_amdhsa_kernel
	.section	.text._ZN7rocprim17ROCPRIM_400000_NS6detail17trampoline_kernelINS0_14default_configENS1_38merge_sort_block_merge_config_selectorIjN6thrust23THRUST_200600_302600_NS5tupleIffNS6_9null_typeES8_S8_S8_S8_S8_S8_S8_EEEEZZNS1_27merge_sort_block_merge_implIS3_NS6_6detail15normal_iteratorINS6_10device_ptrIjEEEENSD_INSE_IS9_EEEEjNS1_19radix_merge_compareILb0ELb1EjNS0_19identity_decomposerEEEEE10hipError_tT0_T1_T2_jT3_P12ihipStream_tbPNSt15iterator_traitsISN_E10value_typeEPNST_ISO_E10value_typeEPSP_NS1_7vsmem_tEENKUlT_SN_SO_SP_E_clIPjSG_PS9_SI_EESM_S12_SN_SO_SP_EUlS12_E0_NS1_11comp_targetILNS1_3genE2ELNS1_11target_archE906ELNS1_3gpuE6ELNS1_3repE0EEENS1_38merge_mergepath_config_static_selectorELNS0_4arch9wavefront6targetE0EEEvSO_,"axG",@progbits,_ZN7rocprim17ROCPRIM_400000_NS6detail17trampoline_kernelINS0_14default_configENS1_38merge_sort_block_merge_config_selectorIjN6thrust23THRUST_200600_302600_NS5tupleIffNS6_9null_typeES8_S8_S8_S8_S8_S8_S8_EEEEZZNS1_27merge_sort_block_merge_implIS3_NS6_6detail15normal_iteratorINS6_10device_ptrIjEEEENSD_INSE_IS9_EEEEjNS1_19radix_merge_compareILb0ELb1EjNS0_19identity_decomposerEEEEE10hipError_tT0_T1_T2_jT3_P12ihipStream_tbPNSt15iterator_traitsISN_E10value_typeEPNST_ISO_E10value_typeEPSP_NS1_7vsmem_tEENKUlT_SN_SO_SP_E_clIPjSG_PS9_SI_EESM_S12_SN_SO_SP_EUlS12_E0_NS1_11comp_targetILNS1_3genE2ELNS1_11target_archE906ELNS1_3gpuE6ELNS1_3repE0EEENS1_38merge_mergepath_config_static_selectorELNS0_4arch9wavefront6targetE0EEEvSO_,comdat
.Lfunc_end104:
	.size	_ZN7rocprim17ROCPRIM_400000_NS6detail17trampoline_kernelINS0_14default_configENS1_38merge_sort_block_merge_config_selectorIjN6thrust23THRUST_200600_302600_NS5tupleIffNS6_9null_typeES8_S8_S8_S8_S8_S8_S8_EEEEZZNS1_27merge_sort_block_merge_implIS3_NS6_6detail15normal_iteratorINS6_10device_ptrIjEEEENSD_INSE_IS9_EEEEjNS1_19radix_merge_compareILb0ELb1EjNS0_19identity_decomposerEEEEE10hipError_tT0_T1_T2_jT3_P12ihipStream_tbPNSt15iterator_traitsISN_E10value_typeEPNST_ISO_E10value_typeEPSP_NS1_7vsmem_tEENKUlT_SN_SO_SP_E_clIPjSG_PS9_SI_EESM_S12_SN_SO_SP_EUlS12_E0_NS1_11comp_targetILNS1_3genE2ELNS1_11target_archE906ELNS1_3gpuE6ELNS1_3repE0EEENS1_38merge_mergepath_config_static_selectorELNS0_4arch9wavefront6targetE0EEEvSO_, .Lfunc_end104-_ZN7rocprim17ROCPRIM_400000_NS6detail17trampoline_kernelINS0_14default_configENS1_38merge_sort_block_merge_config_selectorIjN6thrust23THRUST_200600_302600_NS5tupleIffNS6_9null_typeES8_S8_S8_S8_S8_S8_S8_EEEEZZNS1_27merge_sort_block_merge_implIS3_NS6_6detail15normal_iteratorINS6_10device_ptrIjEEEENSD_INSE_IS9_EEEEjNS1_19radix_merge_compareILb0ELb1EjNS0_19identity_decomposerEEEEE10hipError_tT0_T1_T2_jT3_P12ihipStream_tbPNSt15iterator_traitsISN_E10value_typeEPNST_ISO_E10value_typeEPSP_NS1_7vsmem_tEENKUlT_SN_SO_SP_E_clIPjSG_PS9_SI_EESM_S12_SN_SO_SP_EUlS12_E0_NS1_11comp_targetILNS1_3genE2ELNS1_11target_archE906ELNS1_3gpuE6ELNS1_3repE0EEENS1_38merge_mergepath_config_static_selectorELNS0_4arch9wavefront6targetE0EEEvSO_
                                        ; -- End function
	.set _ZN7rocprim17ROCPRIM_400000_NS6detail17trampoline_kernelINS0_14default_configENS1_38merge_sort_block_merge_config_selectorIjN6thrust23THRUST_200600_302600_NS5tupleIffNS6_9null_typeES8_S8_S8_S8_S8_S8_S8_EEEEZZNS1_27merge_sort_block_merge_implIS3_NS6_6detail15normal_iteratorINS6_10device_ptrIjEEEENSD_INSE_IS9_EEEEjNS1_19radix_merge_compareILb0ELb1EjNS0_19identity_decomposerEEEEE10hipError_tT0_T1_T2_jT3_P12ihipStream_tbPNSt15iterator_traitsISN_E10value_typeEPNST_ISO_E10value_typeEPSP_NS1_7vsmem_tEENKUlT_SN_SO_SP_E_clIPjSG_PS9_SI_EESM_S12_SN_SO_SP_EUlS12_E0_NS1_11comp_targetILNS1_3genE2ELNS1_11target_archE906ELNS1_3gpuE6ELNS1_3repE0EEENS1_38merge_mergepath_config_static_selectorELNS0_4arch9wavefront6targetE0EEEvSO_.num_vgpr, 0
	.set _ZN7rocprim17ROCPRIM_400000_NS6detail17trampoline_kernelINS0_14default_configENS1_38merge_sort_block_merge_config_selectorIjN6thrust23THRUST_200600_302600_NS5tupleIffNS6_9null_typeES8_S8_S8_S8_S8_S8_S8_EEEEZZNS1_27merge_sort_block_merge_implIS3_NS6_6detail15normal_iteratorINS6_10device_ptrIjEEEENSD_INSE_IS9_EEEEjNS1_19radix_merge_compareILb0ELb1EjNS0_19identity_decomposerEEEEE10hipError_tT0_T1_T2_jT3_P12ihipStream_tbPNSt15iterator_traitsISN_E10value_typeEPNST_ISO_E10value_typeEPSP_NS1_7vsmem_tEENKUlT_SN_SO_SP_E_clIPjSG_PS9_SI_EESM_S12_SN_SO_SP_EUlS12_E0_NS1_11comp_targetILNS1_3genE2ELNS1_11target_archE906ELNS1_3gpuE6ELNS1_3repE0EEENS1_38merge_mergepath_config_static_selectorELNS0_4arch9wavefront6targetE0EEEvSO_.num_agpr, 0
	.set _ZN7rocprim17ROCPRIM_400000_NS6detail17trampoline_kernelINS0_14default_configENS1_38merge_sort_block_merge_config_selectorIjN6thrust23THRUST_200600_302600_NS5tupleIffNS6_9null_typeES8_S8_S8_S8_S8_S8_S8_EEEEZZNS1_27merge_sort_block_merge_implIS3_NS6_6detail15normal_iteratorINS6_10device_ptrIjEEEENSD_INSE_IS9_EEEEjNS1_19radix_merge_compareILb0ELb1EjNS0_19identity_decomposerEEEEE10hipError_tT0_T1_T2_jT3_P12ihipStream_tbPNSt15iterator_traitsISN_E10value_typeEPNST_ISO_E10value_typeEPSP_NS1_7vsmem_tEENKUlT_SN_SO_SP_E_clIPjSG_PS9_SI_EESM_S12_SN_SO_SP_EUlS12_E0_NS1_11comp_targetILNS1_3genE2ELNS1_11target_archE906ELNS1_3gpuE6ELNS1_3repE0EEENS1_38merge_mergepath_config_static_selectorELNS0_4arch9wavefront6targetE0EEEvSO_.numbered_sgpr, 0
	.set _ZN7rocprim17ROCPRIM_400000_NS6detail17trampoline_kernelINS0_14default_configENS1_38merge_sort_block_merge_config_selectorIjN6thrust23THRUST_200600_302600_NS5tupleIffNS6_9null_typeES8_S8_S8_S8_S8_S8_S8_EEEEZZNS1_27merge_sort_block_merge_implIS3_NS6_6detail15normal_iteratorINS6_10device_ptrIjEEEENSD_INSE_IS9_EEEEjNS1_19radix_merge_compareILb0ELb1EjNS0_19identity_decomposerEEEEE10hipError_tT0_T1_T2_jT3_P12ihipStream_tbPNSt15iterator_traitsISN_E10value_typeEPNST_ISO_E10value_typeEPSP_NS1_7vsmem_tEENKUlT_SN_SO_SP_E_clIPjSG_PS9_SI_EESM_S12_SN_SO_SP_EUlS12_E0_NS1_11comp_targetILNS1_3genE2ELNS1_11target_archE906ELNS1_3gpuE6ELNS1_3repE0EEENS1_38merge_mergepath_config_static_selectorELNS0_4arch9wavefront6targetE0EEEvSO_.num_named_barrier, 0
	.set _ZN7rocprim17ROCPRIM_400000_NS6detail17trampoline_kernelINS0_14default_configENS1_38merge_sort_block_merge_config_selectorIjN6thrust23THRUST_200600_302600_NS5tupleIffNS6_9null_typeES8_S8_S8_S8_S8_S8_S8_EEEEZZNS1_27merge_sort_block_merge_implIS3_NS6_6detail15normal_iteratorINS6_10device_ptrIjEEEENSD_INSE_IS9_EEEEjNS1_19radix_merge_compareILb0ELb1EjNS0_19identity_decomposerEEEEE10hipError_tT0_T1_T2_jT3_P12ihipStream_tbPNSt15iterator_traitsISN_E10value_typeEPNST_ISO_E10value_typeEPSP_NS1_7vsmem_tEENKUlT_SN_SO_SP_E_clIPjSG_PS9_SI_EESM_S12_SN_SO_SP_EUlS12_E0_NS1_11comp_targetILNS1_3genE2ELNS1_11target_archE906ELNS1_3gpuE6ELNS1_3repE0EEENS1_38merge_mergepath_config_static_selectorELNS0_4arch9wavefront6targetE0EEEvSO_.private_seg_size, 0
	.set _ZN7rocprim17ROCPRIM_400000_NS6detail17trampoline_kernelINS0_14default_configENS1_38merge_sort_block_merge_config_selectorIjN6thrust23THRUST_200600_302600_NS5tupleIffNS6_9null_typeES8_S8_S8_S8_S8_S8_S8_EEEEZZNS1_27merge_sort_block_merge_implIS3_NS6_6detail15normal_iteratorINS6_10device_ptrIjEEEENSD_INSE_IS9_EEEEjNS1_19radix_merge_compareILb0ELb1EjNS0_19identity_decomposerEEEEE10hipError_tT0_T1_T2_jT3_P12ihipStream_tbPNSt15iterator_traitsISN_E10value_typeEPNST_ISO_E10value_typeEPSP_NS1_7vsmem_tEENKUlT_SN_SO_SP_E_clIPjSG_PS9_SI_EESM_S12_SN_SO_SP_EUlS12_E0_NS1_11comp_targetILNS1_3genE2ELNS1_11target_archE906ELNS1_3gpuE6ELNS1_3repE0EEENS1_38merge_mergepath_config_static_selectorELNS0_4arch9wavefront6targetE0EEEvSO_.uses_vcc, 0
	.set _ZN7rocprim17ROCPRIM_400000_NS6detail17trampoline_kernelINS0_14default_configENS1_38merge_sort_block_merge_config_selectorIjN6thrust23THRUST_200600_302600_NS5tupleIffNS6_9null_typeES8_S8_S8_S8_S8_S8_S8_EEEEZZNS1_27merge_sort_block_merge_implIS3_NS6_6detail15normal_iteratorINS6_10device_ptrIjEEEENSD_INSE_IS9_EEEEjNS1_19radix_merge_compareILb0ELb1EjNS0_19identity_decomposerEEEEE10hipError_tT0_T1_T2_jT3_P12ihipStream_tbPNSt15iterator_traitsISN_E10value_typeEPNST_ISO_E10value_typeEPSP_NS1_7vsmem_tEENKUlT_SN_SO_SP_E_clIPjSG_PS9_SI_EESM_S12_SN_SO_SP_EUlS12_E0_NS1_11comp_targetILNS1_3genE2ELNS1_11target_archE906ELNS1_3gpuE6ELNS1_3repE0EEENS1_38merge_mergepath_config_static_selectorELNS0_4arch9wavefront6targetE0EEEvSO_.uses_flat_scratch, 0
	.set _ZN7rocprim17ROCPRIM_400000_NS6detail17trampoline_kernelINS0_14default_configENS1_38merge_sort_block_merge_config_selectorIjN6thrust23THRUST_200600_302600_NS5tupleIffNS6_9null_typeES8_S8_S8_S8_S8_S8_S8_EEEEZZNS1_27merge_sort_block_merge_implIS3_NS6_6detail15normal_iteratorINS6_10device_ptrIjEEEENSD_INSE_IS9_EEEEjNS1_19radix_merge_compareILb0ELb1EjNS0_19identity_decomposerEEEEE10hipError_tT0_T1_T2_jT3_P12ihipStream_tbPNSt15iterator_traitsISN_E10value_typeEPNST_ISO_E10value_typeEPSP_NS1_7vsmem_tEENKUlT_SN_SO_SP_E_clIPjSG_PS9_SI_EESM_S12_SN_SO_SP_EUlS12_E0_NS1_11comp_targetILNS1_3genE2ELNS1_11target_archE906ELNS1_3gpuE6ELNS1_3repE0EEENS1_38merge_mergepath_config_static_selectorELNS0_4arch9wavefront6targetE0EEEvSO_.has_dyn_sized_stack, 0
	.set _ZN7rocprim17ROCPRIM_400000_NS6detail17trampoline_kernelINS0_14default_configENS1_38merge_sort_block_merge_config_selectorIjN6thrust23THRUST_200600_302600_NS5tupleIffNS6_9null_typeES8_S8_S8_S8_S8_S8_S8_EEEEZZNS1_27merge_sort_block_merge_implIS3_NS6_6detail15normal_iteratorINS6_10device_ptrIjEEEENSD_INSE_IS9_EEEEjNS1_19radix_merge_compareILb0ELb1EjNS0_19identity_decomposerEEEEE10hipError_tT0_T1_T2_jT3_P12ihipStream_tbPNSt15iterator_traitsISN_E10value_typeEPNST_ISO_E10value_typeEPSP_NS1_7vsmem_tEENKUlT_SN_SO_SP_E_clIPjSG_PS9_SI_EESM_S12_SN_SO_SP_EUlS12_E0_NS1_11comp_targetILNS1_3genE2ELNS1_11target_archE906ELNS1_3gpuE6ELNS1_3repE0EEENS1_38merge_mergepath_config_static_selectorELNS0_4arch9wavefront6targetE0EEEvSO_.has_recursion, 0
	.set _ZN7rocprim17ROCPRIM_400000_NS6detail17trampoline_kernelINS0_14default_configENS1_38merge_sort_block_merge_config_selectorIjN6thrust23THRUST_200600_302600_NS5tupleIffNS6_9null_typeES8_S8_S8_S8_S8_S8_S8_EEEEZZNS1_27merge_sort_block_merge_implIS3_NS6_6detail15normal_iteratorINS6_10device_ptrIjEEEENSD_INSE_IS9_EEEEjNS1_19radix_merge_compareILb0ELb1EjNS0_19identity_decomposerEEEEE10hipError_tT0_T1_T2_jT3_P12ihipStream_tbPNSt15iterator_traitsISN_E10value_typeEPNST_ISO_E10value_typeEPSP_NS1_7vsmem_tEENKUlT_SN_SO_SP_E_clIPjSG_PS9_SI_EESM_S12_SN_SO_SP_EUlS12_E0_NS1_11comp_targetILNS1_3genE2ELNS1_11target_archE906ELNS1_3gpuE6ELNS1_3repE0EEENS1_38merge_mergepath_config_static_selectorELNS0_4arch9wavefront6targetE0EEEvSO_.has_indirect_call, 0
	.section	.AMDGPU.csdata,"",@progbits
; Kernel info:
; codeLenInByte = 0
; TotalNumSgprs: 0
; NumVgprs: 0
; ScratchSize: 0
; MemoryBound: 0
; FloatMode: 240
; IeeeMode: 1
; LDSByteSize: 0 bytes/workgroup (compile time only)
; SGPRBlocks: 0
; VGPRBlocks: 0
; NumSGPRsForWavesPerEU: 1
; NumVGPRsForWavesPerEU: 1
; NamedBarCnt: 0
; Occupancy: 16
; WaveLimiterHint : 0
; COMPUTE_PGM_RSRC2:SCRATCH_EN: 0
; COMPUTE_PGM_RSRC2:USER_SGPR: 2
; COMPUTE_PGM_RSRC2:TRAP_HANDLER: 0
; COMPUTE_PGM_RSRC2:TGID_X_EN: 1
; COMPUTE_PGM_RSRC2:TGID_Y_EN: 0
; COMPUTE_PGM_RSRC2:TGID_Z_EN: 0
; COMPUTE_PGM_RSRC2:TIDIG_COMP_CNT: 0
	.section	.text._ZN7rocprim17ROCPRIM_400000_NS6detail17trampoline_kernelINS0_14default_configENS1_38merge_sort_block_merge_config_selectorIjN6thrust23THRUST_200600_302600_NS5tupleIffNS6_9null_typeES8_S8_S8_S8_S8_S8_S8_EEEEZZNS1_27merge_sort_block_merge_implIS3_NS6_6detail15normal_iteratorINS6_10device_ptrIjEEEENSD_INSE_IS9_EEEEjNS1_19radix_merge_compareILb0ELb1EjNS0_19identity_decomposerEEEEE10hipError_tT0_T1_T2_jT3_P12ihipStream_tbPNSt15iterator_traitsISN_E10value_typeEPNST_ISO_E10value_typeEPSP_NS1_7vsmem_tEENKUlT_SN_SO_SP_E_clIPjSG_PS9_SI_EESM_S12_SN_SO_SP_EUlS12_E0_NS1_11comp_targetILNS1_3genE9ELNS1_11target_archE1100ELNS1_3gpuE3ELNS1_3repE0EEENS1_38merge_mergepath_config_static_selectorELNS0_4arch9wavefront6targetE0EEEvSO_,"axG",@progbits,_ZN7rocprim17ROCPRIM_400000_NS6detail17trampoline_kernelINS0_14default_configENS1_38merge_sort_block_merge_config_selectorIjN6thrust23THRUST_200600_302600_NS5tupleIffNS6_9null_typeES8_S8_S8_S8_S8_S8_S8_EEEEZZNS1_27merge_sort_block_merge_implIS3_NS6_6detail15normal_iteratorINS6_10device_ptrIjEEEENSD_INSE_IS9_EEEEjNS1_19radix_merge_compareILb0ELb1EjNS0_19identity_decomposerEEEEE10hipError_tT0_T1_T2_jT3_P12ihipStream_tbPNSt15iterator_traitsISN_E10value_typeEPNST_ISO_E10value_typeEPSP_NS1_7vsmem_tEENKUlT_SN_SO_SP_E_clIPjSG_PS9_SI_EESM_S12_SN_SO_SP_EUlS12_E0_NS1_11comp_targetILNS1_3genE9ELNS1_11target_archE1100ELNS1_3gpuE3ELNS1_3repE0EEENS1_38merge_mergepath_config_static_selectorELNS0_4arch9wavefront6targetE0EEEvSO_,comdat
	.protected	_ZN7rocprim17ROCPRIM_400000_NS6detail17trampoline_kernelINS0_14default_configENS1_38merge_sort_block_merge_config_selectorIjN6thrust23THRUST_200600_302600_NS5tupleIffNS6_9null_typeES8_S8_S8_S8_S8_S8_S8_EEEEZZNS1_27merge_sort_block_merge_implIS3_NS6_6detail15normal_iteratorINS6_10device_ptrIjEEEENSD_INSE_IS9_EEEEjNS1_19radix_merge_compareILb0ELb1EjNS0_19identity_decomposerEEEEE10hipError_tT0_T1_T2_jT3_P12ihipStream_tbPNSt15iterator_traitsISN_E10value_typeEPNST_ISO_E10value_typeEPSP_NS1_7vsmem_tEENKUlT_SN_SO_SP_E_clIPjSG_PS9_SI_EESM_S12_SN_SO_SP_EUlS12_E0_NS1_11comp_targetILNS1_3genE9ELNS1_11target_archE1100ELNS1_3gpuE3ELNS1_3repE0EEENS1_38merge_mergepath_config_static_selectorELNS0_4arch9wavefront6targetE0EEEvSO_ ; -- Begin function _ZN7rocprim17ROCPRIM_400000_NS6detail17trampoline_kernelINS0_14default_configENS1_38merge_sort_block_merge_config_selectorIjN6thrust23THRUST_200600_302600_NS5tupleIffNS6_9null_typeES8_S8_S8_S8_S8_S8_S8_EEEEZZNS1_27merge_sort_block_merge_implIS3_NS6_6detail15normal_iteratorINS6_10device_ptrIjEEEENSD_INSE_IS9_EEEEjNS1_19radix_merge_compareILb0ELb1EjNS0_19identity_decomposerEEEEE10hipError_tT0_T1_T2_jT3_P12ihipStream_tbPNSt15iterator_traitsISN_E10value_typeEPNST_ISO_E10value_typeEPSP_NS1_7vsmem_tEENKUlT_SN_SO_SP_E_clIPjSG_PS9_SI_EESM_S12_SN_SO_SP_EUlS12_E0_NS1_11comp_targetILNS1_3genE9ELNS1_11target_archE1100ELNS1_3gpuE3ELNS1_3repE0EEENS1_38merge_mergepath_config_static_selectorELNS0_4arch9wavefront6targetE0EEEvSO_
	.globl	_ZN7rocprim17ROCPRIM_400000_NS6detail17trampoline_kernelINS0_14default_configENS1_38merge_sort_block_merge_config_selectorIjN6thrust23THRUST_200600_302600_NS5tupleIffNS6_9null_typeES8_S8_S8_S8_S8_S8_S8_EEEEZZNS1_27merge_sort_block_merge_implIS3_NS6_6detail15normal_iteratorINS6_10device_ptrIjEEEENSD_INSE_IS9_EEEEjNS1_19radix_merge_compareILb0ELb1EjNS0_19identity_decomposerEEEEE10hipError_tT0_T1_T2_jT3_P12ihipStream_tbPNSt15iterator_traitsISN_E10value_typeEPNST_ISO_E10value_typeEPSP_NS1_7vsmem_tEENKUlT_SN_SO_SP_E_clIPjSG_PS9_SI_EESM_S12_SN_SO_SP_EUlS12_E0_NS1_11comp_targetILNS1_3genE9ELNS1_11target_archE1100ELNS1_3gpuE3ELNS1_3repE0EEENS1_38merge_mergepath_config_static_selectorELNS0_4arch9wavefront6targetE0EEEvSO_
	.p2align	8
	.type	_ZN7rocprim17ROCPRIM_400000_NS6detail17trampoline_kernelINS0_14default_configENS1_38merge_sort_block_merge_config_selectorIjN6thrust23THRUST_200600_302600_NS5tupleIffNS6_9null_typeES8_S8_S8_S8_S8_S8_S8_EEEEZZNS1_27merge_sort_block_merge_implIS3_NS6_6detail15normal_iteratorINS6_10device_ptrIjEEEENSD_INSE_IS9_EEEEjNS1_19radix_merge_compareILb0ELb1EjNS0_19identity_decomposerEEEEE10hipError_tT0_T1_T2_jT3_P12ihipStream_tbPNSt15iterator_traitsISN_E10value_typeEPNST_ISO_E10value_typeEPSP_NS1_7vsmem_tEENKUlT_SN_SO_SP_E_clIPjSG_PS9_SI_EESM_S12_SN_SO_SP_EUlS12_E0_NS1_11comp_targetILNS1_3genE9ELNS1_11target_archE1100ELNS1_3gpuE3ELNS1_3repE0EEENS1_38merge_mergepath_config_static_selectorELNS0_4arch9wavefront6targetE0EEEvSO_,@function
_ZN7rocprim17ROCPRIM_400000_NS6detail17trampoline_kernelINS0_14default_configENS1_38merge_sort_block_merge_config_selectorIjN6thrust23THRUST_200600_302600_NS5tupleIffNS6_9null_typeES8_S8_S8_S8_S8_S8_S8_EEEEZZNS1_27merge_sort_block_merge_implIS3_NS6_6detail15normal_iteratorINS6_10device_ptrIjEEEENSD_INSE_IS9_EEEEjNS1_19radix_merge_compareILb0ELb1EjNS0_19identity_decomposerEEEEE10hipError_tT0_T1_T2_jT3_P12ihipStream_tbPNSt15iterator_traitsISN_E10value_typeEPNST_ISO_E10value_typeEPSP_NS1_7vsmem_tEENKUlT_SN_SO_SP_E_clIPjSG_PS9_SI_EESM_S12_SN_SO_SP_EUlS12_E0_NS1_11comp_targetILNS1_3genE9ELNS1_11target_archE1100ELNS1_3gpuE3ELNS1_3repE0EEENS1_38merge_mergepath_config_static_selectorELNS0_4arch9wavefront6targetE0EEEvSO_: ; @_ZN7rocprim17ROCPRIM_400000_NS6detail17trampoline_kernelINS0_14default_configENS1_38merge_sort_block_merge_config_selectorIjN6thrust23THRUST_200600_302600_NS5tupleIffNS6_9null_typeES8_S8_S8_S8_S8_S8_S8_EEEEZZNS1_27merge_sort_block_merge_implIS3_NS6_6detail15normal_iteratorINS6_10device_ptrIjEEEENSD_INSE_IS9_EEEEjNS1_19radix_merge_compareILb0ELb1EjNS0_19identity_decomposerEEEEE10hipError_tT0_T1_T2_jT3_P12ihipStream_tbPNSt15iterator_traitsISN_E10value_typeEPNST_ISO_E10value_typeEPSP_NS1_7vsmem_tEENKUlT_SN_SO_SP_E_clIPjSG_PS9_SI_EESM_S12_SN_SO_SP_EUlS12_E0_NS1_11comp_targetILNS1_3genE9ELNS1_11target_archE1100ELNS1_3gpuE3ELNS1_3repE0EEENS1_38merge_mergepath_config_static_selectorELNS0_4arch9wavefront6targetE0EEEvSO_
; %bb.0:
	.section	.rodata,"a",@progbits
	.p2align	6, 0x0
	.amdhsa_kernel _ZN7rocprim17ROCPRIM_400000_NS6detail17trampoline_kernelINS0_14default_configENS1_38merge_sort_block_merge_config_selectorIjN6thrust23THRUST_200600_302600_NS5tupleIffNS6_9null_typeES8_S8_S8_S8_S8_S8_S8_EEEEZZNS1_27merge_sort_block_merge_implIS3_NS6_6detail15normal_iteratorINS6_10device_ptrIjEEEENSD_INSE_IS9_EEEEjNS1_19radix_merge_compareILb0ELb1EjNS0_19identity_decomposerEEEEE10hipError_tT0_T1_T2_jT3_P12ihipStream_tbPNSt15iterator_traitsISN_E10value_typeEPNST_ISO_E10value_typeEPSP_NS1_7vsmem_tEENKUlT_SN_SO_SP_E_clIPjSG_PS9_SI_EESM_S12_SN_SO_SP_EUlS12_E0_NS1_11comp_targetILNS1_3genE9ELNS1_11target_archE1100ELNS1_3gpuE3ELNS1_3repE0EEENS1_38merge_mergepath_config_static_selectorELNS0_4arch9wavefront6targetE0EEEvSO_
		.amdhsa_group_segment_fixed_size 0
		.amdhsa_private_segment_fixed_size 0
		.amdhsa_kernarg_size 64
		.amdhsa_user_sgpr_count 2
		.amdhsa_user_sgpr_dispatch_ptr 0
		.amdhsa_user_sgpr_queue_ptr 0
		.amdhsa_user_sgpr_kernarg_segment_ptr 1
		.amdhsa_user_sgpr_dispatch_id 0
		.amdhsa_user_sgpr_kernarg_preload_length 0
		.amdhsa_user_sgpr_kernarg_preload_offset 0
		.amdhsa_user_sgpr_private_segment_size 0
		.amdhsa_wavefront_size32 1
		.amdhsa_uses_dynamic_stack 0
		.amdhsa_enable_private_segment 0
		.amdhsa_system_sgpr_workgroup_id_x 1
		.amdhsa_system_sgpr_workgroup_id_y 0
		.amdhsa_system_sgpr_workgroup_id_z 0
		.amdhsa_system_sgpr_workgroup_info 0
		.amdhsa_system_vgpr_workitem_id 0
		.amdhsa_next_free_vgpr 1
		.amdhsa_next_free_sgpr 1
		.amdhsa_named_barrier_count 0
		.amdhsa_reserve_vcc 0
		.amdhsa_float_round_mode_32 0
		.amdhsa_float_round_mode_16_64 0
		.amdhsa_float_denorm_mode_32 3
		.amdhsa_float_denorm_mode_16_64 3
		.amdhsa_fp16_overflow 0
		.amdhsa_memory_ordered 1
		.amdhsa_forward_progress 1
		.amdhsa_inst_pref_size 0
		.amdhsa_round_robin_scheduling 0
		.amdhsa_exception_fp_ieee_invalid_op 0
		.amdhsa_exception_fp_denorm_src 0
		.amdhsa_exception_fp_ieee_div_zero 0
		.amdhsa_exception_fp_ieee_overflow 0
		.amdhsa_exception_fp_ieee_underflow 0
		.amdhsa_exception_fp_ieee_inexact 0
		.amdhsa_exception_int_div_zero 0
	.end_amdhsa_kernel
	.section	.text._ZN7rocprim17ROCPRIM_400000_NS6detail17trampoline_kernelINS0_14default_configENS1_38merge_sort_block_merge_config_selectorIjN6thrust23THRUST_200600_302600_NS5tupleIffNS6_9null_typeES8_S8_S8_S8_S8_S8_S8_EEEEZZNS1_27merge_sort_block_merge_implIS3_NS6_6detail15normal_iteratorINS6_10device_ptrIjEEEENSD_INSE_IS9_EEEEjNS1_19radix_merge_compareILb0ELb1EjNS0_19identity_decomposerEEEEE10hipError_tT0_T1_T2_jT3_P12ihipStream_tbPNSt15iterator_traitsISN_E10value_typeEPNST_ISO_E10value_typeEPSP_NS1_7vsmem_tEENKUlT_SN_SO_SP_E_clIPjSG_PS9_SI_EESM_S12_SN_SO_SP_EUlS12_E0_NS1_11comp_targetILNS1_3genE9ELNS1_11target_archE1100ELNS1_3gpuE3ELNS1_3repE0EEENS1_38merge_mergepath_config_static_selectorELNS0_4arch9wavefront6targetE0EEEvSO_,"axG",@progbits,_ZN7rocprim17ROCPRIM_400000_NS6detail17trampoline_kernelINS0_14default_configENS1_38merge_sort_block_merge_config_selectorIjN6thrust23THRUST_200600_302600_NS5tupleIffNS6_9null_typeES8_S8_S8_S8_S8_S8_S8_EEEEZZNS1_27merge_sort_block_merge_implIS3_NS6_6detail15normal_iteratorINS6_10device_ptrIjEEEENSD_INSE_IS9_EEEEjNS1_19radix_merge_compareILb0ELb1EjNS0_19identity_decomposerEEEEE10hipError_tT0_T1_T2_jT3_P12ihipStream_tbPNSt15iterator_traitsISN_E10value_typeEPNST_ISO_E10value_typeEPSP_NS1_7vsmem_tEENKUlT_SN_SO_SP_E_clIPjSG_PS9_SI_EESM_S12_SN_SO_SP_EUlS12_E0_NS1_11comp_targetILNS1_3genE9ELNS1_11target_archE1100ELNS1_3gpuE3ELNS1_3repE0EEENS1_38merge_mergepath_config_static_selectorELNS0_4arch9wavefront6targetE0EEEvSO_,comdat
.Lfunc_end105:
	.size	_ZN7rocprim17ROCPRIM_400000_NS6detail17trampoline_kernelINS0_14default_configENS1_38merge_sort_block_merge_config_selectorIjN6thrust23THRUST_200600_302600_NS5tupleIffNS6_9null_typeES8_S8_S8_S8_S8_S8_S8_EEEEZZNS1_27merge_sort_block_merge_implIS3_NS6_6detail15normal_iteratorINS6_10device_ptrIjEEEENSD_INSE_IS9_EEEEjNS1_19radix_merge_compareILb0ELb1EjNS0_19identity_decomposerEEEEE10hipError_tT0_T1_T2_jT3_P12ihipStream_tbPNSt15iterator_traitsISN_E10value_typeEPNST_ISO_E10value_typeEPSP_NS1_7vsmem_tEENKUlT_SN_SO_SP_E_clIPjSG_PS9_SI_EESM_S12_SN_SO_SP_EUlS12_E0_NS1_11comp_targetILNS1_3genE9ELNS1_11target_archE1100ELNS1_3gpuE3ELNS1_3repE0EEENS1_38merge_mergepath_config_static_selectorELNS0_4arch9wavefront6targetE0EEEvSO_, .Lfunc_end105-_ZN7rocprim17ROCPRIM_400000_NS6detail17trampoline_kernelINS0_14default_configENS1_38merge_sort_block_merge_config_selectorIjN6thrust23THRUST_200600_302600_NS5tupleIffNS6_9null_typeES8_S8_S8_S8_S8_S8_S8_EEEEZZNS1_27merge_sort_block_merge_implIS3_NS6_6detail15normal_iteratorINS6_10device_ptrIjEEEENSD_INSE_IS9_EEEEjNS1_19radix_merge_compareILb0ELb1EjNS0_19identity_decomposerEEEEE10hipError_tT0_T1_T2_jT3_P12ihipStream_tbPNSt15iterator_traitsISN_E10value_typeEPNST_ISO_E10value_typeEPSP_NS1_7vsmem_tEENKUlT_SN_SO_SP_E_clIPjSG_PS9_SI_EESM_S12_SN_SO_SP_EUlS12_E0_NS1_11comp_targetILNS1_3genE9ELNS1_11target_archE1100ELNS1_3gpuE3ELNS1_3repE0EEENS1_38merge_mergepath_config_static_selectorELNS0_4arch9wavefront6targetE0EEEvSO_
                                        ; -- End function
	.set _ZN7rocprim17ROCPRIM_400000_NS6detail17trampoline_kernelINS0_14default_configENS1_38merge_sort_block_merge_config_selectorIjN6thrust23THRUST_200600_302600_NS5tupleIffNS6_9null_typeES8_S8_S8_S8_S8_S8_S8_EEEEZZNS1_27merge_sort_block_merge_implIS3_NS6_6detail15normal_iteratorINS6_10device_ptrIjEEEENSD_INSE_IS9_EEEEjNS1_19radix_merge_compareILb0ELb1EjNS0_19identity_decomposerEEEEE10hipError_tT0_T1_T2_jT3_P12ihipStream_tbPNSt15iterator_traitsISN_E10value_typeEPNST_ISO_E10value_typeEPSP_NS1_7vsmem_tEENKUlT_SN_SO_SP_E_clIPjSG_PS9_SI_EESM_S12_SN_SO_SP_EUlS12_E0_NS1_11comp_targetILNS1_3genE9ELNS1_11target_archE1100ELNS1_3gpuE3ELNS1_3repE0EEENS1_38merge_mergepath_config_static_selectorELNS0_4arch9wavefront6targetE0EEEvSO_.num_vgpr, 0
	.set _ZN7rocprim17ROCPRIM_400000_NS6detail17trampoline_kernelINS0_14default_configENS1_38merge_sort_block_merge_config_selectorIjN6thrust23THRUST_200600_302600_NS5tupleIffNS6_9null_typeES8_S8_S8_S8_S8_S8_S8_EEEEZZNS1_27merge_sort_block_merge_implIS3_NS6_6detail15normal_iteratorINS6_10device_ptrIjEEEENSD_INSE_IS9_EEEEjNS1_19radix_merge_compareILb0ELb1EjNS0_19identity_decomposerEEEEE10hipError_tT0_T1_T2_jT3_P12ihipStream_tbPNSt15iterator_traitsISN_E10value_typeEPNST_ISO_E10value_typeEPSP_NS1_7vsmem_tEENKUlT_SN_SO_SP_E_clIPjSG_PS9_SI_EESM_S12_SN_SO_SP_EUlS12_E0_NS1_11comp_targetILNS1_3genE9ELNS1_11target_archE1100ELNS1_3gpuE3ELNS1_3repE0EEENS1_38merge_mergepath_config_static_selectorELNS0_4arch9wavefront6targetE0EEEvSO_.num_agpr, 0
	.set _ZN7rocprim17ROCPRIM_400000_NS6detail17trampoline_kernelINS0_14default_configENS1_38merge_sort_block_merge_config_selectorIjN6thrust23THRUST_200600_302600_NS5tupleIffNS6_9null_typeES8_S8_S8_S8_S8_S8_S8_EEEEZZNS1_27merge_sort_block_merge_implIS3_NS6_6detail15normal_iteratorINS6_10device_ptrIjEEEENSD_INSE_IS9_EEEEjNS1_19radix_merge_compareILb0ELb1EjNS0_19identity_decomposerEEEEE10hipError_tT0_T1_T2_jT3_P12ihipStream_tbPNSt15iterator_traitsISN_E10value_typeEPNST_ISO_E10value_typeEPSP_NS1_7vsmem_tEENKUlT_SN_SO_SP_E_clIPjSG_PS9_SI_EESM_S12_SN_SO_SP_EUlS12_E0_NS1_11comp_targetILNS1_3genE9ELNS1_11target_archE1100ELNS1_3gpuE3ELNS1_3repE0EEENS1_38merge_mergepath_config_static_selectorELNS0_4arch9wavefront6targetE0EEEvSO_.numbered_sgpr, 0
	.set _ZN7rocprim17ROCPRIM_400000_NS6detail17trampoline_kernelINS0_14default_configENS1_38merge_sort_block_merge_config_selectorIjN6thrust23THRUST_200600_302600_NS5tupleIffNS6_9null_typeES8_S8_S8_S8_S8_S8_S8_EEEEZZNS1_27merge_sort_block_merge_implIS3_NS6_6detail15normal_iteratorINS6_10device_ptrIjEEEENSD_INSE_IS9_EEEEjNS1_19radix_merge_compareILb0ELb1EjNS0_19identity_decomposerEEEEE10hipError_tT0_T1_T2_jT3_P12ihipStream_tbPNSt15iterator_traitsISN_E10value_typeEPNST_ISO_E10value_typeEPSP_NS1_7vsmem_tEENKUlT_SN_SO_SP_E_clIPjSG_PS9_SI_EESM_S12_SN_SO_SP_EUlS12_E0_NS1_11comp_targetILNS1_3genE9ELNS1_11target_archE1100ELNS1_3gpuE3ELNS1_3repE0EEENS1_38merge_mergepath_config_static_selectorELNS0_4arch9wavefront6targetE0EEEvSO_.num_named_barrier, 0
	.set _ZN7rocprim17ROCPRIM_400000_NS6detail17trampoline_kernelINS0_14default_configENS1_38merge_sort_block_merge_config_selectorIjN6thrust23THRUST_200600_302600_NS5tupleIffNS6_9null_typeES8_S8_S8_S8_S8_S8_S8_EEEEZZNS1_27merge_sort_block_merge_implIS3_NS6_6detail15normal_iteratorINS6_10device_ptrIjEEEENSD_INSE_IS9_EEEEjNS1_19radix_merge_compareILb0ELb1EjNS0_19identity_decomposerEEEEE10hipError_tT0_T1_T2_jT3_P12ihipStream_tbPNSt15iterator_traitsISN_E10value_typeEPNST_ISO_E10value_typeEPSP_NS1_7vsmem_tEENKUlT_SN_SO_SP_E_clIPjSG_PS9_SI_EESM_S12_SN_SO_SP_EUlS12_E0_NS1_11comp_targetILNS1_3genE9ELNS1_11target_archE1100ELNS1_3gpuE3ELNS1_3repE0EEENS1_38merge_mergepath_config_static_selectorELNS0_4arch9wavefront6targetE0EEEvSO_.private_seg_size, 0
	.set _ZN7rocprim17ROCPRIM_400000_NS6detail17trampoline_kernelINS0_14default_configENS1_38merge_sort_block_merge_config_selectorIjN6thrust23THRUST_200600_302600_NS5tupleIffNS6_9null_typeES8_S8_S8_S8_S8_S8_S8_EEEEZZNS1_27merge_sort_block_merge_implIS3_NS6_6detail15normal_iteratorINS6_10device_ptrIjEEEENSD_INSE_IS9_EEEEjNS1_19radix_merge_compareILb0ELb1EjNS0_19identity_decomposerEEEEE10hipError_tT0_T1_T2_jT3_P12ihipStream_tbPNSt15iterator_traitsISN_E10value_typeEPNST_ISO_E10value_typeEPSP_NS1_7vsmem_tEENKUlT_SN_SO_SP_E_clIPjSG_PS9_SI_EESM_S12_SN_SO_SP_EUlS12_E0_NS1_11comp_targetILNS1_3genE9ELNS1_11target_archE1100ELNS1_3gpuE3ELNS1_3repE0EEENS1_38merge_mergepath_config_static_selectorELNS0_4arch9wavefront6targetE0EEEvSO_.uses_vcc, 0
	.set _ZN7rocprim17ROCPRIM_400000_NS6detail17trampoline_kernelINS0_14default_configENS1_38merge_sort_block_merge_config_selectorIjN6thrust23THRUST_200600_302600_NS5tupleIffNS6_9null_typeES8_S8_S8_S8_S8_S8_S8_EEEEZZNS1_27merge_sort_block_merge_implIS3_NS6_6detail15normal_iteratorINS6_10device_ptrIjEEEENSD_INSE_IS9_EEEEjNS1_19radix_merge_compareILb0ELb1EjNS0_19identity_decomposerEEEEE10hipError_tT0_T1_T2_jT3_P12ihipStream_tbPNSt15iterator_traitsISN_E10value_typeEPNST_ISO_E10value_typeEPSP_NS1_7vsmem_tEENKUlT_SN_SO_SP_E_clIPjSG_PS9_SI_EESM_S12_SN_SO_SP_EUlS12_E0_NS1_11comp_targetILNS1_3genE9ELNS1_11target_archE1100ELNS1_3gpuE3ELNS1_3repE0EEENS1_38merge_mergepath_config_static_selectorELNS0_4arch9wavefront6targetE0EEEvSO_.uses_flat_scratch, 0
	.set _ZN7rocprim17ROCPRIM_400000_NS6detail17trampoline_kernelINS0_14default_configENS1_38merge_sort_block_merge_config_selectorIjN6thrust23THRUST_200600_302600_NS5tupleIffNS6_9null_typeES8_S8_S8_S8_S8_S8_S8_EEEEZZNS1_27merge_sort_block_merge_implIS3_NS6_6detail15normal_iteratorINS6_10device_ptrIjEEEENSD_INSE_IS9_EEEEjNS1_19radix_merge_compareILb0ELb1EjNS0_19identity_decomposerEEEEE10hipError_tT0_T1_T2_jT3_P12ihipStream_tbPNSt15iterator_traitsISN_E10value_typeEPNST_ISO_E10value_typeEPSP_NS1_7vsmem_tEENKUlT_SN_SO_SP_E_clIPjSG_PS9_SI_EESM_S12_SN_SO_SP_EUlS12_E0_NS1_11comp_targetILNS1_3genE9ELNS1_11target_archE1100ELNS1_3gpuE3ELNS1_3repE0EEENS1_38merge_mergepath_config_static_selectorELNS0_4arch9wavefront6targetE0EEEvSO_.has_dyn_sized_stack, 0
	.set _ZN7rocprim17ROCPRIM_400000_NS6detail17trampoline_kernelINS0_14default_configENS1_38merge_sort_block_merge_config_selectorIjN6thrust23THRUST_200600_302600_NS5tupleIffNS6_9null_typeES8_S8_S8_S8_S8_S8_S8_EEEEZZNS1_27merge_sort_block_merge_implIS3_NS6_6detail15normal_iteratorINS6_10device_ptrIjEEEENSD_INSE_IS9_EEEEjNS1_19radix_merge_compareILb0ELb1EjNS0_19identity_decomposerEEEEE10hipError_tT0_T1_T2_jT3_P12ihipStream_tbPNSt15iterator_traitsISN_E10value_typeEPNST_ISO_E10value_typeEPSP_NS1_7vsmem_tEENKUlT_SN_SO_SP_E_clIPjSG_PS9_SI_EESM_S12_SN_SO_SP_EUlS12_E0_NS1_11comp_targetILNS1_3genE9ELNS1_11target_archE1100ELNS1_3gpuE3ELNS1_3repE0EEENS1_38merge_mergepath_config_static_selectorELNS0_4arch9wavefront6targetE0EEEvSO_.has_recursion, 0
	.set _ZN7rocprim17ROCPRIM_400000_NS6detail17trampoline_kernelINS0_14default_configENS1_38merge_sort_block_merge_config_selectorIjN6thrust23THRUST_200600_302600_NS5tupleIffNS6_9null_typeES8_S8_S8_S8_S8_S8_S8_EEEEZZNS1_27merge_sort_block_merge_implIS3_NS6_6detail15normal_iteratorINS6_10device_ptrIjEEEENSD_INSE_IS9_EEEEjNS1_19radix_merge_compareILb0ELb1EjNS0_19identity_decomposerEEEEE10hipError_tT0_T1_T2_jT3_P12ihipStream_tbPNSt15iterator_traitsISN_E10value_typeEPNST_ISO_E10value_typeEPSP_NS1_7vsmem_tEENKUlT_SN_SO_SP_E_clIPjSG_PS9_SI_EESM_S12_SN_SO_SP_EUlS12_E0_NS1_11comp_targetILNS1_3genE9ELNS1_11target_archE1100ELNS1_3gpuE3ELNS1_3repE0EEENS1_38merge_mergepath_config_static_selectorELNS0_4arch9wavefront6targetE0EEEvSO_.has_indirect_call, 0
	.section	.AMDGPU.csdata,"",@progbits
; Kernel info:
; codeLenInByte = 0
; TotalNumSgprs: 0
; NumVgprs: 0
; ScratchSize: 0
; MemoryBound: 0
; FloatMode: 240
; IeeeMode: 1
; LDSByteSize: 0 bytes/workgroup (compile time only)
; SGPRBlocks: 0
; VGPRBlocks: 0
; NumSGPRsForWavesPerEU: 1
; NumVGPRsForWavesPerEU: 1
; NamedBarCnt: 0
; Occupancy: 16
; WaveLimiterHint : 0
; COMPUTE_PGM_RSRC2:SCRATCH_EN: 0
; COMPUTE_PGM_RSRC2:USER_SGPR: 2
; COMPUTE_PGM_RSRC2:TRAP_HANDLER: 0
; COMPUTE_PGM_RSRC2:TGID_X_EN: 1
; COMPUTE_PGM_RSRC2:TGID_Y_EN: 0
; COMPUTE_PGM_RSRC2:TGID_Z_EN: 0
; COMPUTE_PGM_RSRC2:TIDIG_COMP_CNT: 0
	.section	.text._ZN7rocprim17ROCPRIM_400000_NS6detail17trampoline_kernelINS0_14default_configENS1_38merge_sort_block_merge_config_selectorIjN6thrust23THRUST_200600_302600_NS5tupleIffNS6_9null_typeES8_S8_S8_S8_S8_S8_S8_EEEEZZNS1_27merge_sort_block_merge_implIS3_NS6_6detail15normal_iteratorINS6_10device_ptrIjEEEENSD_INSE_IS9_EEEEjNS1_19radix_merge_compareILb0ELb1EjNS0_19identity_decomposerEEEEE10hipError_tT0_T1_T2_jT3_P12ihipStream_tbPNSt15iterator_traitsISN_E10value_typeEPNST_ISO_E10value_typeEPSP_NS1_7vsmem_tEENKUlT_SN_SO_SP_E_clIPjSG_PS9_SI_EESM_S12_SN_SO_SP_EUlS12_E0_NS1_11comp_targetILNS1_3genE8ELNS1_11target_archE1030ELNS1_3gpuE2ELNS1_3repE0EEENS1_38merge_mergepath_config_static_selectorELNS0_4arch9wavefront6targetE0EEEvSO_,"axG",@progbits,_ZN7rocprim17ROCPRIM_400000_NS6detail17trampoline_kernelINS0_14default_configENS1_38merge_sort_block_merge_config_selectorIjN6thrust23THRUST_200600_302600_NS5tupleIffNS6_9null_typeES8_S8_S8_S8_S8_S8_S8_EEEEZZNS1_27merge_sort_block_merge_implIS3_NS6_6detail15normal_iteratorINS6_10device_ptrIjEEEENSD_INSE_IS9_EEEEjNS1_19radix_merge_compareILb0ELb1EjNS0_19identity_decomposerEEEEE10hipError_tT0_T1_T2_jT3_P12ihipStream_tbPNSt15iterator_traitsISN_E10value_typeEPNST_ISO_E10value_typeEPSP_NS1_7vsmem_tEENKUlT_SN_SO_SP_E_clIPjSG_PS9_SI_EESM_S12_SN_SO_SP_EUlS12_E0_NS1_11comp_targetILNS1_3genE8ELNS1_11target_archE1030ELNS1_3gpuE2ELNS1_3repE0EEENS1_38merge_mergepath_config_static_selectorELNS0_4arch9wavefront6targetE0EEEvSO_,comdat
	.protected	_ZN7rocprim17ROCPRIM_400000_NS6detail17trampoline_kernelINS0_14default_configENS1_38merge_sort_block_merge_config_selectorIjN6thrust23THRUST_200600_302600_NS5tupleIffNS6_9null_typeES8_S8_S8_S8_S8_S8_S8_EEEEZZNS1_27merge_sort_block_merge_implIS3_NS6_6detail15normal_iteratorINS6_10device_ptrIjEEEENSD_INSE_IS9_EEEEjNS1_19radix_merge_compareILb0ELb1EjNS0_19identity_decomposerEEEEE10hipError_tT0_T1_T2_jT3_P12ihipStream_tbPNSt15iterator_traitsISN_E10value_typeEPNST_ISO_E10value_typeEPSP_NS1_7vsmem_tEENKUlT_SN_SO_SP_E_clIPjSG_PS9_SI_EESM_S12_SN_SO_SP_EUlS12_E0_NS1_11comp_targetILNS1_3genE8ELNS1_11target_archE1030ELNS1_3gpuE2ELNS1_3repE0EEENS1_38merge_mergepath_config_static_selectorELNS0_4arch9wavefront6targetE0EEEvSO_ ; -- Begin function _ZN7rocprim17ROCPRIM_400000_NS6detail17trampoline_kernelINS0_14default_configENS1_38merge_sort_block_merge_config_selectorIjN6thrust23THRUST_200600_302600_NS5tupleIffNS6_9null_typeES8_S8_S8_S8_S8_S8_S8_EEEEZZNS1_27merge_sort_block_merge_implIS3_NS6_6detail15normal_iteratorINS6_10device_ptrIjEEEENSD_INSE_IS9_EEEEjNS1_19radix_merge_compareILb0ELb1EjNS0_19identity_decomposerEEEEE10hipError_tT0_T1_T2_jT3_P12ihipStream_tbPNSt15iterator_traitsISN_E10value_typeEPNST_ISO_E10value_typeEPSP_NS1_7vsmem_tEENKUlT_SN_SO_SP_E_clIPjSG_PS9_SI_EESM_S12_SN_SO_SP_EUlS12_E0_NS1_11comp_targetILNS1_3genE8ELNS1_11target_archE1030ELNS1_3gpuE2ELNS1_3repE0EEENS1_38merge_mergepath_config_static_selectorELNS0_4arch9wavefront6targetE0EEEvSO_
	.globl	_ZN7rocprim17ROCPRIM_400000_NS6detail17trampoline_kernelINS0_14default_configENS1_38merge_sort_block_merge_config_selectorIjN6thrust23THRUST_200600_302600_NS5tupleIffNS6_9null_typeES8_S8_S8_S8_S8_S8_S8_EEEEZZNS1_27merge_sort_block_merge_implIS3_NS6_6detail15normal_iteratorINS6_10device_ptrIjEEEENSD_INSE_IS9_EEEEjNS1_19radix_merge_compareILb0ELb1EjNS0_19identity_decomposerEEEEE10hipError_tT0_T1_T2_jT3_P12ihipStream_tbPNSt15iterator_traitsISN_E10value_typeEPNST_ISO_E10value_typeEPSP_NS1_7vsmem_tEENKUlT_SN_SO_SP_E_clIPjSG_PS9_SI_EESM_S12_SN_SO_SP_EUlS12_E0_NS1_11comp_targetILNS1_3genE8ELNS1_11target_archE1030ELNS1_3gpuE2ELNS1_3repE0EEENS1_38merge_mergepath_config_static_selectorELNS0_4arch9wavefront6targetE0EEEvSO_
	.p2align	8
	.type	_ZN7rocprim17ROCPRIM_400000_NS6detail17trampoline_kernelINS0_14default_configENS1_38merge_sort_block_merge_config_selectorIjN6thrust23THRUST_200600_302600_NS5tupleIffNS6_9null_typeES8_S8_S8_S8_S8_S8_S8_EEEEZZNS1_27merge_sort_block_merge_implIS3_NS6_6detail15normal_iteratorINS6_10device_ptrIjEEEENSD_INSE_IS9_EEEEjNS1_19radix_merge_compareILb0ELb1EjNS0_19identity_decomposerEEEEE10hipError_tT0_T1_T2_jT3_P12ihipStream_tbPNSt15iterator_traitsISN_E10value_typeEPNST_ISO_E10value_typeEPSP_NS1_7vsmem_tEENKUlT_SN_SO_SP_E_clIPjSG_PS9_SI_EESM_S12_SN_SO_SP_EUlS12_E0_NS1_11comp_targetILNS1_3genE8ELNS1_11target_archE1030ELNS1_3gpuE2ELNS1_3repE0EEENS1_38merge_mergepath_config_static_selectorELNS0_4arch9wavefront6targetE0EEEvSO_,@function
_ZN7rocprim17ROCPRIM_400000_NS6detail17trampoline_kernelINS0_14default_configENS1_38merge_sort_block_merge_config_selectorIjN6thrust23THRUST_200600_302600_NS5tupleIffNS6_9null_typeES8_S8_S8_S8_S8_S8_S8_EEEEZZNS1_27merge_sort_block_merge_implIS3_NS6_6detail15normal_iteratorINS6_10device_ptrIjEEEENSD_INSE_IS9_EEEEjNS1_19radix_merge_compareILb0ELb1EjNS0_19identity_decomposerEEEEE10hipError_tT0_T1_T2_jT3_P12ihipStream_tbPNSt15iterator_traitsISN_E10value_typeEPNST_ISO_E10value_typeEPSP_NS1_7vsmem_tEENKUlT_SN_SO_SP_E_clIPjSG_PS9_SI_EESM_S12_SN_SO_SP_EUlS12_E0_NS1_11comp_targetILNS1_3genE8ELNS1_11target_archE1030ELNS1_3gpuE2ELNS1_3repE0EEENS1_38merge_mergepath_config_static_selectorELNS0_4arch9wavefront6targetE0EEEvSO_: ; @_ZN7rocprim17ROCPRIM_400000_NS6detail17trampoline_kernelINS0_14default_configENS1_38merge_sort_block_merge_config_selectorIjN6thrust23THRUST_200600_302600_NS5tupleIffNS6_9null_typeES8_S8_S8_S8_S8_S8_S8_EEEEZZNS1_27merge_sort_block_merge_implIS3_NS6_6detail15normal_iteratorINS6_10device_ptrIjEEEENSD_INSE_IS9_EEEEjNS1_19radix_merge_compareILb0ELb1EjNS0_19identity_decomposerEEEEE10hipError_tT0_T1_T2_jT3_P12ihipStream_tbPNSt15iterator_traitsISN_E10value_typeEPNST_ISO_E10value_typeEPSP_NS1_7vsmem_tEENKUlT_SN_SO_SP_E_clIPjSG_PS9_SI_EESM_S12_SN_SO_SP_EUlS12_E0_NS1_11comp_targetILNS1_3genE8ELNS1_11target_archE1030ELNS1_3gpuE2ELNS1_3repE0EEENS1_38merge_mergepath_config_static_selectorELNS0_4arch9wavefront6targetE0EEEvSO_
; %bb.0:
	.section	.rodata,"a",@progbits
	.p2align	6, 0x0
	.amdhsa_kernel _ZN7rocprim17ROCPRIM_400000_NS6detail17trampoline_kernelINS0_14default_configENS1_38merge_sort_block_merge_config_selectorIjN6thrust23THRUST_200600_302600_NS5tupleIffNS6_9null_typeES8_S8_S8_S8_S8_S8_S8_EEEEZZNS1_27merge_sort_block_merge_implIS3_NS6_6detail15normal_iteratorINS6_10device_ptrIjEEEENSD_INSE_IS9_EEEEjNS1_19radix_merge_compareILb0ELb1EjNS0_19identity_decomposerEEEEE10hipError_tT0_T1_T2_jT3_P12ihipStream_tbPNSt15iterator_traitsISN_E10value_typeEPNST_ISO_E10value_typeEPSP_NS1_7vsmem_tEENKUlT_SN_SO_SP_E_clIPjSG_PS9_SI_EESM_S12_SN_SO_SP_EUlS12_E0_NS1_11comp_targetILNS1_3genE8ELNS1_11target_archE1030ELNS1_3gpuE2ELNS1_3repE0EEENS1_38merge_mergepath_config_static_selectorELNS0_4arch9wavefront6targetE0EEEvSO_
		.amdhsa_group_segment_fixed_size 0
		.amdhsa_private_segment_fixed_size 0
		.amdhsa_kernarg_size 64
		.amdhsa_user_sgpr_count 2
		.amdhsa_user_sgpr_dispatch_ptr 0
		.amdhsa_user_sgpr_queue_ptr 0
		.amdhsa_user_sgpr_kernarg_segment_ptr 1
		.amdhsa_user_sgpr_dispatch_id 0
		.amdhsa_user_sgpr_kernarg_preload_length 0
		.amdhsa_user_sgpr_kernarg_preload_offset 0
		.amdhsa_user_sgpr_private_segment_size 0
		.amdhsa_wavefront_size32 1
		.amdhsa_uses_dynamic_stack 0
		.amdhsa_enable_private_segment 0
		.amdhsa_system_sgpr_workgroup_id_x 1
		.amdhsa_system_sgpr_workgroup_id_y 0
		.amdhsa_system_sgpr_workgroup_id_z 0
		.amdhsa_system_sgpr_workgroup_info 0
		.amdhsa_system_vgpr_workitem_id 0
		.amdhsa_next_free_vgpr 1
		.amdhsa_next_free_sgpr 1
		.amdhsa_named_barrier_count 0
		.amdhsa_reserve_vcc 0
		.amdhsa_float_round_mode_32 0
		.amdhsa_float_round_mode_16_64 0
		.amdhsa_float_denorm_mode_32 3
		.amdhsa_float_denorm_mode_16_64 3
		.amdhsa_fp16_overflow 0
		.amdhsa_memory_ordered 1
		.amdhsa_forward_progress 1
		.amdhsa_inst_pref_size 0
		.amdhsa_round_robin_scheduling 0
		.amdhsa_exception_fp_ieee_invalid_op 0
		.amdhsa_exception_fp_denorm_src 0
		.amdhsa_exception_fp_ieee_div_zero 0
		.amdhsa_exception_fp_ieee_overflow 0
		.amdhsa_exception_fp_ieee_underflow 0
		.amdhsa_exception_fp_ieee_inexact 0
		.amdhsa_exception_int_div_zero 0
	.end_amdhsa_kernel
	.section	.text._ZN7rocprim17ROCPRIM_400000_NS6detail17trampoline_kernelINS0_14default_configENS1_38merge_sort_block_merge_config_selectorIjN6thrust23THRUST_200600_302600_NS5tupleIffNS6_9null_typeES8_S8_S8_S8_S8_S8_S8_EEEEZZNS1_27merge_sort_block_merge_implIS3_NS6_6detail15normal_iteratorINS6_10device_ptrIjEEEENSD_INSE_IS9_EEEEjNS1_19radix_merge_compareILb0ELb1EjNS0_19identity_decomposerEEEEE10hipError_tT0_T1_T2_jT3_P12ihipStream_tbPNSt15iterator_traitsISN_E10value_typeEPNST_ISO_E10value_typeEPSP_NS1_7vsmem_tEENKUlT_SN_SO_SP_E_clIPjSG_PS9_SI_EESM_S12_SN_SO_SP_EUlS12_E0_NS1_11comp_targetILNS1_3genE8ELNS1_11target_archE1030ELNS1_3gpuE2ELNS1_3repE0EEENS1_38merge_mergepath_config_static_selectorELNS0_4arch9wavefront6targetE0EEEvSO_,"axG",@progbits,_ZN7rocprim17ROCPRIM_400000_NS6detail17trampoline_kernelINS0_14default_configENS1_38merge_sort_block_merge_config_selectorIjN6thrust23THRUST_200600_302600_NS5tupleIffNS6_9null_typeES8_S8_S8_S8_S8_S8_S8_EEEEZZNS1_27merge_sort_block_merge_implIS3_NS6_6detail15normal_iteratorINS6_10device_ptrIjEEEENSD_INSE_IS9_EEEEjNS1_19radix_merge_compareILb0ELb1EjNS0_19identity_decomposerEEEEE10hipError_tT0_T1_T2_jT3_P12ihipStream_tbPNSt15iterator_traitsISN_E10value_typeEPNST_ISO_E10value_typeEPSP_NS1_7vsmem_tEENKUlT_SN_SO_SP_E_clIPjSG_PS9_SI_EESM_S12_SN_SO_SP_EUlS12_E0_NS1_11comp_targetILNS1_3genE8ELNS1_11target_archE1030ELNS1_3gpuE2ELNS1_3repE0EEENS1_38merge_mergepath_config_static_selectorELNS0_4arch9wavefront6targetE0EEEvSO_,comdat
.Lfunc_end106:
	.size	_ZN7rocprim17ROCPRIM_400000_NS6detail17trampoline_kernelINS0_14default_configENS1_38merge_sort_block_merge_config_selectorIjN6thrust23THRUST_200600_302600_NS5tupleIffNS6_9null_typeES8_S8_S8_S8_S8_S8_S8_EEEEZZNS1_27merge_sort_block_merge_implIS3_NS6_6detail15normal_iteratorINS6_10device_ptrIjEEEENSD_INSE_IS9_EEEEjNS1_19radix_merge_compareILb0ELb1EjNS0_19identity_decomposerEEEEE10hipError_tT0_T1_T2_jT3_P12ihipStream_tbPNSt15iterator_traitsISN_E10value_typeEPNST_ISO_E10value_typeEPSP_NS1_7vsmem_tEENKUlT_SN_SO_SP_E_clIPjSG_PS9_SI_EESM_S12_SN_SO_SP_EUlS12_E0_NS1_11comp_targetILNS1_3genE8ELNS1_11target_archE1030ELNS1_3gpuE2ELNS1_3repE0EEENS1_38merge_mergepath_config_static_selectorELNS0_4arch9wavefront6targetE0EEEvSO_, .Lfunc_end106-_ZN7rocprim17ROCPRIM_400000_NS6detail17trampoline_kernelINS0_14default_configENS1_38merge_sort_block_merge_config_selectorIjN6thrust23THRUST_200600_302600_NS5tupleIffNS6_9null_typeES8_S8_S8_S8_S8_S8_S8_EEEEZZNS1_27merge_sort_block_merge_implIS3_NS6_6detail15normal_iteratorINS6_10device_ptrIjEEEENSD_INSE_IS9_EEEEjNS1_19radix_merge_compareILb0ELb1EjNS0_19identity_decomposerEEEEE10hipError_tT0_T1_T2_jT3_P12ihipStream_tbPNSt15iterator_traitsISN_E10value_typeEPNST_ISO_E10value_typeEPSP_NS1_7vsmem_tEENKUlT_SN_SO_SP_E_clIPjSG_PS9_SI_EESM_S12_SN_SO_SP_EUlS12_E0_NS1_11comp_targetILNS1_3genE8ELNS1_11target_archE1030ELNS1_3gpuE2ELNS1_3repE0EEENS1_38merge_mergepath_config_static_selectorELNS0_4arch9wavefront6targetE0EEEvSO_
                                        ; -- End function
	.set _ZN7rocprim17ROCPRIM_400000_NS6detail17trampoline_kernelINS0_14default_configENS1_38merge_sort_block_merge_config_selectorIjN6thrust23THRUST_200600_302600_NS5tupleIffNS6_9null_typeES8_S8_S8_S8_S8_S8_S8_EEEEZZNS1_27merge_sort_block_merge_implIS3_NS6_6detail15normal_iteratorINS6_10device_ptrIjEEEENSD_INSE_IS9_EEEEjNS1_19radix_merge_compareILb0ELb1EjNS0_19identity_decomposerEEEEE10hipError_tT0_T1_T2_jT3_P12ihipStream_tbPNSt15iterator_traitsISN_E10value_typeEPNST_ISO_E10value_typeEPSP_NS1_7vsmem_tEENKUlT_SN_SO_SP_E_clIPjSG_PS9_SI_EESM_S12_SN_SO_SP_EUlS12_E0_NS1_11comp_targetILNS1_3genE8ELNS1_11target_archE1030ELNS1_3gpuE2ELNS1_3repE0EEENS1_38merge_mergepath_config_static_selectorELNS0_4arch9wavefront6targetE0EEEvSO_.num_vgpr, 0
	.set _ZN7rocprim17ROCPRIM_400000_NS6detail17trampoline_kernelINS0_14default_configENS1_38merge_sort_block_merge_config_selectorIjN6thrust23THRUST_200600_302600_NS5tupleIffNS6_9null_typeES8_S8_S8_S8_S8_S8_S8_EEEEZZNS1_27merge_sort_block_merge_implIS3_NS6_6detail15normal_iteratorINS6_10device_ptrIjEEEENSD_INSE_IS9_EEEEjNS1_19radix_merge_compareILb0ELb1EjNS0_19identity_decomposerEEEEE10hipError_tT0_T1_T2_jT3_P12ihipStream_tbPNSt15iterator_traitsISN_E10value_typeEPNST_ISO_E10value_typeEPSP_NS1_7vsmem_tEENKUlT_SN_SO_SP_E_clIPjSG_PS9_SI_EESM_S12_SN_SO_SP_EUlS12_E0_NS1_11comp_targetILNS1_3genE8ELNS1_11target_archE1030ELNS1_3gpuE2ELNS1_3repE0EEENS1_38merge_mergepath_config_static_selectorELNS0_4arch9wavefront6targetE0EEEvSO_.num_agpr, 0
	.set _ZN7rocprim17ROCPRIM_400000_NS6detail17trampoline_kernelINS0_14default_configENS1_38merge_sort_block_merge_config_selectorIjN6thrust23THRUST_200600_302600_NS5tupleIffNS6_9null_typeES8_S8_S8_S8_S8_S8_S8_EEEEZZNS1_27merge_sort_block_merge_implIS3_NS6_6detail15normal_iteratorINS6_10device_ptrIjEEEENSD_INSE_IS9_EEEEjNS1_19radix_merge_compareILb0ELb1EjNS0_19identity_decomposerEEEEE10hipError_tT0_T1_T2_jT3_P12ihipStream_tbPNSt15iterator_traitsISN_E10value_typeEPNST_ISO_E10value_typeEPSP_NS1_7vsmem_tEENKUlT_SN_SO_SP_E_clIPjSG_PS9_SI_EESM_S12_SN_SO_SP_EUlS12_E0_NS1_11comp_targetILNS1_3genE8ELNS1_11target_archE1030ELNS1_3gpuE2ELNS1_3repE0EEENS1_38merge_mergepath_config_static_selectorELNS0_4arch9wavefront6targetE0EEEvSO_.numbered_sgpr, 0
	.set _ZN7rocprim17ROCPRIM_400000_NS6detail17trampoline_kernelINS0_14default_configENS1_38merge_sort_block_merge_config_selectorIjN6thrust23THRUST_200600_302600_NS5tupleIffNS6_9null_typeES8_S8_S8_S8_S8_S8_S8_EEEEZZNS1_27merge_sort_block_merge_implIS3_NS6_6detail15normal_iteratorINS6_10device_ptrIjEEEENSD_INSE_IS9_EEEEjNS1_19radix_merge_compareILb0ELb1EjNS0_19identity_decomposerEEEEE10hipError_tT0_T1_T2_jT3_P12ihipStream_tbPNSt15iterator_traitsISN_E10value_typeEPNST_ISO_E10value_typeEPSP_NS1_7vsmem_tEENKUlT_SN_SO_SP_E_clIPjSG_PS9_SI_EESM_S12_SN_SO_SP_EUlS12_E0_NS1_11comp_targetILNS1_3genE8ELNS1_11target_archE1030ELNS1_3gpuE2ELNS1_3repE0EEENS1_38merge_mergepath_config_static_selectorELNS0_4arch9wavefront6targetE0EEEvSO_.num_named_barrier, 0
	.set _ZN7rocprim17ROCPRIM_400000_NS6detail17trampoline_kernelINS0_14default_configENS1_38merge_sort_block_merge_config_selectorIjN6thrust23THRUST_200600_302600_NS5tupleIffNS6_9null_typeES8_S8_S8_S8_S8_S8_S8_EEEEZZNS1_27merge_sort_block_merge_implIS3_NS6_6detail15normal_iteratorINS6_10device_ptrIjEEEENSD_INSE_IS9_EEEEjNS1_19radix_merge_compareILb0ELb1EjNS0_19identity_decomposerEEEEE10hipError_tT0_T1_T2_jT3_P12ihipStream_tbPNSt15iterator_traitsISN_E10value_typeEPNST_ISO_E10value_typeEPSP_NS1_7vsmem_tEENKUlT_SN_SO_SP_E_clIPjSG_PS9_SI_EESM_S12_SN_SO_SP_EUlS12_E0_NS1_11comp_targetILNS1_3genE8ELNS1_11target_archE1030ELNS1_3gpuE2ELNS1_3repE0EEENS1_38merge_mergepath_config_static_selectorELNS0_4arch9wavefront6targetE0EEEvSO_.private_seg_size, 0
	.set _ZN7rocprim17ROCPRIM_400000_NS6detail17trampoline_kernelINS0_14default_configENS1_38merge_sort_block_merge_config_selectorIjN6thrust23THRUST_200600_302600_NS5tupleIffNS6_9null_typeES8_S8_S8_S8_S8_S8_S8_EEEEZZNS1_27merge_sort_block_merge_implIS3_NS6_6detail15normal_iteratorINS6_10device_ptrIjEEEENSD_INSE_IS9_EEEEjNS1_19radix_merge_compareILb0ELb1EjNS0_19identity_decomposerEEEEE10hipError_tT0_T1_T2_jT3_P12ihipStream_tbPNSt15iterator_traitsISN_E10value_typeEPNST_ISO_E10value_typeEPSP_NS1_7vsmem_tEENKUlT_SN_SO_SP_E_clIPjSG_PS9_SI_EESM_S12_SN_SO_SP_EUlS12_E0_NS1_11comp_targetILNS1_3genE8ELNS1_11target_archE1030ELNS1_3gpuE2ELNS1_3repE0EEENS1_38merge_mergepath_config_static_selectorELNS0_4arch9wavefront6targetE0EEEvSO_.uses_vcc, 0
	.set _ZN7rocprim17ROCPRIM_400000_NS6detail17trampoline_kernelINS0_14default_configENS1_38merge_sort_block_merge_config_selectorIjN6thrust23THRUST_200600_302600_NS5tupleIffNS6_9null_typeES8_S8_S8_S8_S8_S8_S8_EEEEZZNS1_27merge_sort_block_merge_implIS3_NS6_6detail15normal_iteratorINS6_10device_ptrIjEEEENSD_INSE_IS9_EEEEjNS1_19radix_merge_compareILb0ELb1EjNS0_19identity_decomposerEEEEE10hipError_tT0_T1_T2_jT3_P12ihipStream_tbPNSt15iterator_traitsISN_E10value_typeEPNST_ISO_E10value_typeEPSP_NS1_7vsmem_tEENKUlT_SN_SO_SP_E_clIPjSG_PS9_SI_EESM_S12_SN_SO_SP_EUlS12_E0_NS1_11comp_targetILNS1_3genE8ELNS1_11target_archE1030ELNS1_3gpuE2ELNS1_3repE0EEENS1_38merge_mergepath_config_static_selectorELNS0_4arch9wavefront6targetE0EEEvSO_.uses_flat_scratch, 0
	.set _ZN7rocprim17ROCPRIM_400000_NS6detail17trampoline_kernelINS0_14default_configENS1_38merge_sort_block_merge_config_selectorIjN6thrust23THRUST_200600_302600_NS5tupleIffNS6_9null_typeES8_S8_S8_S8_S8_S8_S8_EEEEZZNS1_27merge_sort_block_merge_implIS3_NS6_6detail15normal_iteratorINS6_10device_ptrIjEEEENSD_INSE_IS9_EEEEjNS1_19radix_merge_compareILb0ELb1EjNS0_19identity_decomposerEEEEE10hipError_tT0_T1_T2_jT3_P12ihipStream_tbPNSt15iterator_traitsISN_E10value_typeEPNST_ISO_E10value_typeEPSP_NS1_7vsmem_tEENKUlT_SN_SO_SP_E_clIPjSG_PS9_SI_EESM_S12_SN_SO_SP_EUlS12_E0_NS1_11comp_targetILNS1_3genE8ELNS1_11target_archE1030ELNS1_3gpuE2ELNS1_3repE0EEENS1_38merge_mergepath_config_static_selectorELNS0_4arch9wavefront6targetE0EEEvSO_.has_dyn_sized_stack, 0
	.set _ZN7rocprim17ROCPRIM_400000_NS6detail17trampoline_kernelINS0_14default_configENS1_38merge_sort_block_merge_config_selectorIjN6thrust23THRUST_200600_302600_NS5tupleIffNS6_9null_typeES8_S8_S8_S8_S8_S8_S8_EEEEZZNS1_27merge_sort_block_merge_implIS3_NS6_6detail15normal_iteratorINS6_10device_ptrIjEEEENSD_INSE_IS9_EEEEjNS1_19radix_merge_compareILb0ELb1EjNS0_19identity_decomposerEEEEE10hipError_tT0_T1_T2_jT3_P12ihipStream_tbPNSt15iterator_traitsISN_E10value_typeEPNST_ISO_E10value_typeEPSP_NS1_7vsmem_tEENKUlT_SN_SO_SP_E_clIPjSG_PS9_SI_EESM_S12_SN_SO_SP_EUlS12_E0_NS1_11comp_targetILNS1_3genE8ELNS1_11target_archE1030ELNS1_3gpuE2ELNS1_3repE0EEENS1_38merge_mergepath_config_static_selectorELNS0_4arch9wavefront6targetE0EEEvSO_.has_recursion, 0
	.set _ZN7rocprim17ROCPRIM_400000_NS6detail17trampoline_kernelINS0_14default_configENS1_38merge_sort_block_merge_config_selectorIjN6thrust23THRUST_200600_302600_NS5tupleIffNS6_9null_typeES8_S8_S8_S8_S8_S8_S8_EEEEZZNS1_27merge_sort_block_merge_implIS3_NS6_6detail15normal_iteratorINS6_10device_ptrIjEEEENSD_INSE_IS9_EEEEjNS1_19radix_merge_compareILb0ELb1EjNS0_19identity_decomposerEEEEE10hipError_tT0_T1_T2_jT3_P12ihipStream_tbPNSt15iterator_traitsISN_E10value_typeEPNST_ISO_E10value_typeEPSP_NS1_7vsmem_tEENKUlT_SN_SO_SP_E_clIPjSG_PS9_SI_EESM_S12_SN_SO_SP_EUlS12_E0_NS1_11comp_targetILNS1_3genE8ELNS1_11target_archE1030ELNS1_3gpuE2ELNS1_3repE0EEENS1_38merge_mergepath_config_static_selectorELNS0_4arch9wavefront6targetE0EEEvSO_.has_indirect_call, 0
	.section	.AMDGPU.csdata,"",@progbits
; Kernel info:
; codeLenInByte = 0
; TotalNumSgprs: 0
; NumVgprs: 0
; ScratchSize: 0
; MemoryBound: 0
; FloatMode: 240
; IeeeMode: 1
; LDSByteSize: 0 bytes/workgroup (compile time only)
; SGPRBlocks: 0
; VGPRBlocks: 0
; NumSGPRsForWavesPerEU: 1
; NumVGPRsForWavesPerEU: 1
; NamedBarCnt: 0
; Occupancy: 16
; WaveLimiterHint : 0
; COMPUTE_PGM_RSRC2:SCRATCH_EN: 0
; COMPUTE_PGM_RSRC2:USER_SGPR: 2
; COMPUTE_PGM_RSRC2:TRAP_HANDLER: 0
; COMPUTE_PGM_RSRC2:TGID_X_EN: 1
; COMPUTE_PGM_RSRC2:TGID_Y_EN: 0
; COMPUTE_PGM_RSRC2:TGID_Z_EN: 0
; COMPUTE_PGM_RSRC2:TIDIG_COMP_CNT: 0
	.section	.text._ZN7rocprim17ROCPRIM_400000_NS6detail17trampoline_kernelINS0_14default_configENS1_38merge_sort_block_merge_config_selectorIjN6thrust23THRUST_200600_302600_NS5tupleIffNS6_9null_typeES8_S8_S8_S8_S8_S8_S8_EEEEZZNS1_27merge_sort_block_merge_implIS3_NS6_6detail15normal_iteratorINS6_10device_ptrIjEEEENSD_INSE_IS9_EEEEjNS1_19radix_merge_compareILb0ELb1EjNS0_19identity_decomposerEEEEE10hipError_tT0_T1_T2_jT3_P12ihipStream_tbPNSt15iterator_traitsISN_E10value_typeEPNST_ISO_E10value_typeEPSP_NS1_7vsmem_tEENKUlT_SN_SO_SP_E_clIPjSG_PS9_SI_EESM_S12_SN_SO_SP_EUlS12_E1_NS1_11comp_targetILNS1_3genE0ELNS1_11target_archE4294967295ELNS1_3gpuE0ELNS1_3repE0EEENS1_36merge_oddeven_config_static_selectorELNS0_4arch9wavefront6targetE0EEEvSO_,"axG",@progbits,_ZN7rocprim17ROCPRIM_400000_NS6detail17trampoline_kernelINS0_14default_configENS1_38merge_sort_block_merge_config_selectorIjN6thrust23THRUST_200600_302600_NS5tupleIffNS6_9null_typeES8_S8_S8_S8_S8_S8_S8_EEEEZZNS1_27merge_sort_block_merge_implIS3_NS6_6detail15normal_iteratorINS6_10device_ptrIjEEEENSD_INSE_IS9_EEEEjNS1_19radix_merge_compareILb0ELb1EjNS0_19identity_decomposerEEEEE10hipError_tT0_T1_T2_jT3_P12ihipStream_tbPNSt15iterator_traitsISN_E10value_typeEPNST_ISO_E10value_typeEPSP_NS1_7vsmem_tEENKUlT_SN_SO_SP_E_clIPjSG_PS9_SI_EESM_S12_SN_SO_SP_EUlS12_E1_NS1_11comp_targetILNS1_3genE0ELNS1_11target_archE4294967295ELNS1_3gpuE0ELNS1_3repE0EEENS1_36merge_oddeven_config_static_selectorELNS0_4arch9wavefront6targetE0EEEvSO_,comdat
	.protected	_ZN7rocprim17ROCPRIM_400000_NS6detail17trampoline_kernelINS0_14default_configENS1_38merge_sort_block_merge_config_selectorIjN6thrust23THRUST_200600_302600_NS5tupleIffNS6_9null_typeES8_S8_S8_S8_S8_S8_S8_EEEEZZNS1_27merge_sort_block_merge_implIS3_NS6_6detail15normal_iteratorINS6_10device_ptrIjEEEENSD_INSE_IS9_EEEEjNS1_19radix_merge_compareILb0ELb1EjNS0_19identity_decomposerEEEEE10hipError_tT0_T1_T2_jT3_P12ihipStream_tbPNSt15iterator_traitsISN_E10value_typeEPNST_ISO_E10value_typeEPSP_NS1_7vsmem_tEENKUlT_SN_SO_SP_E_clIPjSG_PS9_SI_EESM_S12_SN_SO_SP_EUlS12_E1_NS1_11comp_targetILNS1_3genE0ELNS1_11target_archE4294967295ELNS1_3gpuE0ELNS1_3repE0EEENS1_36merge_oddeven_config_static_selectorELNS0_4arch9wavefront6targetE0EEEvSO_ ; -- Begin function _ZN7rocprim17ROCPRIM_400000_NS6detail17trampoline_kernelINS0_14default_configENS1_38merge_sort_block_merge_config_selectorIjN6thrust23THRUST_200600_302600_NS5tupleIffNS6_9null_typeES8_S8_S8_S8_S8_S8_S8_EEEEZZNS1_27merge_sort_block_merge_implIS3_NS6_6detail15normal_iteratorINS6_10device_ptrIjEEEENSD_INSE_IS9_EEEEjNS1_19radix_merge_compareILb0ELb1EjNS0_19identity_decomposerEEEEE10hipError_tT0_T1_T2_jT3_P12ihipStream_tbPNSt15iterator_traitsISN_E10value_typeEPNST_ISO_E10value_typeEPSP_NS1_7vsmem_tEENKUlT_SN_SO_SP_E_clIPjSG_PS9_SI_EESM_S12_SN_SO_SP_EUlS12_E1_NS1_11comp_targetILNS1_3genE0ELNS1_11target_archE4294967295ELNS1_3gpuE0ELNS1_3repE0EEENS1_36merge_oddeven_config_static_selectorELNS0_4arch9wavefront6targetE0EEEvSO_
	.globl	_ZN7rocprim17ROCPRIM_400000_NS6detail17trampoline_kernelINS0_14default_configENS1_38merge_sort_block_merge_config_selectorIjN6thrust23THRUST_200600_302600_NS5tupleIffNS6_9null_typeES8_S8_S8_S8_S8_S8_S8_EEEEZZNS1_27merge_sort_block_merge_implIS3_NS6_6detail15normal_iteratorINS6_10device_ptrIjEEEENSD_INSE_IS9_EEEEjNS1_19radix_merge_compareILb0ELb1EjNS0_19identity_decomposerEEEEE10hipError_tT0_T1_T2_jT3_P12ihipStream_tbPNSt15iterator_traitsISN_E10value_typeEPNST_ISO_E10value_typeEPSP_NS1_7vsmem_tEENKUlT_SN_SO_SP_E_clIPjSG_PS9_SI_EESM_S12_SN_SO_SP_EUlS12_E1_NS1_11comp_targetILNS1_3genE0ELNS1_11target_archE4294967295ELNS1_3gpuE0ELNS1_3repE0EEENS1_36merge_oddeven_config_static_selectorELNS0_4arch9wavefront6targetE0EEEvSO_
	.p2align	8
	.type	_ZN7rocprim17ROCPRIM_400000_NS6detail17trampoline_kernelINS0_14default_configENS1_38merge_sort_block_merge_config_selectorIjN6thrust23THRUST_200600_302600_NS5tupleIffNS6_9null_typeES8_S8_S8_S8_S8_S8_S8_EEEEZZNS1_27merge_sort_block_merge_implIS3_NS6_6detail15normal_iteratorINS6_10device_ptrIjEEEENSD_INSE_IS9_EEEEjNS1_19radix_merge_compareILb0ELb1EjNS0_19identity_decomposerEEEEE10hipError_tT0_T1_T2_jT3_P12ihipStream_tbPNSt15iterator_traitsISN_E10value_typeEPNST_ISO_E10value_typeEPSP_NS1_7vsmem_tEENKUlT_SN_SO_SP_E_clIPjSG_PS9_SI_EESM_S12_SN_SO_SP_EUlS12_E1_NS1_11comp_targetILNS1_3genE0ELNS1_11target_archE4294967295ELNS1_3gpuE0ELNS1_3repE0EEENS1_36merge_oddeven_config_static_selectorELNS0_4arch9wavefront6targetE0EEEvSO_,@function
_ZN7rocprim17ROCPRIM_400000_NS6detail17trampoline_kernelINS0_14default_configENS1_38merge_sort_block_merge_config_selectorIjN6thrust23THRUST_200600_302600_NS5tupleIffNS6_9null_typeES8_S8_S8_S8_S8_S8_S8_EEEEZZNS1_27merge_sort_block_merge_implIS3_NS6_6detail15normal_iteratorINS6_10device_ptrIjEEEENSD_INSE_IS9_EEEEjNS1_19radix_merge_compareILb0ELb1EjNS0_19identity_decomposerEEEEE10hipError_tT0_T1_T2_jT3_P12ihipStream_tbPNSt15iterator_traitsISN_E10value_typeEPNST_ISO_E10value_typeEPSP_NS1_7vsmem_tEENKUlT_SN_SO_SP_E_clIPjSG_PS9_SI_EESM_S12_SN_SO_SP_EUlS12_E1_NS1_11comp_targetILNS1_3genE0ELNS1_11target_archE4294967295ELNS1_3gpuE0ELNS1_3repE0EEENS1_36merge_oddeven_config_static_selectorELNS0_4arch9wavefront6targetE0EEEvSO_: ; @_ZN7rocprim17ROCPRIM_400000_NS6detail17trampoline_kernelINS0_14default_configENS1_38merge_sort_block_merge_config_selectorIjN6thrust23THRUST_200600_302600_NS5tupleIffNS6_9null_typeES8_S8_S8_S8_S8_S8_S8_EEEEZZNS1_27merge_sort_block_merge_implIS3_NS6_6detail15normal_iteratorINS6_10device_ptrIjEEEENSD_INSE_IS9_EEEEjNS1_19radix_merge_compareILb0ELb1EjNS0_19identity_decomposerEEEEE10hipError_tT0_T1_T2_jT3_P12ihipStream_tbPNSt15iterator_traitsISN_E10value_typeEPNST_ISO_E10value_typeEPSP_NS1_7vsmem_tEENKUlT_SN_SO_SP_E_clIPjSG_PS9_SI_EESM_S12_SN_SO_SP_EUlS12_E1_NS1_11comp_targetILNS1_3genE0ELNS1_11target_archE4294967295ELNS1_3gpuE0ELNS1_3repE0EEENS1_36merge_oddeven_config_static_selectorELNS0_4arch9wavefront6targetE0EEEvSO_
; %bb.0:
	s_load_b32 s14, s[0:1], 0x20
	s_bfe_u32 s2, ttmp6, 0x4000c
	s_and_b32 s3, ttmp6, 15
	s_add_co_i32 s2, s2, 1
	s_getreg_b32 s4, hwreg(HW_REG_IB_STS2, 6, 4)
	s_mul_i32 s2, ttmp9, s2
	s_mov_b32 s13, 0
	s_add_co_i32 s3, s3, s2
	s_cmp_eq_u32 s4, 0
	s_cselect_b32 s2, ttmp9, s3
	s_delay_alu instid0(SALU_CYCLE_1) | instskip(SKIP_2) | instid1(SALU_CYCLE_1)
	s_lshl_b32 s12, s2, 8
	s_wait_kmcnt 0x0
	s_lshr_b32 s3, s14, 8
	s_cmp_eq_u32 s2, s3
	s_cselect_b32 s15, -1, 0
	s_cmp_lg_u32 s2, s3
	s_cselect_b32 s4, -1, 0
	s_sub_co_i32 s3, s14, s12
	s_delay_alu instid0(SALU_CYCLE_1) | instskip(SKIP_1) | instid1(SALU_CYCLE_1)
	v_cmp_gt_u32_e64 s3, s3, v0
	s_or_b32 s4, s4, s3
	s_and_saveexec_b32 s5, s4
	s_cbranch_execz .LBB107_24
; %bb.1:
	s_load_b256 s[4:11], s[0:1], 0x0
	s_lshl_b64 s[16:17], s[12:13], 2
	s_lshl_b64 s[18:19], s[12:13], 3
	s_wait_kmcnt 0x0
	s_add_nc_u64 s[16:17], s[4:5], s[16:17]
	s_add_nc_u64 s[8:9], s[8:9], s[18:19]
	s_clause 0x1
	global_load_b32 v1, v0, s[16:17] scale_offset
	global_load_b64 v[2:3], v0, s[8:9] scale_offset
	s_wait_xcnt 0x0
	s_load_b32 s9, s[0:1], 0x24
	v_add_nc_u32_e32 v0, s12, v0
	s_mov_b32 s12, -1
	s_wait_kmcnt 0x0
	s_lshr_b32 s8, s9, 8
	s_sub_co_i32 s16, 0, s9
	s_sub_co_i32 s13, 0, s8
	s_delay_alu instid0(SALU_CYCLE_1) | instskip(NEXT) | instid1(SALU_CYCLE_1)
	s_and_b32 s2, s2, s13
	s_and_b32 s8, s2, s8
	s_lshl_b32 s13, s2, 8
	s_cmp_eq_u32 s8, 0
	s_cselect_b32 s2, -1, 0
	s_delay_alu instid0(SALU_CYCLE_1) | instskip(SKIP_1) | instid1(SALU_CYCLE_1)
	s_and_b32 s8, s2, exec_lo
	s_cselect_b32 s8, s9, s16
	s_add_co_i32 s8, s8, s13
	s_delay_alu instid0(SALU_CYCLE_1)
	s_cmp_gt_u32 s14, s8
	s_cbranch_scc1 .LBB107_9
; %bb.2:
	s_and_b32 vcc_lo, exec_lo, s15
	s_cbranch_vccz .LBB107_6
; %bb.3:
	s_mov_b32 s12, exec_lo
	v_cmpx_gt_u32_e64 s14, v0
	s_cbranch_execz .LBB107_5
; %bb.4:
	s_wait_loadcnt 0x1
	global_store_b32 v0, v1, s[6:7] scale_offset
	s_wait_loadcnt 0x0
	global_store_b64 v0, v[2:3], s[10:11] scale_offset
.LBB107_5:
	s_wait_xcnt 0x0
	s_or_b32 exec_lo, exec_lo, s12
	s_mov_b32 s12, 0
.LBB107_6:
	s_delay_alu instid0(SALU_CYCLE_1)
	s_and_not1_b32 vcc_lo, exec_lo, s12
	s_cbranch_vccnz .LBB107_8
; %bb.7:
	s_wait_loadcnt 0x1
	global_store_b32 v0, v1, s[6:7] scale_offset
	s_wait_loadcnt 0x0
	global_store_b64 v0, v[2:3], s[10:11] scale_offset
.LBB107_8:
	s_mov_b32 s12, 0
.LBB107_9:
	s_delay_alu instid0(SALU_CYCLE_1)
	s_and_not1_b32 vcc_lo, exec_lo, s12
	s_cbranch_vccnz .LBB107_24
; %bb.10:
	s_load_b32 s0, s[0:1], 0x28
	s_wait_xcnt 0x0
	s_min_u32 s1, s8, s14
	s_and_b32 vcc_lo, exec_lo, s15
	s_add_co_i32 s12, s13, s1
	s_add_co_i32 s9, s1, s9
	v_subrev_nc_u32_e32 v0, s12, v0
	s_min_u32 s12, s13, s1
	s_min_u32 s9, s9, s14
	s_delay_alu instid0(VALU_DEP_1)
	v_add_nc_u32_e32 v0, s12, v0
	s_mov_b32 s12, -1
	s_wait_loadcnt 0x1
	s_wait_kmcnt 0x0
	v_and_b32_e32 v4, s0, v1
	s_cbranch_vccz .LBB107_18
; %bb.11:
	s_and_saveexec_b32 s12, s3
	s_cbranch_execz .LBB107_17
; %bb.12:
	v_mov_b32_e32 v5, s1
	s_cmp_ge_u32 s8, s9
	s_cbranch_scc1 .LBB107_16
; %bb.13:
	v_dual_mov_b32 v6, s9 :: v_dual_mov_b32 v5, s1
	s_mov_b32 s3, 0
.LBB107_14:                             ; =>This Inner Loop Header: Depth=1
	s_delay_alu instid0(VALU_DEP_1) | instskip(NEXT) | instid1(VALU_DEP_1)
	v_add_nc_u32_e32 v7, v5, v6
	v_lshrrev_b32_e32 v7, 1, v7
	global_load_b32 v8, v7, s[4:5] scale_offset
	s_wait_loadcnt 0x0
	v_and_b32_e32 v8, s0, v8
	s_delay_alu instid0(VALU_DEP_1) | instskip(SKIP_3) | instid1(VALU_DEP_1)
	v_cmp_gt_u32_e32 vcc_lo, v4, v8
	v_cndmask_b32_e64 v9, 0, 1, vcc_lo
	v_cmp_le_u32_e32 vcc_lo, v8, v4
	v_cndmask_b32_e64 v8, 0, 1, vcc_lo
	v_dual_cndmask_b32 v8, v8, v9, s2 :: v_dual_add_nc_u32 v9, 1, v7
	s_delay_alu instid0(VALU_DEP_1) | instskip(NEXT) | instid1(VALU_DEP_1)
	v_and_b32_e32 v8, 1, v8
	v_cmp_eq_u32_e32 vcc_lo, 1, v8
	s_delay_alu instid0(VALU_DEP_3) | instskip(NEXT) | instid1(VALU_DEP_1)
	v_dual_cndmask_b32 v6, v7, v6 :: v_dual_cndmask_b32 v5, v5, v9
	v_cmp_ge_u32_e32 vcc_lo, v5, v6
	s_or_b32 s3, vcc_lo, s3
	s_wait_xcnt 0x0
	s_and_not1_b32 exec_lo, exec_lo, s3
	s_cbranch_execnz .LBB107_14
; %bb.15:
	s_or_b32 exec_lo, exec_lo, s3
.LBB107_16:
	s_delay_alu instid0(VALU_DEP_1)
	v_add_nc_u32_e32 v5, v5, v0
	global_store_b32 v5, v1, s[6:7] scale_offset
	s_wait_loadcnt 0x0
	global_store_b64 v5, v[2:3], s[10:11] scale_offset
.LBB107_17:
	s_wait_xcnt 0x0
	s_or_b32 exec_lo, exec_lo, s12
	s_mov_b32 s12, 0
.LBB107_18:
	s_delay_alu instid0(SALU_CYCLE_1)
	s_and_not1_b32 vcc_lo, exec_lo, s12
	s_cbranch_vccnz .LBB107_24
; %bb.19:
	v_mov_b32_e32 v5, s1
	s_cmp_ge_u32 s8, s9
	s_cbranch_scc1 .LBB107_23
; %bb.20:
	v_dual_mov_b32 v6, s9 :: v_dual_mov_b32 v5, s1
	s_mov_b32 s1, 0
.LBB107_21:                             ; =>This Inner Loop Header: Depth=1
	s_delay_alu instid0(VALU_DEP_1) | instskip(NEXT) | instid1(VALU_DEP_1)
	v_add_nc_u32_e32 v7, v5, v6
	v_lshrrev_b32_e32 v7, 1, v7
	global_load_b32 v8, v7, s[4:5] scale_offset
	s_wait_loadcnt 0x0
	v_and_b32_e32 v8, s0, v8
	s_delay_alu instid0(VALU_DEP_1) | instskip(SKIP_3) | instid1(VALU_DEP_1)
	v_cmp_gt_u32_e32 vcc_lo, v4, v8
	v_cndmask_b32_e64 v9, 0, 1, vcc_lo
	v_cmp_le_u32_e32 vcc_lo, v8, v4
	v_cndmask_b32_e64 v8, 0, 1, vcc_lo
	v_dual_cndmask_b32 v8, v8, v9, s2 :: v_dual_add_nc_u32 v9, 1, v7
	s_delay_alu instid0(VALU_DEP_1) | instskip(NEXT) | instid1(VALU_DEP_1)
	v_and_b32_e32 v8, 1, v8
	v_cmp_eq_u32_e32 vcc_lo, 1, v8
	s_delay_alu instid0(VALU_DEP_3) | instskip(NEXT) | instid1(VALU_DEP_1)
	v_dual_cndmask_b32 v6, v7, v6 :: v_dual_cndmask_b32 v5, v5, v9
	v_cmp_ge_u32_e32 vcc_lo, v5, v6
	s_or_b32 s1, vcc_lo, s1
	s_wait_xcnt 0x0
	s_and_not1_b32 exec_lo, exec_lo, s1
	s_cbranch_execnz .LBB107_21
; %bb.22:
	s_or_b32 exec_lo, exec_lo, s1
.LBB107_23:
	s_delay_alu instid0(VALU_DEP_1)
	v_add_nc_u32_e32 v0, v5, v0
	global_store_b32 v0, v1, s[6:7] scale_offset
	s_wait_loadcnt 0x0
	global_store_b64 v0, v[2:3], s[10:11] scale_offset
.LBB107_24:
	s_endpgm
	.section	.rodata,"a",@progbits
	.p2align	6, 0x0
	.amdhsa_kernel _ZN7rocprim17ROCPRIM_400000_NS6detail17trampoline_kernelINS0_14default_configENS1_38merge_sort_block_merge_config_selectorIjN6thrust23THRUST_200600_302600_NS5tupleIffNS6_9null_typeES8_S8_S8_S8_S8_S8_S8_EEEEZZNS1_27merge_sort_block_merge_implIS3_NS6_6detail15normal_iteratorINS6_10device_ptrIjEEEENSD_INSE_IS9_EEEEjNS1_19radix_merge_compareILb0ELb1EjNS0_19identity_decomposerEEEEE10hipError_tT0_T1_T2_jT3_P12ihipStream_tbPNSt15iterator_traitsISN_E10value_typeEPNST_ISO_E10value_typeEPSP_NS1_7vsmem_tEENKUlT_SN_SO_SP_E_clIPjSG_PS9_SI_EESM_S12_SN_SO_SP_EUlS12_E1_NS1_11comp_targetILNS1_3genE0ELNS1_11target_archE4294967295ELNS1_3gpuE0ELNS1_3repE0EEENS1_36merge_oddeven_config_static_selectorELNS0_4arch9wavefront6targetE0EEEvSO_
		.amdhsa_group_segment_fixed_size 0
		.amdhsa_private_segment_fixed_size 0
		.amdhsa_kernarg_size 48
		.amdhsa_user_sgpr_count 2
		.amdhsa_user_sgpr_dispatch_ptr 0
		.amdhsa_user_sgpr_queue_ptr 0
		.amdhsa_user_sgpr_kernarg_segment_ptr 1
		.amdhsa_user_sgpr_dispatch_id 0
		.amdhsa_user_sgpr_kernarg_preload_length 0
		.amdhsa_user_sgpr_kernarg_preload_offset 0
		.amdhsa_user_sgpr_private_segment_size 0
		.amdhsa_wavefront_size32 1
		.amdhsa_uses_dynamic_stack 0
		.amdhsa_enable_private_segment 0
		.amdhsa_system_sgpr_workgroup_id_x 1
		.amdhsa_system_sgpr_workgroup_id_y 0
		.amdhsa_system_sgpr_workgroup_id_z 0
		.amdhsa_system_sgpr_workgroup_info 0
		.amdhsa_system_vgpr_workitem_id 0
		.amdhsa_next_free_vgpr 10
		.amdhsa_next_free_sgpr 20
		.amdhsa_named_barrier_count 0
		.amdhsa_reserve_vcc 1
		.amdhsa_float_round_mode_32 0
		.amdhsa_float_round_mode_16_64 0
		.amdhsa_float_denorm_mode_32 3
		.amdhsa_float_denorm_mode_16_64 3
		.amdhsa_fp16_overflow 0
		.amdhsa_memory_ordered 1
		.amdhsa_forward_progress 1
		.amdhsa_inst_pref_size 7
		.amdhsa_round_robin_scheduling 0
		.amdhsa_exception_fp_ieee_invalid_op 0
		.amdhsa_exception_fp_denorm_src 0
		.amdhsa_exception_fp_ieee_div_zero 0
		.amdhsa_exception_fp_ieee_overflow 0
		.amdhsa_exception_fp_ieee_underflow 0
		.amdhsa_exception_fp_ieee_inexact 0
		.amdhsa_exception_int_div_zero 0
	.end_amdhsa_kernel
	.section	.text._ZN7rocprim17ROCPRIM_400000_NS6detail17trampoline_kernelINS0_14default_configENS1_38merge_sort_block_merge_config_selectorIjN6thrust23THRUST_200600_302600_NS5tupleIffNS6_9null_typeES8_S8_S8_S8_S8_S8_S8_EEEEZZNS1_27merge_sort_block_merge_implIS3_NS6_6detail15normal_iteratorINS6_10device_ptrIjEEEENSD_INSE_IS9_EEEEjNS1_19radix_merge_compareILb0ELb1EjNS0_19identity_decomposerEEEEE10hipError_tT0_T1_T2_jT3_P12ihipStream_tbPNSt15iterator_traitsISN_E10value_typeEPNST_ISO_E10value_typeEPSP_NS1_7vsmem_tEENKUlT_SN_SO_SP_E_clIPjSG_PS9_SI_EESM_S12_SN_SO_SP_EUlS12_E1_NS1_11comp_targetILNS1_3genE0ELNS1_11target_archE4294967295ELNS1_3gpuE0ELNS1_3repE0EEENS1_36merge_oddeven_config_static_selectorELNS0_4arch9wavefront6targetE0EEEvSO_,"axG",@progbits,_ZN7rocprim17ROCPRIM_400000_NS6detail17trampoline_kernelINS0_14default_configENS1_38merge_sort_block_merge_config_selectorIjN6thrust23THRUST_200600_302600_NS5tupleIffNS6_9null_typeES8_S8_S8_S8_S8_S8_S8_EEEEZZNS1_27merge_sort_block_merge_implIS3_NS6_6detail15normal_iteratorINS6_10device_ptrIjEEEENSD_INSE_IS9_EEEEjNS1_19radix_merge_compareILb0ELb1EjNS0_19identity_decomposerEEEEE10hipError_tT0_T1_T2_jT3_P12ihipStream_tbPNSt15iterator_traitsISN_E10value_typeEPNST_ISO_E10value_typeEPSP_NS1_7vsmem_tEENKUlT_SN_SO_SP_E_clIPjSG_PS9_SI_EESM_S12_SN_SO_SP_EUlS12_E1_NS1_11comp_targetILNS1_3genE0ELNS1_11target_archE4294967295ELNS1_3gpuE0ELNS1_3repE0EEENS1_36merge_oddeven_config_static_selectorELNS0_4arch9wavefront6targetE0EEEvSO_,comdat
.Lfunc_end107:
	.size	_ZN7rocprim17ROCPRIM_400000_NS6detail17trampoline_kernelINS0_14default_configENS1_38merge_sort_block_merge_config_selectorIjN6thrust23THRUST_200600_302600_NS5tupleIffNS6_9null_typeES8_S8_S8_S8_S8_S8_S8_EEEEZZNS1_27merge_sort_block_merge_implIS3_NS6_6detail15normal_iteratorINS6_10device_ptrIjEEEENSD_INSE_IS9_EEEEjNS1_19radix_merge_compareILb0ELb1EjNS0_19identity_decomposerEEEEE10hipError_tT0_T1_T2_jT3_P12ihipStream_tbPNSt15iterator_traitsISN_E10value_typeEPNST_ISO_E10value_typeEPSP_NS1_7vsmem_tEENKUlT_SN_SO_SP_E_clIPjSG_PS9_SI_EESM_S12_SN_SO_SP_EUlS12_E1_NS1_11comp_targetILNS1_3genE0ELNS1_11target_archE4294967295ELNS1_3gpuE0ELNS1_3repE0EEENS1_36merge_oddeven_config_static_selectorELNS0_4arch9wavefront6targetE0EEEvSO_, .Lfunc_end107-_ZN7rocprim17ROCPRIM_400000_NS6detail17trampoline_kernelINS0_14default_configENS1_38merge_sort_block_merge_config_selectorIjN6thrust23THRUST_200600_302600_NS5tupleIffNS6_9null_typeES8_S8_S8_S8_S8_S8_S8_EEEEZZNS1_27merge_sort_block_merge_implIS3_NS6_6detail15normal_iteratorINS6_10device_ptrIjEEEENSD_INSE_IS9_EEEEjNS1_19radix_merge_compareILb0ELb1EjNS0_19identity_decomposerEEEEE10hipError_tT0_T1_T2_jT3_P12ihipStream_tbPNSt15iterator_traitsISN_E10value_typeEPNST_ISO_E10value_typeEPSP_NS1_7vsmem_tEENKUlT_SN_SO_SP_E_clIPjSG_PS9_SI_EESM_S12_SN_SO_SP_EUlS12_E1_NS1_11comp_targetILNS1_3genE0ELNS1_11target_archE4294967295ELNS1_3gpuE0ELNS1_3repE0EEENS1_36merge_oddeven_config_static_selectorELNS0_4arch9wavefront6targetE0EEEvSO_
                                        ; -- End function
	.set _ZN7rocprim17ROCPRIM_400000_NS6detail17trampoline_kernelINS0_14default_configENS1_38merge_sort_block_merge_config_selectorIjN6thrust23THRUST_200600_302600_NS5tupleIffNS6_9null_typeES8_S8_S8_S8_S8_S8_S8_EEEEZZNS1_27merge_sort_block_merge_implIS3_NS6_6detail15normal_iteratorINS6_10device_ptrIjEEEENSD_INSE_IS9_EEEEjNS1_19radix_merge_compareILb0ELb1EjNS0_19identity_decomposerEEEEE10hipError_tT0_T1_T2_jT3_P12ihipStream_tbPNSt15iterator_traitsISN_E10value_typeEPNST_ISO_E10value_typeEPSP_NS1_7vsmem_tEENKUlT_SN_SO_SP_E_clIPjSG_PS9_SI_EESM_S12_SN_SO_SP_EUlS12_E1_NS1_11comp_targetILNS1_3genE0ELNS1_11target_archE4294967295ELNS1_3gpuE0ELNS1_3repE0EEENS1_36merge_oddeven_config_static_selectorELNS0_4arch9wavefront6targetE0EEEvSO_.num_vgpr, 10
	.set _ZN7rocprim17ROCPRIM_400000_NS6detail17trampoline_kernelINS0_14default_configENS1_38merge_sort_block_merge_config_selectorIjN6thrust23THRUST_200600_302600_NS5tupleIffNS6_9null_typeES8_S8_S8_S8_S8_S8_S8_EEEEZZNS1_27merge_sort_block_merge_implIS3_NS6_6detail15normal_iteratorINS6_10device_ptrIjEEEENSD_INSE_IS9_EEEEjNS1_19radix_merge_compareILb0ELb1EjNS0_19identity_decomposerEEEEE10hipError_tT0_T1_T2_jT3_P12ihipStream_tbPNSt15iterator_traitsISN_E10value_typeEPNST_ISO_E10value_typeEPSP_NS1_7vsmem_tEENKUlT_SN_SO_SP_E_clIPjSG_PS9_SI_EESM_S12_SN_SO_SP_EUlS12_E1_NS1_11comp_targetILNS1_3genE0ELNS1_11target_archE4294967295ELNS1_3gpuE0ELNS1_3repE0EEENS1_36merge_oddeven_config_static_selectorELNS0_4arch9wavefront6targetE0EEEvSO_.num_agpr, 0
	.set _ZN7rocprim17ROCPRIM_400000_NS6detail17trampoline_kernelINS0_14default_configENS1_38merge_sort_block_merge_config_selectorIjN6thrust23THRUST_200600_302600_NS5tupleIffNS6_9null_typeES8_S8_S8_S8_S8_S8_S8_EEEEZZNS1_27merge_sort_block_merge_implIS3_NS6_6detail15normal_iteratorINS6_10device_ptrIjEEEENSD_INSE_IS9_EEEEjNS1_19radix_merge_compareILb0ELb1EjNS0_19identity_decomposerEEEEE10hipError_tT0_T1_T2_jT3_P12ihipStream_tbPNSt15iterator_traitsISN_E10value_typeEPNST_ISO_E10value_typeEPSP_NS1_7vsmem_tEENKUlT_SN_SO_SP_E_clIPjSG_PS9_SI_EESM_S12_SN_SO_SP_EUlS12_E1_NS1_11comp_targetILNS1_3genE0ELNS1_11target_archE4294967295ELNS1_3gpuE0ELNS1_3repE0EEENS1_36merge_oddeven_config_static_selectorELNS0_4arch9wavefront6targetE0EEEvSO_.numbered_sgpr, 20
	.set _ZN7rocprim17ROCPRIM_400000_NS6detail17trampoline_kernelINS0_14default_configENS1_38merge_sort_block_merge_config_selectorIjN6thrust23THRUST_200600_302600_NS5tupleIffNS6_9null_typeES8_S8_S8_S8_S8_S8_S8_EEEEZZNS1_27merge_sort_block_merge_implIS3_NS6_6detail15normal_iteratorINS6_10device_ptrIjEEEENSD_INSE_IS9_EEEEjNS1_19radix_merge_compareILb0ELb1EjNS0_19identity_decomposerEEEEE10hipError_tT0_T1_T2_jT3_P12ihipStream_tbPNSt15iterator_traitsISN_E10value_typeEPNST_ISO_E10value_typeEPSP_NS1_7vsmem_tEENKUlT_SN_SO_SP_E_clIPjSG_PS9_SI_EESM_S12_SN_SO_SP_EUlS12_E1_NS1_11comp_targetILNS1_3genE0ELNS1_11target_archE4294967295ELNS1_3gpuE0ELNS1_3repE0EEENS1_36merge_oddeven_config_static_selectorELNS0_4arch9wavefront6targetE0EEEvSO_.num_named_barrier, 0
	.set _ZN7rocprim17ROCPRIM_400000_NS6detail17trampoline_kernelINS0_14default_configENS1_38merge_sort_block_merge_config_selectorIjN6thrust23THRUST_200600_302600_NS5tupleIffNS6_9null_typeES8_S8_S8_S8_S8_S8_S8_EEEEZZNS1_27merge_sort_block_merge_implIS3_NS6_6detail15normal_iteratorINS6_10device_ptrIjEEEENSD_INSE_IS9_EEEEjNS1_19radix_merge_compareILb0ELb1EjNS0_19identity_decomposerEEEEE10hipError_tT0_T1_T2_jT3_P12ihipStream_tbPNSt15iterator_traitsISN_E10value_typeEPNST_ISO_E10value_typeEPSP_NS1_7vsmem_tEENKUlT_SN_SO_SP_E_clIPjSG_PS9_SI_EESM_S12_SN_SO_SP_EUlS12_E1_NS1_11comp_targetILNS1_3genE0ELNS1_11target_archE4294967295ELNS1_3gpuE0ELNS1_3repE0EEENS1_36merge_oddeven_config_static_selectorELNS0_4arch9wavefront6targetE0EEEvSO_.private_seg_size, 0
	.set _ZN7rocprim17ROCPRIM_400000_NS6detail17trampoline_kernelINS0_14default_configENS1_38merge_sort_block_merge_config_selectorIjN6thrust23THRUST_200600_302600_NS5tupleIffNS6_9null_typeES8_S8_S8_S8_S8_S8_S8_EEEEZZNS1_27merge_sort_block_merge_implIS3_NS6_6detail15normal_iteratorINS6_10device_ptrIjEEEENSD_INSE_IS9_EEEEjNS1_19radix_merge_compareILb0ELb1EjNS0_19identity_decomposerEEEEE10hipError_tT0_T1_T2_jT3_P12ihipStream_tbPNSt15iterator_traitsISN_E10value_typeEPNST_ISO_E10value_typeEPSP_NS1_7vsmem_tEENKUlT_SN_SO_SP_E_clIPjSG_PS9_SI_EESM_S12_SN_SO_SP_EUlS12_E1_NS1_11comp_targetILNS1_3genE0ELNS1_11target_archE4294967295ELNS1_3gpuE0ELNS1_3repE0EEENS1_36merge_oddeven_config_static_selectorELNS0_4arch9wavefront6targetE0EEEvSO_.uses_vcc, 1
	.set _ZN7rocprim17ROCPRIM_400000_NS6detail17trampoline_kernelINS0_14default_configENS1_38merge_sort_block_merge_config_selectorIjN6thrust23THRUST_200600_302600_NS5tupleIffNS6_9null_typeES8_S8_S8_S8_S8_S8_S8_EEEEZZNS1_27merge_sort_block_merge_implIS3_NS6_6detail15normal_iteratorINS6_10device_ptrIjEEEENSD_INSE_IS9_EEEEjNS1_19radix_merge_compareILb0ELb1EjNS0_19identity_decomposerEEEEE10hipError_tT0_T1_T2_jT3_P12ihipStream_tbPNSt15iterator_traitsISN_E10value_typeEPNST_ISO_E10value_typeEPSP_NS1_7vsmem_tEENKUlT_SN_SO_SP_E_clIPjSG_PS9_SI_EESM_S12_SN_SO_SP_EUlS12_E1_NS1_11comp_targetILNS1_3genE0ELNS1_11target_archE4294967295ELNS1_3gpuE0ELNS1_3repE0EEENS1_36merge_oddeven_config_static_selectorELNS0_4arch9wavefront6targetE0EEEvSO_.uses_flat_scratch, 0
	.set _ZN7rocprim17ROCPRIM_400000_NS6detail17trampoline_kernelINS0_14default_configENS1_38merge_sort_block_merge_config_selectorIjN6thrust23THRUST_200600_302600_NS5tupleIffNS6_9null_typeES8_S8_S8_S8_S8_S8_S8_EEEEZZNS1_27merge_sort_block_merge_implIS3_NS6_6detail15normal_iteratorINS6_10device_ptrIjEEEENSD_INSE_IS9_EEEEjNS1_19radix_merge_compareILb0ELb1EjNS0_19identity_decomposerEEEEE10hipError_tT0_T1_T2_jT3_P12ihipStream_tbPNSt15iterator_traitsISN_E10value_typeEPNST_ISO_E10value_typeEPSP_NS1_7vsmem_tEENKUlT_SN_SO_SP_E_clIPjSG_PS9_SI_EESM_S12_SN_SO_SP_EUlS12_E1_NS1_11comp_targetILNS1_3genE0ELNS1_11target_archE4294967295ELNS1_3gpuE0ELNS1_3repE0EEENS1_36merge_oddeven_config_static_selectorELNS0_4arch9wavefront6targetE0EEEvSO_.has_dyn_sized_stack, 0
	.set _ZN7rocprim17ROCPRIM_400000_NS6detail17trampoline_kernelINS0_14default_configENS1_38merge_sort_block_merge_config_selectorIjN6thrust23THRUST_200600_302600_NS5tupleIffNS6_9null_typeES8_S8_S8_S8_S8_S8_S8_EEEEZZNS1_27merge_sort_block_merge_implIS3_NS6_6detail15normal_iteratorINS6_10device_ptrIjEEEENSD_INSE_IS9_EEEEjNS1_19radix_merge_compareILb0ELb1EjNS0_19identity_decomposerEEEEE10hipError_tT0_T1_T2_jT3_P12ihipStream_tbPNSt15iterator_traitsISN_E10value_typeEPNST_ISO_E10value_typeEPSP_NS1_7vsmem_tEENKUlT_SN_SO_SP_E_clIPjSG_PS9_SI_EESM_S12_SN_SO_SP_EUlS12_E1_NS1_11comp_targetILNS1_3genE0ELNS1_11target_archE4294967295ELNS1_3gpuE0ELNS1_3repE0EEENS1_36merge_oddeven_config_static_selectorELNS0_4arch9wavefront6targetE0EEEvSO_.has_recursion, 0
	.set _ZN7rocprim17ROCPRIM_400000_NS6detail17trampoline_kernelINS0_14default_configENS1_38merge_sort_block_merge_config_selectorIjN6thrust23THRUST_200600_302600_NS5tupleIffNS6_9null_typeES8_S8_S8_S8_S8_S8_S8_EEEEZZNS1_27merge_sort_block_merge_implIS3_NS6_6detail15normal_iteratorINS6_10device_ptrIjEEEENSD_INSE_IS9_EEEEjNS1_19radix_merge_compareILb0ELb1EjNS0_19identity_decomposerEEEEE10hipError_tT0_T1_T2_jT3_P12ihipStream_tbPNSt15iterator_traitsISN_E10value_typeEPNST_ISO_E10value_typeEPSP_NS1_7vsmem_tEENKUlT_SN_SO_SP_E_clIPjSG_PS9_SI_EESM_S12_SN_SO_SP_EUlS12_E1_NS1_11comp_targetILNS1_3genE0ELNS1_11target_archE4294967295ELNS1_3gpuE0ELNS1_3repE0EEENS1_36merge_oddeven_config_static_selectorELNS0_4arch9wavefront6targetE0EEEvSO_.has_indirect_call, 0
	.section	.AMDGPU.csdata,"",@progbits
; Kernel info:
; codeLenInByte = 844
; TotalNumSgprs: 22
; NumVgprs: 10
; ScratchSize: 0
; MemoryBound: 0
; FloatMode: 240
; IeeeMode: 1
; LDSByteSize: 0 bytes/workgroup (compile time only)
; SGPRBlocks: 0
; VGPRBlocks: 0
; NumSGPRsForWavesPerEU: 22
; NumVGPRsForWavesPerEU: 10
; NamedBarCnt: 0
; Occupancy: 16
; WaveLimiterHint : 0
; COMPUTE_PGM_RSRC2:SCRATCH_EN: 0
; COMPUTE_PGM_RSRC2:USER_SGPR: 2
; COMPUTE_PGM_RSRC2:TRAP_HANDLER: 0
; COMPUTE_PGM_RSRC2:TGID_X_EN: 1
; COMPUTE_PGM_RSRC2:TGID_Y_EN: 0
; COMPUTE_PGM_RSRC2:TGID_Z_EN: 0
; COMPUTE_PGM_RSRC2:TIDIG_COMP_CNT: 0
	.section	.text._ZN7rocprim17ROCPRIM_400000_NS6detail17trampoline_kernelINS0_14default_configENS1_38merge_sort_block_merge_config_selectorIjN6thrust23THRUST_200600_302600_NS5tupleIffNS6_9null_typeES8_S8_S8_S8_S8_S8_S8_EEEEZZNS1_27merge_sort_block_merge_implIS3_NS6_6detail15normal_iteratorINS6_10device_ptrIjEEEENSD_INSE_IS9_EEEEjNS1_19radix_merge_compareILb0ELb1EjNS0_19identity_decomposerEEEEE10hipError_tT0_T1_T2_jT3_P12ihipStream_tbPNSt15iterator_traitsISN_E10value_typeEPNST_ISO_E10value_typeEPSP_NS1_7vsmem_tEENKUlT_SN_SO_SP_E_clIPjSG_PS9_SI_EESM_S12_SN_SO_SP_EUlS12_E1_NS1_11comp_targetILNS1_3genE10ELNS1_11target_archE1201ELNS1_3gpuE5ELNS1_3repE0EEENS1_36merge_oddeven_config_static_selectorELNS0_4arch9wavefront6targetE0EEEvSO_,"axG",@progbits,_ZN7rocprim17ROCPRIM_400000_NS6detail17trampoline_kernelINS0_14default_configENS1_38merge_sort_block_merge_config_selectorIjN6thrust23THRUST_200600_302600_NS5tupleIffNS6_9null_typeES8_S8_S8_S8_S8_S8_S8_EEEEZZNS1_27merge_sort_block_merge_implIS3_NS6_6detail15normal_iteratorINS6_10device_ptrIjEEEENSD_INSE_IS9_EEEEjNS1_19radix_merge_compareILb0ELb1EjNS0_19identity_decomposerEEEEE10hipError_tT0_T1_T2_jT3_P12ihipStream_tbPNSt15iterator_traitsISN_E10value_typeEPNST_ISO_E10value_typeEPSP_NS1_7vsmem_tEENKUlT_SN_SO_SP_E_clIPjSG_PS9_SI_EESM_S12_SN_SO_SP_EUlS12_E1_NS1_11comp_targetILNS1_3genE10ELNS1_11target_archE1201ELNS1_3gpuE5ELNS1_3repE0EEENS1_36merge_oddeven_config_static_selectorELNS0_4arch9wavefront6targetE0EEEvSO_,comdat
	.protected	_ZN7rocprim17ROCPRIM_400000_NS6detail17trampoline_kernelINS0_14default_configENS1_38merge_sort_block_merge_config_selectorIjN6thrust23THRUST_200600_302600_NS5tupleIffNS6_9null_typeES8_S8_S8_S8_S8_S8_S8_EEEEZZNS1_27merge_sort_block_merge_implIS3_NS6_6detail15normal_iteratorINS6_10device_ptrIjEEEENSD_INSE_IS9_EEEEjNS1_19radix_merge_compareILb0ELb1EjNS0_19identity_decomposerEEEEE10hipError_tT0_T1_T2_jT3_P12ihipStream_tbPNSt15iterator_traitsISN_E10value_typeEPNST_ISO_E10value_typeEPSP_NS1_7vsmem_tEENKUlT_SN_SO_SP_E_clIPjSG_PS9_SI_EESM_S12_SN_SO_SP_EUlS12_E1_NS1_11comp_targetILNS1_3genE10ELNS1_11target_archE1201ELNS1_3gpuE5ELNS1_3repE0EEENS1_36merge_oddeven_config_static_selectorELNS0_4arch9wavefront6targetE0EEEvSO_ ; -- Begin function _ZN7rocprim17ROCPRIM_400000_NS6detail17trampoline_kernelINS0_14default_configENS1_38merge_sort_block_merge_config_selectorIjN6thrust23THRUST_200600_302600_NS5tupleIffNS6_9null_typeES8_S8_S8_S8_S8_S8_S8_EEEEZZNS1_27merge_sort_block_merge_implIS3_NS6_6detail15normal_iteratorINS6_10device_ptrIjEEEENSD_INSE_IS9_EEEEjNS1_19radix_merge_compareILb0ELb1EjNS0_19identity_decomposerEEEEE10hipError_tT0_T1_T2_jT3_P12ihipStream_tbPNSt15iterator_traitsISN_E10value_typeEPNST_ISO_E10value_typeEPSP_NS1_7vsmem_tEENKUlT_SN_SO_SP_E_clIPjSG_PS9_SI_EESM_S12_SN_SO_SP_EUlS12_E1_NS1_11comp_targetILNS1_3genE10ELNS1_11target_archE1201ELNS1_3gpuE5ELNS1_3repE0EEENS1_36merge_oddeven_config_static_selectorELNS0_4arch9wavefront6targetE0EEEvSO_
	.globl	_ZN7rocprim17ROCPRIM_400000_NS6detail17trampoline_kernelINS0_14default_configENS1_38merge_sort_block_merge_config_selectorIjN6thrust23THRUST_200600_302600_NS5tupleIffNS6_9null_typeES8_S8_S8_S8_S8_S8_S8_EEEEZZNS1_27merge_sort_block_merge_implIS3_NS6_6detail15normal_iteratorINS6_10device_ptrIjEEEENSD_INSE_IS9_EEEEjNS1_19radix_merge_compareILb0ELb1EjNS0_19identity_decomposerEEEEE10hipError_tT0_T1_T2_jT3_P12ihipStream_tbPNSt15iterator_traitsISN_E10value_typeEPNST_ISO_E10value_typeEPSP_NS1_7vsmem_tEENKUlT_SN_SO_SP_E_clIPjSG_PS9_SI_EESM_S12_SN_SO_SP_EUlS12_E1_NS1_11comp_targetILNS1_3genE10ELNS1_11target_archE1201ELNS1_3gpuE5ELNS1_3repE0EEENS1_36merge_oddeven_config_static_selectorELNS0_4arch9wavefront6targetE0EEEvSO_
	.p2align	8
	.type	_ZN7rocprim17ROCPRIM_400000_NS6detail17trampoline_kernelINS0_14default_configENS1_38merge_sort_block_merge_config_selectorIjN6thrust23THRUST_200600_302600_NS5tupleIffNS6_9null_typeES8_S8_S8_S8_S8_S8_S8_EEEEZZNS1_27merge_sort_block_merge_implIS3_NS6_6detail15normal_iteratorINS6_10device_ptrIjEEEENSD_INSE_IS9_EEEEjNS1_19radix_merge_compareILb0ELb1EjNS0_19identity_decomposerEEEEE10hipError_tT0_T1_T2_jT3_P12ihipStream_tbPNSt15iterator_traitsISN_E10value_typeEPNST_ISO_E10value_typeEPSP_NS1_7vsmem_tEENKUlT_SN_SO_SP_E_clIPjSG_PS9_SI_EESM_S12_SN_SO_SP_EUlS12_E1_NS1_11comp_targetILNS1_3genE10ELNS1_11target_archE1201ELNS1_3gpuE5ELNS1_3repE0EEENS1_36merge_oddeven_config_static_selectorELNS0_4arch9wavefront6targetE0EEEvSO_,@function
_ZN7rocprim17ROCPRIM_400000_NS6detail17trampoline_kernelINS0_14default_configENS1_38merge_sort_block_merge_config_selectorIjN6thrust23THRUST_200600_302600_NS5tupleIffNS6_9null_typeES8_S8_S8_S8_S8_S8_S8_EEEEZZNS1_27merge_sort_block_merge_implIS3_NS6_6detail15normal_iteratorINS6_10device_ptrIjEEEENSD_INSE_IS9_EEEEjNS1_19radix_merge_compareILb0ELb1EjNS0_19identity_decomposerEEEEE10hipError_tT0_T1_T2_jT3_P12ihipStream_tbPNSt15iterator_traitsISN_E10value_typeEPNST_ISO_E10value_typeEPSP_NS1_7vsmem_tEENKUlT_SN_SO_SP_E_clIPjSG_PS9_SI_EESM_S12_SN_SO_SP_EUlS12_E1_NS1_11comp_targetILNS1_3genE10ELNS1_11target_archE1201ELNS1_3gpuE5ELNS1_3repE0EEENS1_36merge_oddeven_config_static_selectorELNS0_4arch9wavefront6targetE0EEEvSO_: ; @_ZN7rocprim17ROCPRIM_400000_NS6detail17trampoline_kernelINS0_14default_configENS1_38merge_sort_block_merge_config_selectorIjN6thrust23THRUST_200600_302600_NS5tupleIffNS6_9null_typeES8_S8_S8_S8_S8_S8_S8_EEEEZZNS1_27merge_sort_block_merge_implIS3_NS6_6detail15normal_iteratorINS6_10device_ptrIjEEEENSD_INSE_IS9_EEEEjNS1_19radix_merge_compareILb0ELb1EjNS0_19identity_decomposerEEEEE10hipError_tT0_T1_T2_jT3_P12ihipStream_tbPNSt15iterator_traitsISN_E10value_typeEPNST_ISO_E10value_typeEPSP_NS1_7vsmem_tEENKUlT_SN_SO_SP_E_clIPjSG_PS9_SI_EESM_S12_SN_SO_SP_EUlS12_E1_NS1_11comp_targetILNS1_3genE10ELNS1_11target_archE1201ELNS1_3gpuE5ELNS1_3repE0EEENS1_36merge_oddeven_config_static_selectorELNS0_4arch9wavefront6targetE0EEEvSO_
; %bb.0:
	.section	.rodata,"a",@progbits
	.p2align	6, 0x0
	.amdhsa_kernel _ZN7rocprim17ROCPRIM_400000_NS6detail17trampoline_kernelINS0_14default_configENS1_38merge_sort_block_merge_config_selectorIjN6thrust23THRUST_200600_302600_NS5tupleIffNS6_9null_typeES8_S8_S8_S8_S8_S8_S8_EEEEZZNS1_27merge_sort_block_merge_implIS3_NS6_6detail15normal_iteratorINS6_10device_ptrIjEEEENSD_INSE_IS9_EEEEjNS1_19radix_merge_compareILb0ELb1EjNS0_19identity_decomposerEEEEE10hipError_tT0_T1_T2_jT3_P12ihipStream_tbPNSt15iterator_traitsISN_E10value_typeEPNST_ISO_E10value_typeEPSP_NS1_7vsmem_tEENKUlT_SN_SO_SP_E_clIPjSG_PS9_SI_EESM_S12_SN_SO_SP_EUlS12_E1_NS1_11comp_targetILNS1_3genE10ELNS1_11target_archE1201ELNS1_3gpuE5ELNS1_3repE0EEENS1_36merge_oddeven_config_static_selectorELNS0_4arch9wavefront6targetE0EEEvSO_
		.amdhsa_group_segment_fixed_size 0
		.amdhsa_private_segment_fixed_size 0
		.amdhsa_kernarg_size 48
		.amdhsa_user_sgpr_count 2
		.amdhsa_user_sgpr_dispatch_ptr 0
		.amdhsa_user_sgpr_queue_ptr 0
		.amdhsa_user_sgpr_kernarg_segment_ptr 1
		.amdhsa_user_sgpr_dispatch_id 0
		.amdhsa_user_sgpr_kernarg_preload_length 0
		.amdhsa_user_sgpr_kernarg_preload_offset 0
		.amdhsa_user_sgpr_private_segment_size 0
		.amdhsa_wavefront_size32 1
		.amdhsa_uses_dynamic_stack 0
		.amdhsa_enable_private_segment 0
		.amdhsa_system_sgpr_workgroup_id_x 1
		.amdhsa_system_sgpr_workgroup_id_y 0
		.amdhsa_system_sgpr_workgroup_id_z 0
		.amdhsa_system_sgpr_workgroup_info 0
		.amdhsa_system_vgpr_workitem_id 0
		.amdhsa_next_free_vgpr 1
		.amdhsa_next_free_sgpr 1
		.amdhsa_named_barrier_count 0
		.amdhsa_reserve_vcc 0
		.amdhsa_float_round_mode_32 0
		.amdhsa_float_round_mode_16_64 0
		.amdhsa_float_denorm_mode_32 3
		.amdhsa_float_denorm_mode_16_64 3
		.amdhsa_fp16_overflow 0
		.amdhsa_memory_ordered 1
		.amdhsa_forward_progress 1
		.amdhsa_inst_pref_size 0
		.amdhsa_round_robin_scheduling 0
		.amdhsa_exception_fp_ieee_invalid_op 0
		.amdhsa_exception_fp_denorm_src 0
		.amdhsa_exception_fp_ieee_div_zero 0
		.amdhsa_exception_fp_ieee_overflow 0
		.amdhsa_exception_fp_ieee_underflow 0
		.amdhsa_exception_fp_ieee_inexact 0
		.amdhsa_exception_int_div_zero 0
	.end_amdhsa_kernel
	.section	.text._ZN7rocprim17ROCPRIM_400000_NS6detail17trampoline_kernelINS0_14default_configENS1_38merge_sort_block_merge_config_selectorIjN6thrust23THRUST_200600_302600_NS5tupleIffNS6_9null_typeES8_S8_S8_S8_S8_S8_S8_EEEEZZNS1_27merge_sort_block_merge_implIS3_NS6_6detail15normal_iteratorINS6_10device_ptrIjEEEENSD_INSE_IS9_EEEEjNS1_19radix_merge_compareILb0ELb1EjNS0_19identity_decomposerEEEEE10hipError_tT0_T1_T2_jT3_P12ihipStream_tbPNSt15iterator_traitsISN_E10value_typeEPNST_ISO_E10value_typeEPSP_NS1_7vsmem_tEENKUlT_SN_SO_SP_E_clIPjSG_PS9_SI_EESM_S12_SN_SO_SP_EUlS12_E1_NS1_11comp_targetILNS1_3genE10ELNS1_11target_archE1201ELNS1_3gpuE5ELNS1_3repE0EEENS1_36merge_oddeven_config_static_selectorELNS0_4arch9wavefront6targetE0EEEvSO_,"axG",@progbits,_ZN7rocprim17ROCPRIM_400000_NS6detail17trampoline_kernelINS0_14default_configENS1_38merge_sort_block_merge_config_selectorIjN6thrust23THRUST_200600_302600_NS5tupleIffNS6_9null_typeES8_S8_S8_S8_S8_S8_S8_EEEEZZNS1_27merge_sort_block_merge_implIS3_NS6_6detail15normal_iteratorINS6_10device_ptrIjEEEENSD_INSE_IS9_EEEEjNS1_19radix_merge_compareILb0ELb1EjNS0_19identity_decomposerEEEEE10hipError_tT0_T1_T2_jT3_P12ihipStream_tbPNSt15iterator_traitsISN_E10value_typeEPNST_ISO_E10value_typeEPSP_NS1_7vsmem_tEENKUlT_SN_SO_SP_E_clIPjSG_PS9_SI_EESM_S12_SN_SO_SP_EUlS12_E1_NS1_11comp_targetILNS1_3genE10ELNS1_11target_archE1201ELNS1_3gpuE5ELNS1_3repE0EEENS1_36merge_oddeven_config_static_selectorELNS0_4arch9wavefront6targetE0EEEvSO_,comdat
.Lfunc_end108:
	.size	_ZN7rocprim17ROCPRIM_400000_NS6detail17trampoline_kernelINS0_14default_configENS1_38merge_sort_block_merge_config_selectorIjN6thrust23THRUST_200600_302600_NS5tupleIffNS6_9null_typeES8_S8_S8_S8_S8_S8_S8_EEEEZZNS1_27merge_sort_block_merge_implIS3_NS6_6detail15normal_iteratorINS6_10device_ptrIjEEEENSD_INSE_IS9_EEEEjNS1_19radix_merge_compareILb0ELb1EjNS0_19identity_decomposerEEEEE10hipError_tT0_T1_T2_jT3_P12ihipStream_tbPNSt15iterator_traitsISN_E10value_typeEPNST_ISO_E10value_typeEPSP_NS1_7vsmem_tEENKUlT_SN_SO_SP_E_clIPjSG_PS9_SI_EESM_S12_SN_SO_SP_EUlS12_E1_NS1_11comp_targetILNS1_3genE10ELNS1_11target_archE1201ELNS1_3gpuE5ELNS1_3repE0EEENS1_36merge_oddeven_config_static_selectorELNS0_4arch9wavefront6targetE0EEEvSO_, .Lfunc_end108-_ZN7rocprim17ROCPRIM_400000_NS6detail17trampoline_kernelINS0_14default_configENS1_38merge_sort_block_merge_config_selectorIjN6thrust23THRUST_200600_302600_NS5tupleIffNS6_9null_typeES8_S8_S8_S8_S8_S8_S8_EEEEZZNS1_27merge_sort_block_merge_implIS3_NS6_6detail15normal_iteratorINS6_10device_ptrIjEEEENSD_INSE_IS9_EEEEjNS1_19radix_merge_compareILb0ELb1EjNS0_19identity_decomposerEEEEE10hipError_tT0_T1_T2_jT3_P12ihipStream_tbPNSt15iterator_traitsISN_E10value_typeEPNST_ISO_E10value_typeEPSP_NS1_7vsmem_tEENKUlT_SN_SO_SP_E_clIPjSG_PS9_SI_EESM_S12_SN_SO_SP_EUlS12_E1_NS1_11comp_targetILNS1_3genE10ELNS1_11target_archE1201ELNS1_3gpuE5ELNS1_3repE0EEENS1_36merge_oddeven_config_static_selectorELNS0_4arch9wavefront6targetE0EEEvSO_
                                        ; -- End function
	.set _ZN7rocprim17ROCPRIM_400000_NS6detail17trampoline_kernelINS0_14default_configENS1_38merge_sort_block_merge_config_selectorIjN6thrust23THRUST_200600_302600_NS5tupleIffNS6_9null_typeES8_S8_S8_S8_S8_S8_S8_EEEEZZNS1_27merge_sort_block_merge_implIS3_NS6_6detail15normal_iteratorINS6_10device_ptrIjEEEENSD_INSE_IS9_EEEEjNS1_19radix_merge_compareILb0ELb1EjNS0_19identity_decomposerEEEEE10hipError_tT0_T1_T2_jT3_P12ihipStream_tbPNSt15iterator_traitsISN_E10value_typeEPNST_ISO_E10value_typeEPSP_NS1_7vsmem_tEENKUlT_SN_SO_SP_E_clIPjSG_PS9_SI_EESM_S12_SN_SO_SP_EUlS12_E1_NS1_11comp_targetILNS1_3genE10ELNS1_11target_archE1201ELNS1_3gpuE5ELNS1_3repE0EEENS1_36merge_oddeven_config_static_selectorELNS0_4arch9wavefront6targetE0EEEvSO_.num_vgpr, 0
	.set _ZN7rocprim17ROCPRIM_400000_NS6detail17trampoline_kernelINS0_14default_configENS1_38merge_sort_block_merge_config_selectorIjN6thrust23THRUST_200600_302600_NS5tupleIffNS6_9null_typeES8_S8_S8_S8_S8_S8_S8_EEEEZZNS1_27merge_sort_block_merge_implIS3_NS6_6detail15normal_iteratorINS6_10device_ptrIjEEEENSD_INSE_IS9_EEEEjNS1_19radix_merge_compareILb0ELb1EjNS0_19identity_decomposerEEEEE10hipError_tT0_T1_T2_jT3_P12ihipStream_tbPNSt15iterator_traitsISN_E10value_typeEPNST_ISO_E10value_typeEPSP_NS1_7vsmem_tEENKUlT_SN_SO_SP_E_clIPjSG_PS9_SI_EESM_S12_SN_SO_SP_EUlS12_E1_NS1_11comp_targetILNS1_3genE10ELNS1_11target_archE1201ELNS1_3gpuE5ELNS1_3repE0EEENS1_36merge_oddeven_config_static_selectorELNS0_4arch9wavefront6targetE0EEEvSO_.num_agpr, 0
	.set _ZN7rocprim17ROCPRIM_400000_NS6detail17trampoline_kernelINS0_14default_configENS1_38merge_sort_block_merge_config_selectorIjN6thrust23THRUST_200600_302600_NS5tupleIffNS6_9null_typeES8_S8_S8_S8_S8_S8_S8_EEEEZZNS1_27merge_sort_block_merge_implIS3_NS6_6detail15normal_iteratorINS6_10device_ptrIjEEEENSD_INSE_IS9_EEEEjNS1_19radix_merge_compareILb0ELb1EjNS0_19identity_decomposerEEEEE10hipError_tT0_T1_T2_jT3_P12ihipStream_tbPNSt15iterator_traitsISN_E10value_typeEPNST_ISO_E10value_typeEPSP_NS1_7vsmem_tEENKUlT_SN_SO_SP_E_clIPjSG_PS9_SI_EESM_S12_SN_SO_SP_EUlS12_E1_NS1_11comp_targetILNS1_3genE10ELNS1_11target_archE1201ELNS1_3gpuE5ELNS1_3repE0EEENS1_36merge_oddeven_config_static_selectorELNS0_4arch9wavefront6targetE0EEEvSO_.numbered_sgpr, 0
	.set _ZN7rocprim17ROCPRIM_400000_NS6detail17trampoline_kernelINS0_14default_configENS1_38merge_sort_block_merge_config_selectorIjN6thrust23THRUST_200600_302600_NS5tupleIffNS6_9null_typeES8_S8_S8_S8_S8_S8_S8_EEEEZZNS1_27merge_sort_block_merge_implIS3_NS6_6detail15normal_iteratorINS6_10device_ptrIjEEEENSD_INSE_IS9_EEEEjNS1_19radix_merge_compareILb0ELb1EjNS0_19identity_decomposerEEEEE10hipError_tT0_T1_T2_jT3_P12ihipStream_tbPNSt15iterator_traitsISN_E10value_typeEPNST_ISO_E10value_typeEPSP_NS1_7vsmem_tEENKUlT_SN_SO_SP_E_clIPjSG_PS9_SI_EESM_S12_SN_SO_SP_EUlS12_E1_NS1_11comp_targetILNS1_3genE10ELNS1_11target_archE1201ELNS1_3gpuE5ELNS1_3repE0EEENS1_36merge_oddeven_config_static_selectorELNS0_4arch9wavefront6targetE0EEEvSO_.num_named_barrier, 0
	.set _ZN7rocprim17ROCPRIM_400000_NS6detail17trampoline_kernelINS0_14default_configENS1_38merge_sort_block_merge_config_selectorIjN6thrust23THRUST_200600_302600_NS5tupleIffNS6_9null_typeES8_S8_S8_S8_S8_S8_S8_EEEEZZNS1_27merge_sort_block_merge_implIS3_NS6_6detail15normal_iteratorINS6_10device_ptrIjEEEENSD_INSE_IS9_EEEEjNS1_19radix_merge_compareILb0ELb1EjNS0_19identity_decomposerEEEEE10hipError_tT0_T1_T2_jT3_P12ihipStream_tbPNSt15iterator_traitsISN_E10value_typeEPNST_ISO_E10value_typeEPSP_NS1_7vsmem_tEENKUlT_SN_SO_SP_E_clIPjSG_PS9_SI_EESM_S12_SN_SO_SP_EUlS12_E1_NS1_11comp_targetILNS1_3genE10ELNS1_11target_archE1201ELNS1_3gpuE5ELNS1_3repE0EEENS1_36merge_oddeven_config_static_selectorELNS0_4arch9wavefront6targetE0EEEvSO_.private_seg_size, 0
	.set _ZN7rocprim17ROCPRIM_400000_NS6detail17trampoline_kernelINS0_14default_configENS1_38merge_sort_block_merge_config_selectorIjN6thrust23THRUST_200600_302600_NS5tupleIffNS6_9null_typeES8_S8_S8_S8_S8_S8_S8_EEEEZZNS1_27merge_sort_block_merge_implIS3_NS6_6detail15normal_iteratorINS6_10device_ptrIjEEEENSD_INSE_IS9_EEEEjNS1_19radix_merge_compareILb0ELb1EjNS0_19identity_decomposerEEEEE10hipError_tT0_T1_T2_jT3_P12ihipStream_tbPNSt15iterator_traitsISN_E10value_typeEPNST_ISO_E10value_typeEPSP_NS1_7vsmem_tEENKUlT_SN_SO_SP_E_clIPjSG_PS9_SI_EESM_S12_SN_SO_SP_EUlS12_E1_NS1_11comp_targetILNS1_3genE10ELNS1_11target_archE1201ELNS1_3gpuE5ELNS1_3repE0EEENS1_36merge_oddeven_config_static_selectorELNS0_4arch9wavefront6targetE0EEEvSO_.uses_vcc, 0
	.set _ZN7rocprim17ROCPRIM_400000_NS6detail17trampoline_kernelINS0_14default_configENS1_38merge_sort_block_merge_config_selectorIjN6thrust23THRUST_200600_302600_NS5tupleIffNS6_9null_typeES8_S8_S8_S8_S8_S8_S8_EEEEZZNS1_27merge_sort_block_merge_implIS3_NS6_6detail15normal_iteratorINS6_10device_ptrIjEEEENSD_INSE_IS9_EEEEjNS1_19radix_merge_compareILb0ELb1EjNS0_19identity_decomposerEEEEE10hipError_tT0_T1_T2_jT3_P12ihipStream_tbPNSt15iterator_traitsISN_E10value_typeEPNST_ISO_E10value_typeEPSP_NS1_7vsmem_tEENKUlT_SN_SO_SP_E_clIPjSG_PS9_SI_EESM_S12_SN_SO_SP_EUlS12_E1_NS1_11comp_targetILNS1_3genE10ELNS1_11target_archE1201ELNS1_3gpuE5ELNS1_3repE0EEENS1_36merge_oddeven_config_static_selectorELNS0_4arch9wavefront6targetE0EEEvSO_.uses_flat_scratch, 0
	.set _ZN7rocprim17ROCPRIM_400000_NS6detail17trampoline_kernelINS0_14default_configENS1_38merge_sort_block_merge_config_selectorIjN6thrust23THRUST_200600_302600_NS5tupleIffNS6_9null_typeES8_S8_S8_S8_S8_S8_S8_EEEEZZNS1_27merge_sort_block_merge_implIS3_NS6_6detail15normal_iteratorINS6_10device_ptrIjEEEENSD_INSE_IS9_EEEEjNS1_19radix_merge_compareILb0ELb1EjNS0_19identity_decomposerEEEEE10hipError_tT0_T1_T2_jT3_P12ihipStream_tbPNSt15iterator_traitsISN_E10value_typeEPNST_ISO_E10value_typeEPSP_NS1_7vsmem_tEENKUlT_SN_SO_SP_E_clIPjSG_PS9_SI_EESM_S12_SN_SO_SP_EUlS12_E1_NS1_11comp_targetILNS1_3genE10ELNS1_11target_archE1201ELNS1_3gpuE5ELNS1_3repE0EEENS1_36merge_oddeven_config_static_selectorELNS0_4arch9wavefront6targetE0EEEvSO_.has_dyn_sized_stack, 0
	.set _ZN7rocprim17ROCPRIM_400000_NS6detail17trampoline_kernelINS0_14default_configENS1_38merge_sort_block_merge_config_selectorIjN6thrust23THRUST_200600_302600_NS5tupleIffNS6_9null_typeES8_S8_S8_S8_S8_S8_S8_EEEEZZNS1_27merge_sort_block_merge_implIS3_NS6_6detail15normal_iteratorINS6_10device_ptrIjEEEENSD_INSE_IS9_EEEEjNS1_19radix_merge_compareILb0ELb1EjNS0_19identity_decomposerEEEEE10hipError_tT0_T1_T2_jT3_P12ihipStream_tbPNSt15iterator_traitsISN_E10value_typeEPNST_ISO_E10value_typeEPSP_NS1_7vsmem_tEENKUlT_SN_SO_SP_E_clIPjSG_PS9_SI_EESM_S12_SN_SO_SP_EUlS12_E1_NS1_11comp_targetILNS1_3genE10ELNS1_11target_archE1201ELNS1_3gpuE5ELNS1_3repE0EEENS1_36merge_oddeven_config_static_selectorELNS0_4arch9wavefront6targetE0EEEvSO_.has_recursion, 0
	.set _ZN7rocprim17ROCPRIM_400000_NS6detail17trampoline_kernelINS0_14default_configENS1_38merge_sort_block_merge_config_selectorIjN6thrust23THRUST_200600_302600_NS5tupleIffNS6_9null_typeES8_S8_S8_S8_S8_S8_S8_EEEEZZNS1_27merge_sort_block_merge_implIS3_NS6_6detail15normal_iteratorINS6_10device_ptrIjEEEENSD_INSE_IS9_EEEEjNS1_19radix_merge_compareILb0ELb1EjNS0_19identity_decomposerEEEEE10hipError_tT0_T1_T2_jT3_P12ihipStream_tbPNSt15iterator_traitsISN_E10value_typeEPNST_ISO_E10value_typeEPSP_NS1_7vsmem_tEENKUlT_SN_SO_SP_E_clIPjSG_PS9_SI_EESM_S12_SN_SO_SP_EUlS12_E1_NS1_11comp_targetILNS1_3genE10ELNS1_11target_archE1201ELNS1_3gpuE5ELNS1_3repE0EEENS1_36merge_oddeven_config_static_selectorELNS0_4arch9wavefront6targetE0EEEvSO_.has_indirect_call, 0
	.section	.AMDGPU.csdata,"",@progbits
; Kernel info:
; codeLenInByte = 0
; TotalNumSgprs: 0
; NumVgprs: 0
; ScratchSize: 0
; MemoryBound: 0
; FloatMode: 240
; IeeeMode: 1
; LDSByteSize: 0 bytes/workgroup (compile time only)
; SGPRBlocks: 0
; VGPRBlocks: 0
; NumSGPRsForWavesPerEU: 1
; NumVGPRsForWavesPerEU: 1
; NamedBarCnt: 0
; Occupancy: 16
; WaveLimiterHint : 0
; COMPUTE_PGM_RSRC2:SCRATCH_EN: 0
; COMPUTE_PGM_RSRC2:USER_SGPR: 2
; COMPUTE_PGM_RSRC2:TRAP_HANDLER: 0
; COMPUTE_PGM_RSRC2:TGID_X_EN: 1
; COMPUTE_PGM_RSRC2:TGID_Y_EN: 0
; COMPUTE_PGM_RSRC2:TGID_Z_EN: 0
; COMPUTE_PGM_RSRC2:TIDIG_COMP_CNT: 0
	.section	.text._ZN7rocprim17ROCPRIM_400000_NS6detail17trampoline_kernelINS0_14default_configENS1_38merge_sort_block_merge_config_selectorIjN6thrust23THRUST_200600_302600_NS5tupleIffNS6_9null_typeES8_S8_S8_S8_S8_S8_S8_EEEEZZNS1_27merge_sort_block_merge_implIS3_NS6_6detail15normal_iteratorINS6_10device_ptrIjEEEENSD_INSE_IS9_EEEEjNS1_19radix_merge_compareILb0ELb1EjNS0_19identity_decomposerEEEEE10hipError_tT0_T1_T2_jT3_P12ihipStream_tbPNSt15iterator_traitsISN_E10value_typeEPNST_ISO_E10value_typeEPSP_NS1_7vsmem_tEENKUlT_SN_SO_SP_E_clIPjSG_PS9_SI_EESM_S12_SN_SO_SP_EUlS12_E1_NS1_11comp_targetILNS1_3genE5ELNS1_11target_archE942ELNS1_3gpuE9ELNS1_3repE0EEENS1_36merge_oddeven_config_static_selectorELNS0_4arch9wavefront6targetE0EEEvSO_,"axG",@progbits,_ZN7rocprim17ROCPRIM_400000_NS6detail17trampoline_kernelINS0_14default_configENS1_38merge_sort_block_merge_config_selectorIjN6thrust23THRUST_200600_302600_NS5tupleIffNS6_9null_typeES8_S8_S8_S8_S8_S8_S8_EEEEZZNS1_27merge_sort_block_merge_implIS3_NS6_6detail15normal_iteratorINS6_10device_ptrIjEEEENSD_INSE_IS9_EEEEjNS1_19radix_merge_compareILb0ELb1EjNS0_19identity_decomposerEEEEE10hipError_tT0_T1_T2_jT3_P12ihipStream_tbPNSt15iterator_traitsISN_E10value_typeEPNST_ISO_E10value_typeEPSP_NS1_7vsmem_tEENKUlT_SN_SO_SP_E_clIPjSG_PS9_SI_EESM_S12_SN_SO_SP_EUlS12_E1_NS1_11comp_targetILNS1_3genE5ELNS1_11target_archE942ELNS1_3gpuE9ELNS1_3repE0EEENS1_36merge_oddeven_config_static_selectorELNS0_4arch9wavefront6targetE0EEEvSO_,comdat
	.protected	_ZN7rocprim17ROCPRIM_400000_NS6detail17trampoline_kernelINS0_14default_configENS1_38merge_sort_block_merge_config_selectorIjN6thrust23THRUST_200600_302600_NS5tupleIffNS6_9null_typeES8_S8_S8_S8_S8_S8_S8_EEEEZZNS1_27merge_sort_block_merge_implIS3_NS6_6detail15normal_iteratorINS6_10device_ptrIjEEEENSD_INSE_IS9_EEEEjNS1_19radix_merge_compareILb0ELb1EjNS0_19identity_decomposerEEEEE10hipError_tT0_T1_T2_jT3_P12ihipStream_tbPNSt15iterator_traitsISN_E10value_typeEPNST_ISO_E10value_typeEPSP_NS1_7vsmem_tEENKUlT_SN_SO_SP_E_clIPjSG_PS9_SI_EESM_S12_SN_SO_SP_EUlS12_E1_NS1_11comp_targetILNS1_3genE5ELNS1_11target_archE942ELNS1_3gpuE9ELNS1_3repE0EEENS1_36merge_oddeven_config_static_selectorELNS0_4arch9wavefront6targetE0EEEvSO_ ; -- Begin function _ZN7rocprim17ROCPRIM_400000_NS6detail17trampoline_kernelINS0_14default_configENS1_38merge_sort_block_merge_config_selectorIjN6thrust23THRUST_200600_302600_NS5tupleIffNS6_9null_typeES8_S8_S8_S8_S8_S8_S8_EEEEZZNS1_27merge_sort_block_merge_implIS3_NS6_6detail15normal_iteratorINS6_10device_ptrIjEEEENSD_INSE_IS9_EEEEjNS1_19radix_merge_compareILb0ELb1EjNS0_19identity_decomposerEEEEE10hipError_tT0_T1_T2_jT3_P12ihipStream_tbPNSt15iterator_traitsISN_E10value_typeEPNST_ISO_E10value_typeEPSP_NS1_7vsmem_tEENKUlT_SN_SO_SP_E_clIPjSG_PS9_SI_EESM_S12_SN_SO_SP_EUlS12_E1_NS1_11comp_targetILNS1_3genE5ELNS1_11target_archE942ELNS1_3gpuE9ELNS1_3repE0EEENS1_36merge_oddeven_config_static_selectorELNS0_4arch9wavefront6targetE0EEEvSO_
	.globl	_ZN7rocprim17ROCPRIM_400000_NS6detail17trampoline_kernelINS0_14default_configENS1_38merge_sort_block_merge_config_selectorIjN6thrust23THRUST_200600_302600_NS5tupleIffNS6_9null_typeES8_S8_S8_S8_S8_S8_S8_EEEEZZNS1_27merge_sort_block_merge_implIS3_NS6_6detail15normal_iteratorINS6_10device_ptrIjEEEENSD_INSE_IS9_EEEEjNS1_19radix_merge_compareILb0ELb1EjNS0_19identity_decomposerEEEEE10hipError_tT0_T1_T2_jT3_P12ihipStream_tbPNSt15iterator_traitsISN_E10value_typeEPNST_ISO_E10value_typeEPSP_NS1_7vsmem_tEENKUlT_SN_SO_SP_E_clIPjSG_PS9_SI_EESM_S12_SN_SO_SP_EUlS12_E1_NS1_11comp_targetILNS1_3genE5ELNS1_11target_archE942ELNS1_3gpuE9ELNS1_3repE0EEENS1_36merge_oddeven_config_static_selectorELNS0_4arch9wavefront6targetE0EEEvSO_
	.p2align	8
	.type	_ZN7rocprim17ROCPRIM_400000_NS6detail17trampoline_kernelINS0_14default_configENS1_38merge_sort_block_merge_config_selectorIjN6thrust23THRUST_200600_302600_NS5tupleIffNS6_9null_typeES8_S8_S8_S8_S8_S8_S8_EEEEZZNS1_27merge_sort_block_merge_implIS3_NS6_6detail15normal_iteratorINS6_10device_ptrIjEEEENSD_INSE_IS9_EEEEjNS1_19radix_merge_compareILb0ELb1EjNS0_19identity_decomposerEEEEE10hipError_tT0_T1_T2_jT3_P12ihipStream_tbPNSt15iterator_traitsISN_E10value_typeEPNST_ISO_E10value_typeEPSP_NS1_7vsmem_tEENKUlT_SN_SO_SP_E_clIPjSG_PS9_SI_EESM_S12_SN_SO_SP_EUlS12_E1_NS1_11comp_targetILNS1_3genE5ELNS1_11target_archE942ELNS1_3gpuE9ELNS1_3repE0EEENS1_36merge_oddeven_config_static_selectorELNS0_4arch9wavefront6targetE0EEEvSO_,@function
_ZN7rocprim17ROCPRIM_400000_NS6detail17trampoline_kernelINS0_14default_configENS1_38merge_sort_block_merge_config_selectorIjN6thrust23THRUST_200600_302600_NS5tupleIffNS6_9null_typeES8_S8_S8_S8_S8_S8_S8_EEEEZZNS1_27merge_sort_block_merge_implIS3_NS6_6detail15normal_iteratorINS6_10device_ptrIjEEEENSD_INSE_IS9_EEEEjNS1_19radix_merge_compareILb0ELb1EjNS0_19identity_decomposerEEEEE10hipError_tT0_T1_T2_jT3_P12ihipStream_tbPNSt15iterator_traitsISN_E10value_typeEPNST_ISO_E10value_typeEPSP_NS1_7vsmem_tEENKUlT_SN_SO_SP_E_clIPjSG_PS9_SI_EESM_S12_SN_SO_SP_EUlS12_E1_NS1_11comp_targetILNS1_3genE5ELNS1_11target_archE942ELNS1_3gpuE9ELNS1_3repE0EEENS1_36merge_oddeven_config_static_selectorELNS0_4arch9wavefront6targetE0EEEvSO_: ; @_ZN7rocprim17ROCPRIM_400000_NS6detail17trampoline_kernelINS0_14default_configENS1_38merge_sort_block_merge_config_selectorIjN6thrust23THRUST_200600_302600_NS5tupleIffNS6_9null_typeES8_S8_S8_S8_S8_S8_S8_EEEEZZNS1_27merge_sort_block_merge_implIS3_NS6_6detail15normal_iteratorINS6_10device_ptrIjEEEENSD_INSE_IS9_EEEEjNS1_19radix_merge_compareILb0ELb1EjNS0_19identity_decomposerEEEEE10hipError_tT0_T1_T2_jT3_P12ihipStream_tbPNSt15iterator_traitsISN_E10value_typeEPNST_ISO_E10value_typeEPSP_NS1_7vsmem_tEENKUlT_SN_SO_SP_E_clIPjSG_PS9_SI_EESM_S12_SN_SO_SP_EUlS12_E1_NS1_11comp_targetILNS1_3genE5ELNS1_11target_archE942ELNS1_3gpuE9ELNS1_3repE0EEENS1_36merge_oddeven_config_static_selectorELNS0_4arch9wavefront6targetE0EEEvSO_
; %bb.0:
	.section	.rodata,"a",@progbits
	.p2align	6, 0x0
	.amdhsa_kernel _ZN7rocprim17ROCPRIM_400000_NS6detail17trampoline_kernelINS0_14default_configENS1_38merge_sort_block_merge_config_selectorIjN6thrust23THRUST_200600_302600_NS5tupleIffNS6_9null_typeES8_S8_S8_S8_S8_S8_S8_EEEEZZNS1_27merge_sort_block_merge_implIS3_NS6_6detail15normal_iteratorINS6_10device_ptrIjEEEENSD_INSE_IS9_EEEEjNS1_19radix_merge_compareILb0ELb1EjNS0_19identity_decomposerEEEEE10hipError_tT0_T1_T2_jT3_P12ihipStream_tbPNSt15iterator_traitsISN_E10value_typeEPNST_ISO_E10value_typeEPSP_NS1_7vsmem_tEENKUlT_SN_SO_SP_E_clIPjSG_PS9_SI_EESM_S12_SN_SO_SP_EUlS12_E1_NS1_11comp_targetILNS1_3genE5ELNS1_11target_archE942ELNS1_3gpuE9ELNS1_3repE0EEENS1_36merge_oddeven_config_static_selectorELNS0_4arch9wavefront6targetE0EEEvSO_
		.amdhsa_group_segment_fixed_size 0
		.amdhsa_private_segment_fixed_size 0
		.amdhsa_kernarg_size 48
		.amdhsa_user_sgpr_count 2
		.amdhsa_user_sgpr_dispatch_ptr 0
		.amdhsa_user_sgpr_queue_ptr 0
		.amdhsa_user_sgpr_kernarg_segment_ptr 1
		.amdhsa_user_sgpr_dispatch_id 0
		.amdhsa_user_sgpr_kernarg_preload_length 0
		.amdhsa_user_sgpr_kernarg_preload_offset 0
		.amdhsa_user_sgpr_private_segment_size 0
		.amdhsa_wavefront_size32 1
		.amdhsa_uses_dynamic_stack 0
		.amdhsa_enable_private_segment 0
		.amdhsa_system_sgpr_workgroup_id_x 1
		.amdhsa_system_sgpr_workgroup_id_y 0
		.amdhsa_system_sgpr_workgroup_id_z 0
		.amdhsa_system_sgpr_workgroup_info 0
		.amdhsa_system_vgpr_workitem_id 0
		.amdhsa_next_free_vgpr 1
		.amdhsa_next_free_sgpr 1
		.amdhsa_named_barrier_count 0
		.amdhsa_reserve_vcc 0
		.amdhsa_float_round_mode_32 0
		.amdhsa_float_round_mode_16_64 0
		.amdhsa_float_denorm_mode_32 3
		.amdhsa_float_denorm_mode_16_64 3
		.amdhsa_fp16_overflow 0
		.amdhsa_memory_ordered 1
		.amdhsa_forward_progress 1
		.amdhsa_inst_pref_size 0
		.amdhsa_round_robin_scheduling 0
		.amdhsa_exception_fp_ieee_invalid_op 0
		.amdhsa_exception_fp_denorm_src 0
		.amdhsa_exception_fp_ieee_div_zero 0
		.amdhsa_exception_fp_ieee_overflow 0
		.amdhsa_exception_fp_ieee_underflow 0
		.amdhsa_exception_fp_ieee_inexact 0
		.amdhsa_exception_int_div_zero 0
	.end_amdhsa_kernel
	.section	.text._ZN7rocprim17ROCPRIM_400000_NS6detail17trampoline_kernelINS0_14default_configENS1_38merge_sort_block_merge_config_selectorIjN6thrust23THRUST_200600_302600_NS5tupleIffNS6_9null_typeES8_S8_S8_S8_S8_S8_S8_EEEEZZNS1_27merge_sort_block_merge_implIS3_NS6_6detail15normal_iteratorINS6_10device_ptrIjEEEENSD_INSE_IS9_EEEEjNS1_19radix_merge_compareILb0ELb1EjNS0_19identity_decomposerEEEEE10hipError_tT0_T1_T2_jT3_P12ihipStream_tbPNSt15iterator_traitsISN_E10value_typeEPNST_ISO_E10value_typeEPSP_NS1_7vsmem_tEENKUlT_SN_SO_SP_E_clIPjSG_PS9_SI_EESM_S12_SN_SO_SP_EUlS12_E1_NS1_11comp_targetILNS1_3genE5ELNS1_11target_archE942ELNS1_3gpuE9ELNS1_3repE0EEENS1_36merge_oddeven_config_static_selectorELNS0_4arch9wavefront6targetE0EEEvSO_,"axG",@progbits,_ZN7rocprim17ROCPRIM_400000_NS6detail17trampoline_kernelINS0_14default_configENS1_38merge_sort_block_merge_config_selectorIjN6thrust23THRUST_200600_302600_NS5tupleIffNS6_9null_typeES8_S8_S8_S8_S8_S8_S8_EEEEZZNS1_27merge_sort_block_merge_implIS3_NS6_6detail15normal_iteratorINS6_10device_ptrIjEEEENSD_INSE_IS9_EEEEjNS1_19radix_merge_compareILb0ELb1EjNS0_19identity_decomposerEEEEE10hipError_tT0_T1_T2_jT3_P12ihipStream_tbPNSt15iterator_traitsISN_E10value_typeEPNST_ISO_E10value_typeEPSP_NS1_7vsmem_tEENKUlT_SN_SO_SP_E_clIPjSG_PS9_SI_EESM_S12_SN_SO_SP_EUlS12_E1_NS1_11comp_targetILNS1_3genE5ELNS1_11target_archE942ELNS1_3gpuE9ELNS1_3repE0EEENS1_36merge_oddeven_config_static_selectorELNS0_4arch9wavefront6targetE0EEEvSO_,comdat
.Lfunc_end109:
	.size	_ZN7rocprim17ROCPRIM_400000_NS6detail17trampoline_kernelINS0_14default_configENS1_38merge_sort_block_merge_config_selectorIjN6thrust23THRUST_200600_302600_NS5tupleIffNS6_9null_typeES8_S8_S8_S8_S8_S8_S8_EEEEZZNS1_27merge_sort_block_merge_implIS3_NS6_6detail15normal_iteratorINS6_10device_ptrIjEEEENSD_INSE_IS9_EEEEjNS1_19radix_merge_compareILb0ELb1EjNS0_19identity_decomposerEEEEE10hipError_tT0_T1_T2_jT3_P12ihipStream_tbPNSt15iterator_traitsISN_E10value_typeEPNST_ISO_E10value_typeEPSP_NS1_7vsmem_tEENKUlT_SN_SO_SP_E_clIPjSG_PS9_SI_EESM_S12_SN_SO_SP_EUlS12_E1_NS1_11comp_targetILNS1_3genE5ELNS1_11target_archE942ELNS1_3gpuE9ELNS1_3repE0EEENS1_36merge_oddeven_config_static_selectorELNS0_4arch9wavefront6targetE0EEEvSO_, .Lfunc_end109-_ZN7rocprim17ROCPRIM_400000_NS6detail17trampoline_kernelINS0_14default_configENS1_38merge_sort_block_merge_config_selectorIjN6thrust23THRUST_200600_302600_NS5tupleIffNS6_9null_typeES8_S8_S8_S8_S8_S8_S8_EEEEZZNS1_27merge_sort_block_merge_implIS3_NS6_6detail15normal_iteratorINS6_10device_ptrIjEEEENSD_INSE_IS9_EEEEjNS1_19radix_merge_compareILb0ELb1EjNS0_19identity_decomposerEEEEE10hipError_tT0_T1_T2_jT3_P12ihipStream_tbPNSt15iterator_traitsISN_E10value_typeEPNST_ISO_E10value_typeEPSP_NS1_7vsmem_tEENKUlT_SN_SO_SP_E_clIPjSG_PS9_SI_EESM_S12_SN_SO_SP_EUlS12_E1_NS1_11comp_targetILNS1_3genE5ELNS1_11target_archE942ELNS1_3gpuE9ELNS1_3repE0EEENS1_36merge_oddeven_config_static_selectorELNS0_4arch9wavefront6targetE0EEEvSO_
                                        ; -- End function
	.set _ZN7rocprim17ROCPRIM_400000_NS6detail17trampoline_kernelINS0_14default_configENS1_38merge_sort_block_merge_config_selectorIjN6thrust23THRUST_200600_302600_NS5tupleIffNS6_9null_typeES8_S8_S8_S8_S8_S8_S8_EEEEZZNS1_27merge_sort_block_merge_implIS3_NS6_6detail15normal_iteratorINS6_10device_ptrIjEEEENSD_INSE_IS9_EEEEjNS1_19radix_merge_compareILb0ELb1EjNS0_19identity_decomposerEEEEE10hipError_tT0_T1_T2_jT3_P12ihipStream_tbPNSt15iterator_traitsISN_E10value_typeEPNST_ISO_E10value_typeEPSP_NS1_7vsmem_tEENKUlT_SN_SO_SP_E_clIPjSG_PS9_SI_EESM_S12_SN_SO_SP_EUlS12_E1_NS1_11comp_targetILNS1_3genE5ELNS1_11target_archE942ELNS1_3gpuE9ELNS1_3repE0EEENS1_36merge_oddeven_config_static_selectorELNS0_4arch9wavefront6targetE0EEEvSO_.num_vgpr, 0
	.set _ZN7rocprim17ROCPRIM_400000_NS6detail17trampoline_kernelINS0_14default_configENS1_38merge_sort_block_merge_config_selectorIjN6thrust23THRUST_200600_302600_NS5tupleIffNS6_9null_typeES8_S8_S8_S8_S8_S8_S8_EEEEZZNS1_27merge_sort_block_merge_implIS3_NS6_6detail15normal_iteratorINS6_10device_ptrIjEEEENSD_INSE_IS9_EEEEjNS1_19radix_merge_compareILb0ELb1EjNS0_19identity_decomposerEEEEE10hipError_tT0_T1_T2_jT3_P12ihipStream_tbPNSt15iterator_traitsISN_E10value_typeEPNST_ISO_E10value_typeEPSP_NS1_7vsmem_tEENKUlT_SN_SO_SP_E_clIPjSG_PS9_SI_EESM_S12_SN_SO_SP_EUlS12_E1_NS1_11comp_targetILNS1_3genE5ELNS1_11target_archE942ELNS1_3gpuE9ELNS1_3repE0EEENS1_36merge_oddeven_config_static_selectorELNS0_4arch9wavefront6targetE0EEEvSO_.num_agpr, 0
	.set _ZN7rocprim17ROCPRIM_400000_NS6detail17trampoline_kernelINS0_14default_configENS1_38merge_sort_block_merge_config_selectorIjN6thrust23THRUST_200600_302600_NS5tupleIffNS6_9null_typeES8_S8_S8_S8_S8_S8_S8_EEEEZZNS1_27merge_sort_block_merge_implIS3_NS6_6detail15normal_iteratorINS6_10device_ptrIjEEEENSD_INSE_IS9_EEEEjNS1_19radix_merge_compareILb0ELb1EjNS0_19identity_decomposerEEEEE10hipError_tT0_T1_T2_jT3_P12ihipStream_tbPNSt15iterator_traitsISN_E10value_typeEPNST_ISO_E10value_typeEPSP_NS1_7vsmem_tEENKUlT_SN_SO_SP_E_clIPjSG_PS9_SI_EESM_S12_SN_SO_SP_EUlS12_E1_NS1_11comp_targetILNS1_3genE5ELNS1_11target_archE942ELNS1_3gpuE9ELNS1_3repE0EEENS1_36merge_oddeven_config_static_selectorELNS0_4arch9wavefront6targetE0EEEvSO_.numbered_sgpr, 0
	.set _ZN7rocprim17ROCPRIM_400000_NS6detail17trampoline_kernelINS0_14default_configENS1_38merge_sort_block_merge_config_selectorIjN6thrust23THRUST_200600_302600_NS5tupleIffNS6_9null_typeES8_S8_S8_S8_S8_S8_S8_EEEEZZNS1_27merge_sort_block_merge_implIS3_NS6_6detail15normal_iteratorINS6_10device_ptrIjEEEENSD_INSE_IS9_EEEEjNS1_19radix_merge_compareILb0ELb1EjNS0_19identity_decomposerEEEEE10hipError_tT0_T1_T2_jT3_P12ihipStream_tbPNSt15iterator_traitsISN_E10value_typeEPNST_ISO_E10value_typeEPSP_NS1_7vsmem_tEENKUlT_SN_SO_SP_E_clIPjSG_PS9_SI_EESM_S12_SN_SO_SP_EUlS12_E1_NS1_11comp_targetILNS1_3genE5ELNS1_11target_archE942ELNS1_3gpuE9ELNS1_3repE0EEENS1_36merge_oddeven_config_static_selectorELNS0_4arch9wavefront6targetE0EEEvSO_.num_named_barrier, 0
	.set _ZN7rocprim17ROCPRIM_400000_NS6detail17trampoline_kernelINS0_14default_configENS1_38merge_sort_block_merge_config_selectorIjN6thrust23THRUST_200600_302600_NS5tupleIffNS6_9null_typeES8_S8_S8_S8_S8_S8_S8_EEEEZZNS1_27merge_sort_block_merge_implIS3_NS6_6detail15normal_iteratorINS6_10device_ptrIjEEEENSD_INSE_IS9_EEEEjNS1_19radix_merge_compareILb0ELb1EjNS0_19identity_decomposerEEEEE10hipError_tT0_T1_T2_jT3_P12ihipStream_tbPNSt15iterator_traitsISN_E10value_typeEPNST_ISO_E10value_typeEPSP_NS1_7vsmem_tEENKUlT_SN_SO_SP_E_clIPjSG_PS9_SI_EESM_S12_SN_SO_SP_EUlS12_E1_NS1_11comp_targetILNS1_3genE5ELNS1_11target_archE942ELNS1_3gpuE9ELNS1_3repE0EEENS1_36merge_oddeven_config_static_selectorELNS0_4arch9wavefront6targetE0EEEvSO_.private_seg_size, 0
	.set _ZN7rocprim17ROCPRIM_400000_NS6detail17trampoline_kernelINS0_14default_configENS1_38merge_sort_block_merge_config_selectorIjN6thrust23THRUST_200600_302600_NS5tupleIffNS6_9null_typeES8_S8_S8_S8_S8_S8_S8_EEEEZZNS1_27merge_sort_block_merge_implIS3_NS6_6detail15normal_iteratorINS6_10device_ptrIjEEEENSD_INSE_IS9_EEEEjNS1_19radix_merge_compareILb0ELb1EjNS0_19identity_decomposerEEEEE10hipError_tT0_T1_T2_jT3_P12ihipStream_tbPNSt15iterator_traitsISN_E10value_typeEPNST_ISO_E10value_typeEPSP_NS1_7vsmem_tEENKUlT_SN_SO_SP_E_clIPjSG_PS9_SI_EESM_S12_SN_SO_SP_EUlS12_E1_NS1_11comp_targetILNS1_3genE5ELNS1_11target_archE942ELNS1_3gpuE9ELNS1_3repE0EEENS1_36merge_oddeven_config_static_selectorELNS0_4arch9wavefront6targetE0EEEvSO_.uses_vcc, 0
	.set _ZN7rocprim17ROCPRIM_400000_NS6detail17trampoline_kernelINS0_14default_configENS1_38merge_sort_block_merge_config_selectorIjN6thrust23THRUST_200600_302600_NS5tupleIffNS6_9null_typeES8_S8_S8_S8_S8_S8_S8_EEEEZZNS1_27merge_sort_block_merge_implIS3_NS6_6detail15normal_iteratorINS6_10device_ptrIjEEEENSD_INSE_IS9_EEEEjNS1_19radix_merge_compareILb0ELb1EjNS0_19identity_decomposerEEEEE10hipError_tT0_T1_T2_jT3_P12ihipStream_tbPNSt15iterator_traitsISN_E10value_typeEPNST_ISO_E10value_typeEPSP_NS1_7vsmem_tEENKUlT_SN_SO_SP_E_clIPjSG_PS9_SI_EESM_S12_SN_SO_SP_EUlS12_E1_NS1_11comp_targetILNS1_3genE5ELNS1_11target_archE942ELNS1_3gpuE9ELNS1_3repE0EEENS1_36merge_oddeven_config_static_selectorELNS0_4arch9wavefront6targetE0EEEvSO_.uses_flat_scratch, 0
	.set _ZN7rocprim17ROCPRIM_400000_NS6detail17trampoline_kernelINS0_14default_configENS1_38merge_sort_block_merge_config_selectorIjN6thrust23THRUST_200600_302600_NS5tupleIffNS6_9null_typeES8_S8_S8_S8_S8_S8_S8_EEEEZZNS1_27merge_sort_block_merge_implIS3_NS6_6detail15normal_iteratorINS6_10device_ptrIjEEEENSD_INSE_IS9_EEEEjNS1_19radix_merge_compareILb0ELb1EjNS0_19identity_decomposerEEEEE10hipError_tT0_T1_T2_jT3_P12ihipStream_tbPNSt15iterator_traitsISN_E10value_typeEPNST_ISO_E10value_typeEPSP_NS1_7vsmem_tEENKUlT_SN_SO_SP_E_clIPjSG_PS9_SI_EESM_S12_SN_SO_SP_EUlS12_E1_NS1_11comp_targetILNS1_3genE5ELNS1_11target_archE942ELNS1_3gpuE9ELNS1_3repE0EEENS1_36merge_oddeven_config_static_selectorELNS0_4arch9wavefront6targetE0EEEvSO_.has_dyn_sized_stack, 0
	.set _ZN7rocprim17ROCPRIM_400000_NS6detail17trampoline_kernelINS0_14default_configENS1_38merge_sort_block_merge_config_selectorIjN6thrust23THRUST_200600_302600_NS5tupleIffNS6_9null_typeES8_S8_S8_S8_S8_S8_S8_EEEEZZNS1_27merge_sort_block_merge_implIS3_NS6_6detail15normal_iteratorINS6_10device_ptrIjEEEENSD_INSE_IS9_EEEEjNS1_19radix_merge_compareILb0ELb1EjNS0_19identity_decomposerEEEEE10hipError_tT0_T1_T2_jT3_P12ihipStream_tbPNSt15iterator_traitsISN_E10value_typeEPNST_ISO_E10value_typeEPSP_NS1_7vsmem_tEENKUlT_SN_SO_SP_E_clIPjSG_PS9_SI_EESM_S12_SN_SO_SP_EUlS12_E1_NS1_11comp_targetILNS1_3genE5ELNS1_11target_archE942ELNS1_3gpuE9ELNS1_3repE0EEENS1_36merge_oddeven_config_static_selectorELNS0_4arch9wavefront6targetE0EEEvSO_.has_recursion, 0
	.set _ZN7rocprim17ROCPRIM_400000_NS6detail17trampoline_kernelINS0_14default_configENS1_38merge_sort_block_merge_config_selectorIjN6thrust23THRUST_200600_302600_NS5tupleIffNS6_9null_typeES8_S8_S8_S8_S8_S8_S8_EEEEZZNS1_27merge_sort_block_merge_implIS3_NS6_6detail15normal_iteratorINS6_10device_ptrIjEEEENSD_INSE_IS9_EEEEjNS1_19radix_merge_compareILb0ELb1EjNS0_19identity_decomposerEEEEE10hipError_tT0_T1_T2_jT3_P12ihipStream_tbPNSt15iterator_traitsISN_E10value_typeEPNST_ISO_E10value_typeEPSP_NS1_7vsmem_tEENKUlT_SN_SO_SP_E_clIPjSG_PS9_SI_EESM_S12_SN_SO_SP_EUlS12_E1_NS1_11comp_targetILNS1_3genE5ELNS1_11target_archE942ELNS1_3gpuE9ELNS1_3repE0EEENS1_36merge_oddeven_config_static_selectorELNS0_4arch9wavefront6targetE0EEEvSO_.has_indirect_call, 0
	.section	.AMDGPU.csdata,"",@progbits
; Kernel info:
; codeLenInByte = 0
; TotalNumSgprs: 0
; NumVgprs: 0
; ScratchSize: 0
; MemoryBound: 0
; FloatMode: 240
; IeeeMode: 1
; LDSByteSize: 0 bytes/workgroup (compile time only)
; SGPRBlocks: 0
; VGPRBlocks: 0
; NumSGPRsForWavesPerEU: 1
; NumVGPRsForWavesPerEU: 1
; NamedBarCnt: 0
; Occupancy: 16
; WaveLimiterHint : 0
; COMPUTE_PGM_RSRC2:SCRATCH_EN: 0
; COMPUTE_PGM_RSRC2:USER_SGPR: 2
; COMPUTE_PGM_RSRC2:TRAP_HANDLER: 0
; COMPUTE_PGM_RSRC2:TGID_X_EN: 1
; COMPUTE_PGM_RSRC2:TGID_Y_EN: 0
; COMPUTE_PGM_RSRC2:TGID_Z_EN: 0
; COMPUTE_PGM_RSRC2:TIDIG_COMP_CNT: 0
	.section	.text._ZN7rocprim17ROCPRIM_400000_NS6detail17trampoline_kernelINS0_14default_configENS1_38merge_sort_block_merge_config_selectorIjN6thrust23THRUST_200600_302600_NS5tupleIffNS6_9null_typeES8_S8_S8_S8_S8_S8_S8_EEEEZZNS1_27merge_sort_block_merge_implIS3_NS6_6detail15normal_iteratorINS6_10device_ptrIjEEEENSD_INSE_IS9_EEEEjNS1_19radix_merge_compareILb0ELb1EjNS0_19identity_decomposerEEEEE10hipError_tT0_T1_T2_jT3_P12ihipStream_tbPNSt15iterator_traitsISN_E10value_typeEPNST_ISO_E10value_typeEPSP_NS1_7vsmem_tEENKUlT_SN_SO_SP_E_clIPjSG_PS9_SI_EESM_S12_SN_SO_SP_EUlS12_E1_NS1_11comp_targetILNS1_3genE4ELNS1_11target_archE910ELNS1_3gpuE8ELNS1_3repE0EEENS1_36merge_oddeven_config_static_selectorELNS0_4arch9wavefront6targetE0EEEvSO_,"axG",@progbits,_ZN7rocprim17ROCPRIM_400000_NS6detail17trampoline_kernelINS0_14default_configENS1_38merge_sort_block_merge_config_selectorIjN6thrust23THRUST_200600_302600_NS5tupleIffNS6_9null_typeES8_S8_S8_S8_S8_S8_S8_EEEEZZNS1_27merge_sort_block_merge_implIS3_NS6_6detail15normal_iteratorINS6_10device_ptrIjEEEENSD_INSE_IS9_EEEEjNS1_19radix_merge_compareILb0ELb1EjNS0_19identity_decomposerEEEEE10hipError_tT0_T1_T2_jT3_P12ihipStream_tbPNSt15iterator_traitsISN_E10value_typeEPNST_ISO_E10value_typeEPSP_NS1_7vsmem_tEENKUlT_SN_SO_SP_E_clIPjSG_PS9_SI_EESM_S12_SN_SO_SP_EUlS12_E1_NS1_11comp_targetILNS1_3genE4ELNS1_11target_archE910ELNS1_3gpuE8ELNS1_3repE0EEENS1_36merge_oddeven_config_static_selectorELNS0_4arch9wavefront6targetE0EEEvSO_,comdat
	.protected	_ZN7rocprim17ROCPRIM_400000_NS6detail17trampoline_kernelINS0_14default_configENS1_38merge_sort_block_merge_config_selectorIjN6thrust23THRUST_200600_302600_NS5tupleIffNS6_9null_typeES8_S8_S8_S8_S8_S8_S8_EEEEZZNS1_27merge_sort_block_merge_implIS3_NS6_6detail15normal_iteratorINS6_10device_ptrIjEEEENSD_INSE_IS9_EEEEjNS1_19radix_merge_compareILb0ELb1EjNS0_19identity_decomposerEEEEE10hipError_tT0_T1_T2_jT3_P12ihipStream_tbPNSt15iterator_traitsISN_E10value_typeEPNST_ISO_E10value_typeEPSP_NS1_7vsmem_tEENKUlT_SN_SO_SP_E_clIPjSG_PS9_SI_EESM_S12_SN_SO_SP_EUlS12_E1_NS1_11comp_targetILNS1_3genE4ELNS1_11target_archE910ELNS1_3gpuE8ELNS1_3repE0EEENS1_36merge_oddeven_config_static_selectorELNS0_4arch9wavefront6targetE0EEEvSO_ ; -- Begin function _ZN7rocprim17ROCPRIM_400000_NS6detail17trampoline_kernelINS0_14default_configENS1_38merge_sort_block_merge_config_selectorIjN6thrust23THRUST_200600_302600_NS5tupleIffNS6_9null_typeES8_S8_S8_S8_S8_S8_S8_EEEEZZNS1_27merge_sort_block_merge_implIS3_NS6_6detail15normal_iteratorINS6_10device_ptrIjEEEENSD_INSE_IS9_EEEEjNS1_19radix_merge_compareILb0ELb1EjNS0_19identity_decomposerEEEEE10hipError_tT0_T1_T2_jT3_P12ihipStream_tbPNSt15iterator_traitsISN_E10value_typeEPNST_ISO_E10value_typeEPSP_NS1_7vsmem_tEENKUlT_SN_SO_SP_E_clIPjSG_PS9_SI_EESM_S12_SN_SO_SP_EUlS12_E1_NS1_11comp_targetILNS1_3genE4ELNS1_11target_archE910ELNS1_3gpuE8ELNS1_3repE0EEENS1_36merge_oddeven_config_static_selectorELNS0_4arch9wavefront6targetE0EEEvSO_
	.globl	_ZN7rocprim17ROCPRIM_400000_NS6detail17trampoline_kernelINS0_14default_configENS1_38merge_sort_block_merge_config_selectorIjN6thrust23THRUST_200600_302600_NS5tupleIffNS6_9null_typeES8_S8_S8_S8_S8_S8_S8_EEEEZZNS1_27merge_sort_block_merge_implIS3_NS6_6detail15normal_iteratorINS6_10device_ptrIjEEEENSD_INSE_IS9_EEEEjNS1_19radix_merge_compareILb0ELb1EjNS0_19identity_decomposerEEEEE10hipError_tT0_T1_T2_jT3_P12ihipStream_tbPNSt15iterator_traitsISN_E10value_typeEPNST_ISO_E10value_typeEPSP_NS1_7vsmem_tEENKUlT_SN_SO_SP_E_clIPjSG_PS9_SI_EESM_S12_SN_SO_SP_EUlS12_E1_NS1_11comp_targetILNS1_3genE4ELNS1_11target_archE910ELNS1_3gpuE8ELNS1_3repE0EEENS1_36merge_oddeven_config_static_selectorELNS0_4arch9wavefront6targetE0EEEvSO_
	.p2align	8
	.type	_ZN7rocprim17ROCPRIM_400000_NS6detail17trampoline_kernelINS0_14default_configENS1_38merge_sort_block_merge_config_selectorIjN6thrust23THRUST_200600_302600_NS5tupleIffNS6_9null_typeES8_S8_S8_S8_S8_S8_S8_EEEEZZNS1_27merge_sort_block_merge_implIS3_NS6_6detail15normal_iteratorINS6_10device_ptrIjEEEENSD_INSE_IS9_EEEEjNS1_19radix_merge_compareILb0ELb1EjNS0_19identity_decomposerEEEEE10hipError_tT0_T1_T2_jT3_P12ihipStream_tbPNSt15iterator_traitsISN_E10value_typeEPNST_ISO_E10value_typeEPSP_NS1_7vsmem_tEENKUlT_SN_SO_SP_E_clIPjSG_PS9_SI_EESM_S12_SN_SO_SP_EUlS12_E1_NS1_11comp_targetILNS1_3genE4ELNS1_11target_archE910ELNS1_3gpuE8ELNS1_3repE0EEENS1_36merge_oddeven_config_static_selectorELNS0_4arch9wavefront6targetE0EEEvSO_,@function
_ZN7rocprim17ROCPRIM_400000_NS6detail17trampoline_kernelINS0_14default_configENS1_38merge_sort_block_merge_config_selectorIjN6thrust23THRUST_200600_302600_NS5tupleIffNS6_9null_typeES8_S8_S8_S8_S8_S8_S8_EEEEZZNS1_27merge_sort_block_merge_implIS3_NS6_6detail15normal_iteratorINS6_10device_ptrIjEEEENSD_INSE_IS9_EEEEjNS1_19radix_merge_compareILb0ELb1EjNS0_19identity_decomposerEEEEE10hipError_tT0_T1_T2_jT3_P12ihipStream_tbPNSt15iterator_traitsISN_E10value_typeEPNST_ISO_E10value_typeEPSP_NS1_7vsmem_tEENKUlT_SN_SO_SP_E_clIPjSG_PS9_SI_EESM_S12_SN_SO_SP_EUlS12_E1_NS1_11comp_targetILNS1_3genE4ELNS1_11target_archE910ELNS1_3gpuE8ELNS1_3repE0EEENS1_36merge_oddeven_config_static_selectorELNS0_4arch9wavefront6targetE0EEEvSO_: ; @_ZN7rocprim17ROCPRIM_400000_NS6detail17trampoline_kernelINS0_14default_configENS1_38merge_sort_block_merge_config_selectorIjN6thrust23THRUST_200600_302600_NS5tupleIffNS6_9null_typeES8_S8_S8_S8_S8_S8_S8_EEEEZZNS1_27merge_sort_block_merge_implIS3_NS6_6detail15normal_iteratorINS6_10device_ptrIjEEEENSD_INSE_IS9_EEEEjNS1_19radix_merge_compareILb0ELb1EjNS0_19identity_decomposerEEEEE10hipError_tT0_T1_T2_jT3_P12ihipStream_tbPNSt15iterator_traitsISN_E10value_typeEPNST_ISO_E10value_typeEPSP_NS1_7vsmem_tEENKUlT_SN_SO_SP_E_clIPjSG_PS9_SI_EESM_S12_SN_SO_SP_EUlS12_E1_NS1_11comp_targetILNS1_3genE4ELNS1_11target_archE910ELNS1_3gpuE8ELNS1_3repE0EEENS1_36merge_oddeven_config_static_selectorELNS0_4arch9wavefront6targetE0EEEvSO_
; %bb.0:
	.section	.rodata,"a",@progbits
	.p2align	6, 0x0
	.amdhsa_kernel _ZN7rocprim17ROCPRIM_400000_NS6detail17trampoline_kernelINS0_14default_configENS1_38merge_sort_block_merge_config_selectorIjN6thrust23THRUST_200600_302600_NS5tupleIffNS6_9null_typeES8_S8_S8_S8_S8_S8_S8_EEEEZZNS1_27merge_sort_block_merge_implIS3_NS6_6detail15normal_iteratorINS6_10device_ptrIjEEEENSD_INSE_IS9_EEEEjNS1_19radix_merge_compareILb0ELb1EjNS0_19identity_decomposerEEEEE10hipError_tT0_T1_T2_jT3_P12ihipStream_tbPNSt15iterator_traitsISN_E10value_typeEPNST_ISO_E10value_typeEPSP_NS1_7vsmem_tEENKUlT_SN_SO_SP_E_clIPjSG_PS9_SI_EESM_S12_SN_SO_SP_EUlS12_E1_NS1_11comp_targetILNS1_3genE4ELNS1_11target_archE910ELNS1_3gpuE8ELNS1_3repE0EEENS1_36merge_oddeven_config_static_selectorELNS0_4arch9wavefront6targetE0EEEvSO_
		.amdhsa_group_segment_fixed_size 0
		.amdhsa_private_segment_fixed_size 0
		.amdhsa_kernarg_size 48
		.amdhsa_user_sgpr_count 2
		.amdhsa_user_sgpr_dispatch_ptr 0
		.amdhsa_user_sgpr_queue_ptr 0
		.amdhsa_user_sgpr_kernarg_segment_ptr 1
		.amdhsa_user_sgpr_dispatch_id 0
		.amdhsa_user_sgpr_kernarg_preload_length 0
		.amdhsa_user_sgpr_kernarg_preload_offset 0
		.amdhsa_user_sgpr_private_segment_size 0
		.amdhsa_wavefront_size32 1
		.amdhsa_uses_dynamic_stack 0
		.amdhsa_enable_private_segment 0
		.amdhsa_system_sgpr_workgroup_id_x 1
		.amdhsa_system_sgpr_workgroup_id_y 0
		.amdhsa_system_sgpr_workgroup_id_z 0
		.amdhsa_system_sgpr_workgroup_info 0
		.amdhsa_system_vgpr_workitem_id 0
		.amdhsa_next_free_vgpr 1
		.amdhsa_next_free_sgpr 1
		.amdhsa_named_barrier_count 0
		.amdhsa_reserve_vcc 0
		.amdhsa_float_round_mode_32 0
		.amdhsa_float_round_mode_16_64 0
		.amdhsa_float_denorm_mode_32 3
		.amdhsa_float_denorm_mode_16_64 3
		.amdhsa_fp16_overflow 0
		.amdhsa_memory_ordered 1
		.amdhsa_forward_progress 1
		.amdhsa_inst_pref_size 0
		.amdhsa_round_robin_scheduling 0
		.amdhsa_exception_fp_ieee_invalid_op 0
		.amdhsa_exception_fp_denorm_src 0
		.amdhsa_exception_fp_ieee_div_zero 0
		.amdhsa_exception_fp_ieee_overflow 0
		.amdhsa_exception_fp_ieee_underflow 0
		.amdhsa_exception_fp_ieee_inexact 0
		.amdhsa_exception_int_div_zero 0
	.end_amdhsa_kernel
	.section	.text._ZN7rocprim17ROCPRIM_400000_NS6detail17trampoline_kernelINS0_14default_configENS1_38merge_sort_block_merge_config_selectorIjN6thrust23THRUST_200600_302600_NS5tupleIffNS6_9null_typeES8_S8_S8_S8_S8_S8_S8_EEEEZZNS1_27merge_sort_block_merge_implIS3_NS6_6detail15normal_iteratorINS6_10device_ptrIjEEEENSD_INSE_IS9_EEEEjNS1_19radix_merge_compareILb0ELb1EjNS0_19identity_decomposerEEEEE10hipError_tT0_T1_T2_jT3_P12ihipStream_tbPNSt15iterator_traitsISN_E10value_typeEPNST_ISO_E10value_typeEPSP_NS1_7vsmem_tEENKUlT_SN_SO_SP_E_clIPjSG_PS9_SI_EESM_S12_SN_SO_SP_EUlS12_E1_NS1_11comp_targetILNS1_3genE4ELNS1_11target_archE910ELNS1_3gpuE8ELNS1_3repE0EEENS1_36merge_oddeven_config_static_selectorELNS0_4arch9wavefront6targetE0EEEvSO_,"axG",@progbits,_ZN7rocprim17ROCPRIM_400000_NS6detail17trampoline_kernelINS0_14default_configENS1_38merge_sort_block_merge_config_selectorIjN6thrust23THRUST_200600_302600_NS5tupleIffNS6_9null_typeES8_S8_S8_S8_S8_S8_S8_EEEEZZNS1_27merge_sort_block_merge_implIS3_NS6_6detail15normal_iteratorINS6_10device_ptrIjEEEENSD_INSE_IS9_EEEEjNS1_19radix_merge_compareILb0ELb1EjNS0_19identity_decomposerEEEEE10hipError_tT0_T1_T2_jT3_P12ihipStream_tbPNSt15iterator_traitsISN_E10value_typeEPNST_ISO_E10value_typeEPSP_NS1_7vsmem_tEENKUlT_SN_SO_SP_E_clIPjSG_PS9_SI_EESM_S12_SN_SO_SP_EUlS12_E1_NS1_11comp_targetILNS1_3genE4ELNS1_11target_archE910ELNS1_3gpuE8ELNS1_3repE0EEENS1_36merge_oddeven_config_static_selectorELNS0_4arch9wavefront6targetE0EEEvSO_,comdat
.Lfunc_end110:
	.size	_ZN7rocprim17ROCPRIM_400000_NS6detail17trampoline_kernelINS0_14default_configENS1_38merge_sort_block_merge_config_selectorIjN6thrust23THRUST_200600_302600_NS5tupleIffNS6_9null_typeES8_S8_S8_S8_S8_S8_S8_EEEEZZNS1_27merge_sort_block_merge_implIS3_NS6_6detail15normal_iteratorINS6_10device_ptrIjEEEENSD_INSE_IS9_EEEEjNS1_19radix_merge_compareILb0ELb1EjNS0_19identity_decomposerEEEEE10hipError_tT0_T1_T2_jT3_P12ihipStream_tbPNSt15iterator_traitsISN_E10value_typeEPNST_ISO_E10value_typeEPSP_NS1_7vsmem_tEENKUlT_SN_SO_SP_E_clIPjSG_PS9_SI_EESM_S12_SN_SO_SP_EUlS12_E1_NS1_11comp_targetILNS1_3genE4ELNS1_11target_archE910ELNS1_3gpuE8ELNS1_3repE0EEENS1_36merge_oddeven_config_static_selectorELNS0_4arch9wavefront6targetE0EEEvSO_, .Lfunc_end110-_ZN7rocprim17ROCPRIM_400000_NS6detail17trampoline_kernelINS0_14default_configENS1_38merge_sort_block_merge_config_selectorIjN6thrust23THRUST_200600_302600_NS5tupleIffNS6_9null_typeES8_S8_S8_S8_S8_S8_S8_EEEEZZNS1_27merge_sort_block_merge_implIS3_NS6_6detail15normal_iteratorINS6_10device_ptrIjEEEENSD_INSE_IS9_EEEEjNS1_19radix_merge_compareILb0ELb1EjNS0_19identity_decomposerEEEEE10hipError_tT0_T1_T2_jT3_P12ihipStream_tbPNSt15iterator_traitsISN_E10value_typeEPNST_ISO_E10value_typeEPSP_NS1_7vsmem_tEENKUlT_SN_SO_SP_E_clIPjSG_PS9_SI_EESM_S12_SN_SO_SP_EUlS12_E1_NS1_11comp_targetILNS1_3genE4ELNS1_11target_archE910ELNS1_3gpuE8ELNS1_3repE0EEENS1_36merge_oddeven_config_static_selectorELNS0_4arch9wavefront6targetE0EEEvSO_
                                        ; -- End function
	.set _ZN7rocprim17ROCPRIM_400000_NS6detail17trampoline_kernelINS0_14default_configENS1_38merge_sort_block_merge_config_selectorIjN6thrust23THRUST_200600_302600_NS5tupleIffNS6_9null_typeES8_S8_S8_S8_S8_S8_S8_EEEEZZNS1_27merge_sort_block_merge_implIS3_NS6_6detail15normal_iteratorINS6_10device_ptrIjEEEENSD_INSE_IS9_EEEEjNS1_19radix_merge_compareILb0ELb1EjNS0_19identity_decomposerEEEEE10hipError_tT0_T1_T2_jT3_P12ihipStream_tbPNSt15iterator_traitsISN_E10value_typeEPNST_ISO_E10value_typeEPSP_NS1_7vsmem_tEENKUlT_SN_SO_SP_E_clIPjSG_PS9_SI_EESM_S12_SN_SO_SP_EUlS12_E1_NS1_11comp_targetILNS1_3genE4ELNS1_11target_archE910ELNS1_3gpuE8ELNS1_3repE0EEENS1_36merge_oddeven_config_static_selectorELNS0_4arch9wavefront6targetE0EEEvSO_.num_vgpr, 0
	.set _ZN7rocprim17ROCPRIM_400000_NS6detail17trampoline_kernelINS0_14default_configENS1_38merge_sort_block_merge_config_selectorIjN6thrust23THRUST_200600_302600_NS5tupleIffNS6_9null_typeES8_S8_S8_S8_S8_S8_S8_EEEEZZNS1_27merge_sort_block_merge_implIS3_NS6_6detail15normal_iteratorINS6_10device_ptrIjEEEENSD_INSE_IS9_EEEEjNS1_19radix_merge_compareILb0ELb1EjNS0_19identity_decomposerEEEEE10hipError_tT0_T1_T2_jT3_P12ihipStream_tbPNSt15iterator_traitsISN_E10value_typeEPNST_ISO_E10value_typeEPSP_NS1_7vsmem_tEENKUlT_SN_SO_SP_E_clIPjSG_PS9_SI_EESM_S12_SN_SO_SP_EUlS12_E1_NS1_11comp_targetILNS1_3genE4ELNS1_11target_archE910ELNS1_3gpuE8ELNS1_3repE0EEENS1_36merge_oddeven_config_static_selectorELNS0_4arch9wavefront6targetE0EEEvSO_.num_agpr, 0
	.set _ZN7rocprim17ROCPRIM_400000_NS6detail17trampoline_kernelINS0_14default_configENS1_38merge_sort_block_merge_config_selectorIjN6thrust23THRUST_200600_302600_NS5tupleIffNS6_9null_typeES8_S8_S8_S8_S8_S8_S8_EEEEZZNS1_27merge_sort_block_merge_implIS3_NS6_6detail15normal_iteratorINS6_10device_ptrIjEEEENSD_INSE_IS9_EEEEjNS1_19radix_merge_compareILb0ELb1EjNS0_19identity_decomposerEEEEE10hipError_tT0_T1_T2_jT3_P12ihipStream_tbPNSt15iterator_traitsISN_E10value_typeEPNST_ISO_E10value_typeEPSP_NS1_7vsmem_tEENKUlT_SN_SO_SP_E_clIPjSG_PS9_SI_EESM_S12_SN_SO_SP_EUlS12_E1_NS1_11comp_targetILNS1_3genE4ELNS1_11target_archE910ELNS1_3gpuE8ELNS1_3repE0EEENS1_36merge_oddeven_config_static_selectorELNS0_4arch9wavefront6targetE0EEEvSO_.numbered_sgpr, 0
	.set _ZN7rocprim17ROCPRIM_400000_NS6detail17trampoline_kernelINS0_14default_configENS1_38merge_sort_block_merge_config_selectorIjN6thrust23THRUST_200600_302600_NS5tupleIffNS6_9null_typeES8_S8_S8_S8_S8_S8_S8_EEEEZZNS1_27merge_sort_block_merge_implIS3_NS6_6detail15normal_iteratorINS6_10device_ptrIjEEEENSD_INSE_IS9_EEEEjNS1_19radix_merge_compareILb0ELb1EjNS0_19identity_decomposerEEEEE10hipError_tT0_T1_T2_jT3_P12ihipStream_tbPNSt15iterator_traitsISN_E10value_typeEPNST_ISO_E10value_typeEPSP_NS1_7vsmem_tEENKUlT_SN_SO_SP_E_clIPjSG_PS9_SI_EESM_S12_SN_SO_SP_EUlS12_E1_NS1_11comp_targetILNS1_3genE4ELNS1_11target_archE910ELNS1_3gpuE8ELNS1_3repE0EEENS1_36merge_oddeven_config_static_selectorELNS0_4arch9wavefront6targetE0EEEvSO_.num_named_barrier, 0
	.set _ZN7rocprim17ROCPRIM_400000_NS6detail17trampoline_kernelINS0_14default_configENS1_38merge_sort_block_merge_config_selectorIjN6thrust23THRUST_200600_302600_NS5tupleIffNS6_9null_typeES8_S8_S8_S8_S8_S8_S8_EEEEZZNS1_27merge_sort_block_merge_implIS3_NS6_6detail15normal_iteratorINS6_10device_ptrIjEEEENSD_INSE_IS9_EEEEjNS1_19radix_merge_compareILb0ELb1EjNS0_19identity_decomposerEEEEE10hipError_tT0_T1_T2_jT3_P12ihipStream_tbPNSt15iterator_traitsISN_E10value_typeEPNST_ISO_E10value_typeEPSP_NS1_7vsmem_tEENKUlT_SN_SO_SP_E_clIPjSG_PS9_SI_EESM_S12_SN_SO_SP_EUlS12_E1_NS1_11comp_targetILNS1_3genE4ELNS1_11target_archE910ELNS1_3gpuE8ELNS1_3repE0EEENS1_36merge_oddeven_config_static_selectorELNS0_4arch9wavefront6targetE0EEEvSO_.private_seg_size, 0
	.set _ZN7rocprim17ROCPRIM_400000_NS6detail17trampoline_kernelINS0_14default_configENS1_38merge_sort_block_merge_config_selectorIjN6thrust23THRUST_200600_302600_NS5tupleIffNS6_9null_typeES8_S8_S8_S8_S8_S8_S8_EEEEZZNS1_27merge_sort_block_merge_implIS3_NS6_6detail15normal_iteratorINS6_10device_ptrIjEEEENSD_INSE_IS9_EEEEjNS1_19radix_merge_compareILb0ELb1EjNS0_19identity_decomposerEEEEE10hipError_tT0_T1_T2_jT3_P12ihipStream_tbPNSt15iterator_traitsISN_E10value_typeEPNST_ISO_E10value_typeEPSP_NS1_7vsmem_tEENKUlT_SN_SO_SP_E_clIPjSG_PS9_SI_EESM_S12_SN_SO_SP_EUlS12_E1_NS1_11comp_targetILNS1_3genE4ELNS1_11target_archE910ELNS1_3gpuE8ELNS1_3repE0EEENS1_36merge_oddeven_config_static_selectorELNS0_4arch9wavefront6targetE0EEEvSO_.uses_vcc, 0
	.set _ZN7rocprim17ROCPRIM_400000_NS6detail17trampoline_kernelINS0_14default_configENS1_38merge_sort_block_merge_config_selectorIjN6thrust23THRUST_200600_302600_NS5tupleIffNS6_9null_typeES8_S8_S8_S8_S8_S8_S8_EEEEZZNS1_27merge_sort_block_merge_implIS3_NS6_6detail15normal_iteratorINS6_10device_ptrIjEEEENSD_INSE_IS9_EEEEjNS1_19radix_merge_compareILb0ELb1EjNS0_19identity_decomposerEEEEE10hipError_tT0_T1_T2_jT3_P12ihipStream_tbPNSt15iterator_traitsISN_E10value_typeEPNST_ISO_E10value_typeEPSP_NS1_7vsmem_tEENKUlT_SN_SO_SP_E_clIPjSG_PS9_SI_EESM_S12_SN_SO_SP_EUlS12_E1_NS1_11comp_targetILNS1_3genE4ELNS1_11target_archE910ELNS1_3gpuE8ELNS1_3repE0EEENS1_36merge_oddeven_config_static_selectorELNS0_4arch9wavefront6targetE0EEEvSO_.uses_flat_scratch, 0
	.set _ZN7rocprim17ROCPRIM_400000_NS6detail17trampoline_kernelINS0_14default_configENS1_38merge_sort_block_merge_config_selectorIjN6thrust23THRUST_200600_302600_NS5tupleIffNS6_9null_typeES8_S8_S8_S8_S8_S8_S8_EEEEZZNS1_27merge_sort_block_merge_implIS3_NS6_6detail15normal_iteratorINS6_10device_ptrIjEEEENSD_INSE_IS9_EEEEjNS1_19radix_merge_compareILb0ELb1EjNS0_19identity_decomposerEEEEE10hipError_tT0_T1_T2_jT3_P12ihipStream_tbPNSt15iterator_traitsISN_E10value_typeEPNST_ISO_E10value_typeEPSP_NS1_7vsmem_tEENKUlT_SN_SO_SP_E_clIPjSG_PS9_SI_EESM_S12_SN_SO_SP_EUlS12_E1_NS1_11comp_targetILNS1_3genE4ELNS1_11target_archE910ELNS1_3gpuE8ELNS1_3repE0EEENS1_36merge_oddeven_config_static_selectorELNS0_4arch9wavefront6targetE0EEEvSO_.has_dyn_sized_stack, 0
	.set _ZN7rocprim17ROCPRIM_400000_NS6detail17trampoline_kernelINS0_14default_configENS1_38merge_sort_block_merge_config_selectorIjN6thrust23THRUST_200600_302600_NS5tupleIffNS6_9null_typeES8_S8_S8_S8_S8_S8_S8_EEEEZZNS1_27merge_sort_block_merge_implIS3_NS6_6detail15normal_iteratorINS6_10device_ptrIjEEEENSD_INSE_IS9_EEEEjNS1_19radix_merge_compareILb0ELb1EjNS0_19identity_decomposerEEEEE10hipError_tT0_T1_T2_jT3_P12ihipStream_tbPNSt15iterator_traitsISN_E10value_typeEPNST_ISO_E10value_typeEPSP_NS1_7vsmem_tEENKUlT_SN_SO_SP_E_clIPjSG_PS9_SI_EESM_S12_SN_SO_SP_EUlS12_E1_NS1_11comp_targetILNS1_3genE4ELNS1_11target_archE910ELNS1_3gpuE8ELNS1_3repE0EEENS1_36merge_oddeven_config_static_selectorELNS0_4arch9wavefront6targetE0EEEvSO_.has_recursion, 0
	.set _ZN7rocprim17ROCPRIM_400000_NS6detail17trampoline_kernelINS0_14default_configENS1_38merge_sort_block_merge_config_selectorIjN6thrust23THRUST_200600_302600_NS5tupleIffNS6_9null_typeES8_S8_S8_S8_S8_S8_S8_EEEEZZNS1_27merge_sort_block_merge_implIS3_NS6_6detail15normal_iteratorINS6_10device_ptrIjEEEENSD_INSE_IS9_EEEEjNS1_19radix_merge_compareILb0ELb1EjNS0_19identity_decomposerEEEEE10hipError_tT0_T1_T2_jT3_P12ihipStream_tbPNSt15iterator_traitsISN_E10value_typeEPNST_ISO_E10value_typeEPSP_NS1_7vsmem_tEENKUlT_SN_SO_SP_E_clIPjSG_PS9_SI_EESM_S12_SN_SO_SP_EUlS12_E1_NS1_11comp_targetILNS1_3genE4ELNS1_11target_archE910ELNS1_3gpuE8ELNS1_3repE0EEENS1_36merge_oddeven_config_static_selectorELNS0_4arch9wavefront6targetE0EEEvSO_.has_indirect_call, 0
	.section	.AMDGPU.csdata,"",@progbits
; Kernel info:
; codeLenInByte = 0
; TotalNumSgprs: 0
; NumVgprs: 0
; ScratchSize: 0
; MemoryBound: 0
; FloatMode: 240
; IeeeMode: 1
; LDSByteSize: 0 bytes/workgroup (compile time only)
; SGPRBlocks: 0
; VGPRBlocks: 0
; NumSGPRsForWavesPerEU: 1
; NumVGPRsForWavesPerEU: 1
; NamedBarCnt: 0
; Occupancy: 16
; WaveLimiterHint : 0
; COMPUTE_PGM_RSRC2:SCRATCH_EN: 0
; COMPUTE_PGM_RSRC2:USER_SGPR: 2
; COMPUTE_PGM_RSRC2:TRAP_HANDLER: 0
; COMPUTE_PGM_RSRC2:TGID_X_EN: 1
; COMPUTE_PGM_RSRC2:TGID_Y_EN: 0
; COMPUTE_PGM_RSRC2:TGID_Z_EN: 0
; COMPUTE_PGM_RSRC2:TIDIG_COMP_CNT: 0
	.section	.text._ZN7rocprim17ROCPRIM_400000_NS6detail17trampoline_kernelINS0_14default_configENS1_38merge_sort_block_merge_config_selectorIjN6thrust23THRUST_200600_302600_NS5tupleIffNS6_9null_typeES8_S8_S8_S8_S8_S8_S8_EEEEZZNS1_27merge_sort_block_merge_implIS3_NS6_6detail15normal_iteratorINS6_10device_ptrIjEEEENSD_INSE_IS9_EEEEjNS1_19radix_merge_compareILb0ELb1EjNS0_19identity_decomposerEEEEE10hipError_tT0_T1_T2_jT3_P12ihipStream_tbPNSt15iterator_traitsISN_E10value_typeEPNST_ISO_E10value_typeEPSP_NS1_7vsmem_tEENKUlT_SN_SO_SP_E_clIPjSG_PS9_SI_EESM_S12_SN_SO_SP_EUlS12_E1_NS1_11comp_targetILNS1_3genE3ELNS1_11target_archE908ELNS1_3gpuE7ELNS1_3repE0EEENS1_36merge_oddeven_config_static_selectorELNS0_4arch9wavefront6targetE0EEEvSO_,"axG",@progbits,_ZN7rocprim17ROCPRIM_400000_NS6detail17trampoline_kernelINS0_14default_configENS1_38merge_sort_block_merge_config_selectorIjN6thrust23THRUST_200600_302600_NS5tupleIffNS6_9null_typeES8_S8_S8_S8_S8_S8_S8_EEEEZZNS1_27merge_sort_block_merge_implIS3_NS6_6detail15normal_iteratorINS6_10device_ptrIjEEEENSD_INSE_IS9_EEEEjNS1_19radix_merge_compareILb0ELb1EjNS0_19identity_decomposerEEEEE10hipError_tT0_T1_T2_jT3_P12ihipStream_tbPNSt15iterator_traitsISN_E10value_typeEPNST_ISO_E10value_typeEPSP_NS1_7vsmem_tEENKUlT_SN_SO_SP_E_clIPjSG_PS9_SI_EESM_S12_SN_SO_SP_EUlS12_E1_NS1_11comp_targetILNS1_3genE3ELNS1_11target_archE908ELNS1_3gpuE7ELNS1_3repE0EEENS1_36merge_oddeven_config_static_selectorELNS0_4arch9wavefront6targetE0EEEvSO_,comdat
	.protected	_ZN7rocprim17ROCPRIM_400000_NS6detail17trampoline_kernelINS0_14default_configENS1_38merge_sort_block_merge_config_selectorIjN6thrust23THRUST_200600_302600_NS5tupleIffNS6_9null_typeES8_S8_S8_S8_S8_S8_S8_EEEEZZNS1_27merge_sort_block_merge_implIS3_NS6_6detail15normal_iteratorINS6_10device_ptrIjEEEENSD_INSE_IS9_EEEEjNS1_19radix_merge_compareILb0ELb1EjNS0_19identity_decomposerEEEEE10hipError_tT0_T1_T2_jT3_P12ihipStream_tbPNSt15iterator_traitsISN_E10value_typeEPNST_ISO_E10value_typeEPSP_NS1_7vsmem_tEENKUlT_SN_SO_SP_E_clIPjSG_PS9_SI_EESM_S12_SN_SO_SP_EUlS12_E1_NS1_11comp_targetILNS1_3genE3ELNS1_11target_archE908ELNS1_3gpuE7ELNS1_3repE0EEENS1_36merge_oddeven_config_static_selectorELNS0_4arch9wavefront6targetE0EEEvSO_ ; -- Begin function _ZN7rocprim17ROCPRIM_400000_NS6detail17trampoline_kernelINS0_14default_configENS1_38merge_sort_block_merge_config_selectorIjN6thrust23THRUST_200600_302600_NS5tupleIffNS6_9null_typeES8_S8_S8_S8_S8_S8_S8_EEEEZZNS1_27merge_sort_block_merge_implIS3_NS6_6detail15normal_iteratorINS6_10device_ptrIjEEEENSD_INSE_IS9_EEEEjNS1_19radix_merge_compareILb0ELb1EjNS0_19identity_decomposerEEEEE10hipError_tT0_T1_T2_jT3_P12ihipStream_tbPNSt15iterator_traitsISN_E10value_typeEPNST_ISO_E10value_typeEPSP_NS1_7vsmem_tEENKUlT_SN_SO_SP_E_clIPjSG_PS9_SI_EESM_S12_SN_SO_SP_EUlS12_E1_NS1_11comp_targetILNS1_3genE3ELNS1_11target_archE908ELNS1_3gpuE7ELNS1_3repE0EEENS1_36merge_oddeven_config_static_selectorELNS0_4arch9wavefront6targetE0EEEvSO_
	.globl	_ZN7rocprim17ROCPRIM_400000_NS6detail17trampoline_kernelINS0_14default_configENS1_38merge_sort_block_merge_config_selectorIjN6thrust23THRUST_200600_302600_NS5tupleIffNS6_9null_typeES8_S8_S8_S8_S8_S8_S8_EEEEZZNS1_27merge_sort_block_merge_implIS3_NS6_6detail15normal_iteratorINS6_10device_ptrIjEEEENSD_INSE_IS9_EEEEjNS1_19radix_merge_compareILb0ELb1EjNS0_19identity_decomposerEEEEE10hipError_tT0_T1_T2_jT3_P12ihipStream_tbPNSt15iterator_traitsISN_E10value_typeEPNST_ISO_E10value_typeEPSP_NS1_7vsmem_tEENKUlT_SN_SO_SP_E_clIPjSG_PS9_SI_EESM_S12_SN_SO_SP_EUlS12_E1_NS1_11comp_targetILNS1_3genE3ELNS1_11target_archE908ELNS1_3gpuE7ELNS1_3repE0EEENS1_36merge_oddeven_config_static_selectorELNS0_4arch9wavefront6targetE0EEEvSO_
	.p2align	8
	.type	_ZN7rocprim17ROCPRIM_400000_NS6detail17trampoline_kernelINS0_14default_configENS1_38merge_sort_block_merge_config_selectorIjN6thrust23THRUST_200600_302600_NS5tupleIffNS6_9null_typeES8_S8_S8_S8_S8_S8_S8_EEEEZZNS1_27merge_sort_block_merge_implIS3_NS6_6detail15normal_iteratorINS6_10device_ptrIjEEEENSD_INSE_IS9_EEEEjNS1_19radix_merge_compareILb0ELb1EjNS0_19identity_decomposerEEEEE10hipError_tT0_T1_T2_jT3_P12ihipStream_tbPNSt15iterator_traitsISN_E10value_typeEPNST_ISO_E10value_typeEPSP_NS1_7vsmem_tEENKUlT_SN_SO_SP_E_clIPjSG_PS9_SI_EESM_S12_SN_SO_SP_EUlS12_E1_NS1_11comp_targetILNS1_3genE3ELNS1_11target_archE908ELNS1_3gpuE7ELNS1_3repE0EEENS1_36merge_oddeven_config_static_selectorELNS0_4arch9wavefront6targetE0EEEvSO_,@function
_ZN7rocprim17ROCPRIM_400000_NS6detail17trampoline_kernelINS0_14default_configENS1_38merge_sort_block_merge_config_selectorIjN6thrust23THRUST_200600_302600_NS5tupleIffNS6_9null_typeES8_S8_S8_S8_S8_S8_S8_EEEEZZNS1_27merge_sort_block_merge_implIS3_NS6_6detail15normal_iteratorINS6_10device_ptrIjEEEENSD_INSE_IS9_EEEEjNS1_19radix_merge_compareILb0ELb1EjNS0_19identity_decomposerEEEEE10hipError_tT0_T1_T2_jT3_P12ihipStream_tbPNSt15iterator_traitsISN_E10value_typeEPNST_ISO_E10value_typeEPSP_NS1_7vsmem_tEENKUlT_SN_SO_SP_E_clIPjSG_PS9_SI_EESM_S12_SN_SO_SP_EUlS12_E1_NS1_11comp_targetILNS1_3genE3ELNS1_11target_archE908ELNS1_3gpuE7ELNS1_3repE0EEENS1_36merge_oddeven_config_static_selectorELNS0_4arch9wavefront6targetE0EEEvSO_: ; @_ZN7rocprim17ROCPRIM_400000_NS6detail17trampoline_kernelINS0_14default_configENS1_38merge_sort_block_merge_config_selectorIjN6thrust23THRUST_200600_302600_NS5tupleIffNS6_9null_typeES8_S8_S8_S8_S8_S8_S8_EEEEZZNS1_27merge_sort_block_merge_implIS3_NS6_6detail15normal_iteratorINS6_10device_ptrIjEEEENSD_INSE_IS9_EEEEjNS1_19radix_merge_compareILb0ELb1EjNS0_19identity_decomposerEEEEE10hipError_tT0_T1_T2_jT3_P12ihipStream_tbPNSt15iterator_traitsISN_E10value_typeEPNST_ISO_E10value_typeEPSP_NS1_7vsmem_tEENKUlT_SN_SO_SP_E_clIPjSG_PS9_SI_EESM_S12_SN_SO_SP_EUlS12_E1_NS1_11comp_targetILNS1_3genE3ELNS1_11target_archE908ELNS1_3gpuE7ELNS1_3repE0EEENS1_36merge_oddeven_config_static_selectorELNS0_4arch9wavefront6targetE0EEEvSO_
; %bb.0:
	.section	.rodata,"a",@progbits
	.p2align	6, 0x0
	.amdhsa_kernel _ZN7rocprim17ROCPRIM_400000_NS6detail17trampoline_kernelINS0_14default_configENS1_38merge_sort_block_merge_config_selectorIjN6thrust23THRUST_200600_302600_NS5tupleIffNS6_9null_typeES8_S8_S8_S8_S8_S8_S8_EEEEZZNS1_27merge_sort_block_merge_implIS3_NS6_6detail15normal_iteratorINS6_10device_ptrIjEEEENSD_INSE_IS9_EEEEjNS1_19radix_merge_compareILb0ELb1EjNS0_19identity_decomposerEEEEE10hipError_tT0_T1_T2_jT3_P12ihipStream_tbPNSt15iterator_traitsISN_E10value_typeEPNST_ISO_E10value_typeEPSP_NS1_7vsmem_tEENKUlT_SN_SO_SP_E_clIPjSG_PS9_SI_EESM_S12_SN_SO_SP_EUlS12_E1_NS1_11comp_targetILNS1_3genE3ELNS1_11target_archE908ELNS1_3gpuE7ELNS1_3repE0EEENS1_36merge_oddeven_config_static_selectorELNS0_4arch9wavefront6targetE0EEEvSO_
		.amdhsa_group_segment_fixed_size 0
		.amdhsa_private_segment_fixed_size 0
		.amdhsa_kernarg_size 48
		.amdhsa_user_sgpr_count 2
		.amdhsa_user_sgpr_dispatch_ptr 0
		.amdhsa_user_sgpr_queue_ptr 0
		.amdhsa_user_sgpr_kernarg_segment_ptr 1
		.amdhsa_user_sgpr_dispatch_id 0
		.amdhsa_user_sgpr_kernarg_preload_length 0
		.amdhsa_user_sgpr_kernarg_preload_offset 0
		.amdhsa_user_sgpr_private_segment_size 0
		.amdhsa_wavefront_size32 1
		.amdhsa_uses_dynamic_stack 0
		.amdhsa_enable_private_segment 0
		.amdhsa_system_sgpr_workgroup_id_x 1
		.amdhsa_system_sgpr_workgroup_id_y 0
		.amdhsa_system_sgpr_workgroup_id_z 0
		.amdhsa_system_sgpr_workgroup_info 0
		.amdhsa_system_vgpr_workitem_id 0
		.amdhsa_next_free_vgpr 1
		.amdhsa_next_free_sgpr 1
		.amdhsa_named_barrier_count 0
		.amdhsa_reserve_vcc 0
		.amdhsa_float_round_mode_32 0
		.amdhsa_float_round_mode_16_64 0
		.amdhsa_float_denorm_mode_32 3
		.amdhsa_float_denorm_mode_16_64 3
		.amdhsa_fp16_overflow 0
		.amdhsa_memory_ordered 1
		.amdhsa_forward_progress 1
		.amdhsa_inst_pref_size 0
		.amdhsa_round_robin_scheduling 0
		.amdhsa_exception_fp_ieee_invalid_op 0
		.amdhsa_exception_fp_denorm_src 0
		.amdhsa_exception_fp_ieee_div_zero 0
		.amdhsa_exception_fp_ieee_overflow 0
		.amdhsa_exception_fp_ieee_underflow 0
		.amdhsa_exception_fp_ieee_inexact 0
		.amdhsa_exception_int_div_zero 0
	.end_amdhsa_kernel
	.section	.text._ZN7rocprim17ROCPRIM_400000_NS6detail17trampoline_kernelINS0_14default_configENS1_38merge_sort_block_merge_config_selectorIjN6thrust23THRUST_200600_302600_NS5tupleIffNS6_9null_typeES8_S8_S8_S8_S8_S8_S8_EEEEZZNS1_27merge_sort_block_merge_implIS3_NS6_6detail15normal_iteratorINS6_10device_ptrIjEEEENSD_INSE_IS9_EEEEjNS1_19radix_merge_compareILb0ELb1EjNS0_19identity_decomposerEEEEE10hipError_tT0_T1_T2_jT3_P12ihipStream_tbPNSt15iterator_traitsISN_E10value_typeEPNST_ISO_E10value_typeEPSP_NS1_7vsmem_tEENKUlT_SN_SO_SP_E_clIPjSG_PS9_SI_EESM_S12_SN_SO_SP_EUlS12_E1_NS1_11comp_targetILNS1_3genE3ELNS1_11target_archE908ELNS1_3gpuE7ELNS1_3repE0EEENS1_36merge_oddeven_config_static_selectorELNS0_4arch9wavefront6targetE0EEEvSO_,"axG",@progbits,_ZN7rocprim17ROCPRIM_400000_NS6detail17trampoline_kernelINS0_14default_configENS1_38merge_sort_block_merge_config_selectorIjN6thrust23THRUST_200600_302600_NS5tupleIffNS6_9null_typeES8_S8_S8_S8_S8_S8_S8_EEEEZZNS1_27merge_sort_block_merge_implIS3_NS6_6detail15normal_iteratorINS6_10device_ptrIjEEEENSD_INSE_IS9_EEEEjNS1_19radix_merge_compareILb0ELb1EjNS0_19identity_decomposerEEEEE10hipError_tT0_T1_T2_jT3_P12ihipStream_tbPNSt15iterator_traitsISN_E10value_typeEPNST_ISO_E10value_typeEPSP_NS1_7vsmem_tEENKUlT_SN_SO_SP_E_clIPjSG_PS9_SI_EESM_S12_SN_SO_SP_EUlS12_E1_NS1_11comp_targetILNS1_3genE3ELNS1_11target_archE908ELNS1_3gpuE7ELNS1_3repE0EEENS1_36merge_oddeven_config_static_selectorELNS0_4arch9wavefront6targetE0EEEvSO_,comdat
.Lfunc_end111:
	.size	_ZN7rocprim17ROCPRIM_400000_NS6detail17trampoline_kernelINS0_14default_configENS1_38merge_sort_block_merge_config_selectorIjN6thrust23THRUST_200600_302600_NS5tupleIffNS6_9null_typeES8_S8_S8_S8_S8_S8_S8_EEEEZZNS1_27merge_sort_block_merge_implIS3_NS6_6detail15normal_iteratorINS6_10device_ptrIjEEEENSD_INSE_IS9_EEEEjNS1_19radix_merge_compareILb0ELb1EjNS0_19identity_decomposerEEEEE10hipError_tT0_T1_T2_jT3_P12ihipStream_tbPNSt15iterator_traitsISN_E10value_typeEPNST_ISO_E10value_typeEPSP_NS1_7vsmem_tEENKUlT_SN_SO_SP_E_clIPjSG_PS9_SI_EESM_S12_SN_SO_SP_EUlS12_E1_NS1_11comp_targetILNS1_3genE3ELNS1_11target_archE908ELNS1_3gpuE7ELNS1_3repE0EEENS1_36merge_oddeven_config_static_selectorELNS0_4arch9wavefront6targetE0EEEvSO_, .Lfunc_end111-_ZN7rocprim17ROCPRIM_400000_NS6detail17trampoline_kernelINS0_14default_configENS1_38merge_sort_block_merge_config_selectorIjN6thrust23THRUST_200600_302600_NS5tupleIffNS6_9null_typeES8_S8_S8_S8_S8_S8_S8_EEEEZZNS1_27merge_sort_block_merge_implIS3_NS6_6detail15normal_iteratorINS6_10device_ptrIjEEEENSD_INSE_IS9_EEEEjNS1_19radix_merge_compareILb0ELb1EjNS0_19identity_decomposerEEEEE10hipError_tT0_T1_T2_jT3_P12ihipStream_tbPNSt15iterator_traitsISN_E10value_typeEPNST_ISO_E10value_typeEPSP_NS1_7vsmem_tEENKUlT_SN_SO_SP_E_clIPjSG_PS9_SI_EESM_S12_SN_SO_SP_EUlS12_E1_NS1_11comp_targetILNS1_3genE3ELNS1_11target_archE908ELNS1_3gpuE7ELNS1_3repE0EEENS1_36merge_oddeven_config_static_selectorELNS0_4arch9wavefront6targetE0EEEvSO_
                                        ; -- End function
	.set _ZN7rocprim17ROCPRIM_400000_NS6detail17trampoline_kernelINS0_14default_configENS1_38merge_sort_block_merge_config_selectorIjN6thrust23THRUST_200600_302600_NS5tupleIffNS6_9null_typeES8_S8_S8_S8_S8_S8_S8_EEEEZZNS1_27merge_sort_block_merge_implIS3_NS6_6detail15normal_iteratorINS6_10device_ptrIjEEEENSD_INSE_IS9_EEEEjNS1_19radix_merge_compareILb0ELb1EjNS0_19identity_decomposerEEEEE10hipError_tT0_T1_T2_jT3_P12ihipStream_tbPNSt15iterator_traitsISN_E10value_typeEPNST_ISO_E10value_typeEPSP_NS1_7vsmem_tEENKUlT_SN_SO_SP_E_clIPjSG_PS9_SI_EESM_S12_SN_SO_SP_EUlS12_E1_NS1_11comp_targetILNS1_3genE3ELNS1_11target_archE908ELNS1_3gpuE7ELNS1_3repE0EEENS1_36merge_oddeven_config_static_selectorELNS0_4arch9wavefront6targetE0EEEvSO_.num_vgpr, 0
	.set _ZN7rocprim17ROCPRIM_400000_NS6detail17trampoline_kernelINS0_14default_configENS1_38merge_sort_block_merge_config_selectorIjN6thrust23THRUST_200600_302600_NS5tupleIffNS6_9null_typeES8_S8_S8_S8_S8_S8_S8_EEEEZZNS1_27merge_sort_block_merge_implIS3_NS6_6detail15normal_iteratorINS6_10device_ptrIjEEEENSD_INSE_IS9_EEEEjNS1_19radix_merge_compareILb0ELb1EjNS0_19identity_decomposerEEEEE10hipError_tT0_T1_T2_jT3_P12ihipStream_tbPNSt15iterator_traitsISN_E10value_typeEPNST_ISO_E10value_typeEPSP_NS1_7vsmem_tEENKUlT_SN_SO_SP_E_clIPjSG_PS9_SI_EESM_S12_SN_SO_SP_EUlS12_E1_NS1_11comp_targetILNS1_3genE3ELNS1_11target_archE908ELNS1_3gpuE7ELNS1_3repE0EEENS1_36merge_oddeven_config_static_selectorELNS0_4arch9wavefront6targetE0EEEvSO_.num_agpr, 0
	.set _ZN7rocprim17ROCPRIM_400000_NS6detail17trampoline_kernelINS0_14default_configENS1_38merge_sort_block_merge_config_selectorIjN6thrust23THRUST_200600_302600_NS5tupleIffNS6_9null_typeES8_S8_S8_S8_S8_S8_S8_EEEEZZNS1_27merge_sort_block_merge_implIS3_NS6_6detail15normal_iteratorINS6_10device_ptrIjEEEENSD_INSE_IS9_EEEEjNS1_19radix_merge_compareILb0ELb1EjNS0_19identity_decomposerEEEEE10hipError_tT0_T1_T2_jT3_P12ihipStream_tbPNSt15iterator_traitsISN_E10value_typeEPNST_ISO_E10value_typeEPSP_NS1_7vsmem_tEENKUlT_SN_SO_SP_E_clIPjSG_PS9_SI_EESM_S12_SN_SO_SP_EUlS12_E1_NS1_11comp_targetILNS1_3genE3ELNS1_11target_archE908ELNS1_3gpuE7ELNS1_3repE0EEENS1_36merge_oddeven_config_static_selectorELNS0_4arch9wavefront6targetE0EEEvSO_.numbered_sgpr, 0
	.set _ZN7rocprim17ROCPRIM_400000_NS6detail17trampoline_kernelINS0_14default_configENS1_38merge_sort_block_merge_config_selectorIjN6thrust23THRUST_200600_302600_NS5tupleIffNS6_9null_typeES8_S8_S8_S8_S8_S8_S8_EEEEZZNS1_27merge_sort_block_merge_implIS3_NS6_6detail15normal_iteratorINS6_10device_ptrIjEEEENSD_INSE_IS9_EEEEjNS1_19radix_merge_compareILb0ELb1EjNS0_19identity_decomposerEEEEE10hipError_tT0_T1_T2_jT3_P12ihipStream_tbPNSt15iterator_traitsISN_E10value_typeEPNST_ISO_E10value_typeEPSP_NS1_7vsmem_tEENKUlT_SN_SO_SP_E_clIPjSG_PS9_SI_EESM_S12_SN_SO_SP_EUlS12_E1_NS1_11comp_targetILNS1_3genE3ELNS1_11target_archE908ELNS1_3gpuE7ELNS1_3repE0EEENS1_36merge_oddeven_config_static_selectorELNS0_4arch9wavefront6targetE0EEEvSO_.num_named_barrier, 0
	.set _ZN7rocprim17ROCPRIM_400000_NS6detail17trampoline_kernelINS0_14default_configENS1_38merge_sort_block_merge_config_selectorIjN6thrust23THRUST_200600_302600_NS5tupleIffNS6_9null_typeES8_S8_S8_S8_S8_S8_S8_EEEEZZNS1_27merge_sort_block_merge_implIS3_NS6_6detail15normal_iteratorINS6_10device_ptrIjEEEENSD_INSE_IS9_EEEEjNS1_19radix_merge_compareILb0ELb1EjNS0_19identity_decomposerEEEEE10hipError_tT0_T1_T2_jT3_P12ihipStream_tbPNSt15iterator_traitsISN_E10value_typeEPNST_ISO_E10value_typeEPSP_NS1_7vsmem_tEENKUlT_SN_SO_SP_E_clIPjSG_PS9_SI_EESM_S12_SN_SO_SP_EUlS12_E1_NS1_11comp_targetILNS1_3genE3ELNS1_11target_archE908ELNS1_3gpuE7ELNS1_3repE0EEENS1_36merge_oddeven_config_static_selectorELNS0_4arch9wavefront6targetE0EEEvSO_.private_seg_size, 0
	.set _ZN7rocprim17ROCPRIM_400000_NS6detail17trampoline_kernelINS0_14default_configENS1_38merge_sort_block_merge_config_selectorIjN6thrust23THRUST_200600_302600_NS5tupleIffNS6_9null_typeES8_S8_S8_S8_S8_S8_S8_EEEEZZNS1_27merge_sort_block_merge_implIS3_NS6_6detail15normal_iteratorINS6_10device_ptrIjEEEENSD_INSE_IS9_EEEEjNS1_19radix_merge_compareILb0ELb1EjNS0_19identity_decomposerEEEEE10hipError_tT0_T1_T2_jT3_P12ihipStream_tbPNSt15iterator_traitsISN_E10value_typeEPNST_ISO_E10value_typeEPSP_NS1_7vsmem_tEENKUlT_SN_SO_SP_E_clIPjSG_PS9_SI_EESM_S12_SN_SO_SP_EUlS12_E1_NS1_11comp_targetILNS1_3genE3ELNS1_11target_archE908ELNS1_3gpuE7ELNS1_3repE0EEENS1_36merge_oddeven_config_static_selectorELNS0_4arch9wavefront6targetE0EEEvSO_.uses_vcc, 0
	.set _ZN7rocprim17ROCPRIM_400000_NS6detail17trampoline_kernelINS0_14default_configENS1_38merge_sort_block_merge_config_selectorIjN6thrust23THRUST_200600_302600_NS5tupleIffNS6_9null_typeES8_S8_S8_S8_S8_S8_S8_EEEEZZNS1_27merge_sort_block_merge_implIS3_NS6_6detail15normal_iteratorINS6_10device_ptrIjEEEENSD_INSE_IS9_EEEEjNS1_19radix_merge_compareILb0ELb1EjNS0_19identity_decomposerEEEEE10hipError_tT0_T1_T2_jT3_P12ihipStream_tbPNSt15iterator_traitsISN_E10value_typeEPNST_ISO_E10value_typeEPSP_NS1_7vsmem_tEENKUlT_SN_SO_SP_E_clIPjSG_PS9_SI_EESM_S12_SN_SO_SP_EUlS12_E1_NS1_11comp_targetILNS1_3genE3ELNS1_11target_archE908ELNS1_3gpuE7ELNS1_3repE0EEENS1_36merge_oddeven_config_static_selectorELNS0_4arch9wavefront6targetE0EEEvSO_.uses_flat_scratch, 0
	.set _ZN7rocprim17ROCPRIM_400000_NS6detail17trampoline_kernelINS0_14default_configENS1_38merge_sort_block_merge_config_selectorIjN6thrust23THRUST_200600_302600_NS5tupleIffNS6_9null_typeES8_S8_S8_S8_S8_S8_S8_EEEEZZNS1_27merge_sort_block_merge_implIS3_NS6_6detail15normal_iteratorINS6_10device_ptrIjEEEENSD_INSE_IS9_EEEEjNS1_19radix_merge_compareILb0ELb1EjNS0_19identity_decomposerEEEEE10hipError_tT0_T1_T2_jT3_P12ihipStream_tbPNSt15iterator_traitsISN_E10value_typeEPNST_ISO_E10value_typeEPSP_NS1_7vsmem_tEENKUlT_SN_SO_SP_E_clIPjSG_PS9_SI_EESM_S12_SN_SO_SP_EUlS12_E1_NS1_11comp_targetILNS1_3genE3ELNS1_11target_archE908ELNS1_3gpuE7ELNS1_3repE0EEENS1_36merge_oddeven_config_static_selectorELNS0_4arch9wavefront6targetE0EEEvSO_.has_dyn_sized_stack, 0
	.set _ZN7rocprim17ROCPRIM_400000_NS6detail17trampoline_kernelINS0_14default_configENS1_38merge_sort_block_merge_config_selectorIjN6thrust23THRUST_200600_302600_NS5tupleIffNS6_9null_typeES8_S8_S8_S8_S8_S8_S8_EEEEZZNS1_27merge_sort_block_merge_implIS3_NS6_6detail15normal_iteratorINS6_10device_ptrIjEEEENSD_INSE_IS9_EEEEjNS1_19radix_merge_compareILb0ELb1EjNS0_19identity_decomposerEEEEE10hipError_tT0_T1_T2_jT3_P12ihipStream_tbPNSt15iterator_traitsISN_E10value_typeEPNST_ISO_E10value_typeEPSP_NS1_7vsmem_tEENKUlT_SN_SO_SP_E_clIPjSG_PS9_SI_EESM_S12_SN_SO_SP_EUlS12_E1_NS1_11comp_targetILNS1_3genE3ELNS1_11target_archE908ELNS1_3gpuE7ELNS1_3repE0EEENS1_36merge_oddeven_config_static_selectorELNS0_4arch9wavefront6targetE0EEEvSO_.has_recursion, 0
	.set _ZN7rocprim17ROCPRIM_400000_NS6detail17trampoline_kernelINS0_14default_configENS1_38merge_sort_block_merge_config_selectorIjN6thrust23THRUST_200600_302600_NS5tupleIffNS6_9null_typeES8_S8_S8_S8_S8_S8_S8_EEEEZZNS1_27merge_sort_block_merge_implIS3_NS6_6detail15normal_iteratorINS6_10device_ptrIjEEEENSD_INSE_IS9_EEEEjNS1_19radix_merge_compareILb0ELb1EjNS0_19identity_decomposerEEEEE10hipError_tT0_T1_T2_jT3_P12ihipStream_tbPNSt15iterator_traitsISN_E10value_typeEPNST_ISO_E10value_typeEPSP_NS1_7vsmem_tEENKUlT_SN_SO_SP_E_clIPjSG_PS9_SI_EESM_S12_SN_SO_SP_EUlS12_E1_NS1_11comp_targetILNS1_3genE3ELNS1_11target_archE908ELNS1_3gpuE7ELNS1_3repE0EEENS1_36merge_oddeven_config_static_selectorELNS0_4arch9wavefront6targetE0EEEvSO_.has_indirect_call, 0
	.section	.AMDGPU.csdata,"",@progbits
; Kernel info:
; codeLenInByte = 0
; TotalNumSgprs: 0
; NumVgprs: 0
; ScratchSize: 0
; MemoryBound: 0
; FloatMode: 240
; IeeeMode: 1
; LDSByteSize: 0 bytes/workgroup (compile time only)
; SGPRBlocks: 0
; VGPRBlocks: 0
; NumSGPRsForWavesPerEU: 1
; NumVGPRsForWavesPerEU: 1
; NamedBarCnt: 0
; Occupancy: 16
; WaveLimiterHint : 0
; COMPUTE_PGM_RSRC2:SCRATCH_EN: 0
; COMPUTE_PGM_RSRC2:USER_SGPR: 2
; COMPUTE_PGM_RSRC2:TRAP_HANDLER: 0
; COMPUTE_PGM_RSRC2:TGID_X_EN: 1
; COMPUTE_PGM_RSRC2:TGID_Y_EN: 0
; COMPUTE_PGM_RSRC2:TGID_Z_EN: 0
; COMPUTE_PGM_RSRC2:TIDIG_COMP_CNT: 0
	.section	.text._ZN7rocprim17ROCPRIM_400000_NS6detail17trampoline_kernelINS0_14default_configENS1_38merge_sort_block_merge_config_selectorIjN6thrust23THRUST_200600_302600_NS5tupleIffNS6_9null_typeES8_S8_S8_S8_S8_S8_S8_EEEEZZNS1_27merge_sort_block_merge_implIS3_NS6_6detail15normal_iteratorINS6_10device_ptrIjEEEENSD_INSE_IS9_EEEEjNS1_19radix_merge_compareILb0ELb1EjNS0_19identity_decomposerEEEEE10hipError_tT0_T1_T2_jT3_P12ihipStream_tbPNSt15iterator_traitsISN_E10value_typeEPNST_ISO_E10value_typeEPSP_NS1_7vsmem_tEENKUlT_SN_SO_SP_E_clIPjSG_PS9_SI_EESM_S12_SN_SO_SP_EUlS12_E1_NS1_11comp_targetILNS1_3genE2ELNS1_11target_archE906ELNS1_3gpuE6ELNS1_3repE0EEENS1_36merge_oddeven_config_static_selectorELNS0_4arch9wavefront6targetE0EEEvSO_,"axG",@progbits,_ZN7rocprim17ROCPRIM_400000_NS6detail17trampoline_kernelINS0_14default_configENS1_38merge_sort_block_merge_config_selectorIjN6thrust23THRUST_200600_302600_NS5tupleIffNS6_9null_typeES8_S8_S8_S8_S8_S8_S8_EEEEZZNS1_27merge_sort_block_merge_implIS3_NS6_6detail15normal_iteratorINS6_10device_ptrIjEEEENSD_INSE_IS9_EEEEjNS1_19radix_merge_compareILb0ELb1EjNS0_19identity_decomposerEEEEE10hipError_tT0_T1_T2_jT3_P12ihipStream_tbPNSt15iterator_traitsISN_E10value_typeEPNST_ISO_E10value_typeEPSP_NS1_7vsmem_tEENKUlT_SN_SO_SP_E_clIPjSG_PS9_SI_EESM_S12_SN_SO_SP_EUlS12_E1_NS1_11comp_targetILNS1_3genE2ELNS1_11target_archE906ELNS1_3gpuE6ELNS1_3repE0EEENS1_36merge_oddeven_config_static_selectorELNS0_4arch9wavefront6targetE0EEEvSO_,comdat
	.protected	_ZN7rocprim17ROCPRIM_400000_NS6detail17trampoline_kernelINS0_14default_configENS1_38merge_sort_block_merge_config_selectorIjN6thrust23THRUST_200600_302600_NS5tupleIffNS6_9null_typeES8_S8_S8_S8_S8_S8_S8_EEEEZZNS1_27merge_sort_block_merge_implIS3_NS6_6detail15normal_iteratorINS6_10device_ptrIjEEEENSD_INSE_IS9_EEEEjNS1_19radix_merge_compareILb0ELb1EjNS0_19identity_decomposerEEEEE10hipError_tT0_T1_T2_jT3_P12ihipStream_tbPNSt15iterator_traitsISN_E10value_typeEPNST_ISO_E10value_typeEPSP_NS1_7vsmem_tEENKUlT_SN_SO_SP_E_clIPjSG_PS9_SI_EESM_S12_SN_SO_SP_EUlS12_E1_NS1_11comp_targetILNS1_3genE2ELNS1_11target_archE906ELNS1_3gpuE6ELNS1_3repE0EEENS1_36merge_oddeven_config_static_selectorELNS0_4arch9wavefront6targetE0EEEvSO_ ; -- Begin function _ZN7rocprim17ROCPRIM_400000_NS6detail17trampoline_kernelINS0_14default_configENS1_38merge_sort_block_merge_config_selectorIjN6thrust23THRUST_200600_302600_NS5tupleIffNS6_9null_typeES8_S8_S8_S8_S8_S8_S8_EEEEZZNS1_27merge_sort_block_merge_implIS3_NS6_6detail15normal_iteratorINS6_10device_ptrIjEEEENSD_INSE_IS9_EEEEjNS1_19radix_merge_compareILb0ELb1EjNS0_19identity_decomposerEEEEE10hipError_tT0_T1_T2_jT3_P12ihipStream_tbPNSt15iterator_traitsISN_E10value_typeEPNST_ISO_E10value_typeEPSP_NS1_7vsmem_tEENKUlT_SN_SO_SP_E_clIPjSG_PS9_SI_EESM_S12_SN_SO_SP_EUlS12_E1_NS1_11comp_targetILNS1_3genE2ELNS1_11target_archE906ELNS1_3gpuE6ELNS1_3repE0EEENS1_36merge_oddeven_config_static_selectorELNS0_4arch9wavefront6targetE0EEEvSO_
	.globl	_ZN7rocprim17ROCPRIM_400000_NS6detail17trampoline_kernelINS0_14default_configENS1_38merge_sort_block_merge_config_selectorIjN6thrust23THRUST_200600_302600_NS5tupleIffNS6_9null_typeES8_S8_S8_S8_S8_S8_S8_EEEEZZNS1_27merge_sort_block_merge_implIS3_NS6_6detail15normal_iteratorINS6_10device_ptrIjEEEENSD_INSE_IS9_EEEEjNS1_19radix_merge_compareILb0ELb1EjNS0_19identity_decomposerEEEEE10hipError_tT0_T1_T2_jT3_P12ihipStream_tbPNSt15iterator_traitsISN_E10value_typeEPNST_ISO_E10value_typeEPSP_NS1_7vsmem_tEENKUlT_SN_SO_SP_E_clIPjSG_PS9_SI_EESM_S12_SN_SO_SP_EUlS12_E1_NS1_11comp_targetILNS1_3genE2ELNS1_11target_archE906ELNS1_3gpuE6ELNS1_3repE0EEENS1_36merge_oddeven_config_static_selectorELNS0_4arch9wavefront6targetE0EEEvSO_
	.p2align	8
	.type	_ZN7rocprim17ROCPRIM_400000_NS6detail17trampoline_kernelINS0_14default_configENS1_38merge_sort_block_merge_config_selectorIjN6thrust23THRUST_200600_302600_NS5tupleIffNS6_9null_typeES8_S8_S8_S8_S8_S8_S8_EEEEZZNS1_27merge_sort_block_merge_implIS3_NS6_6detail15normal_iteratorINS6_10device_ptrIjEEEENSD_INSE_IS9_EEEEjNS1_19radix_merge_compareILb0ELb1EjNS0_19identity_decomposerEEEEE10hipError_tT0_T1_T2_jT3_P12ihipStream_tbPNSt15iterator_traitsISN_E10value_typeEPNST_ISO_E10value_typeEPSP_NS1_7vsmem_tEENKUlT_SN_SO_SP_E_clIPjSG_PS9_SI_EESM_S12_SN_SO_SP_EUlS12_E1_NS1_11comp_targetILNS1_3genE2ELNS1_11target_archE906ELNS1_3gpuE6ELNS1_3repE0EEENS1_36merge_oddeven_config_static_selectorELNS0_4arch9wavefront6targetE0EEEvSO_,@function
_ZN7rocprim17ROCPRIM_400000_NS6detail17trampoline_kernelINS0_14default_configENS1_38merge_sort_block_merge_config_selectorIjN6thrust23THRUST_200600_302600_NS5tupleIffNS6_9null_typeES8_S8_S8_S8_S8_S8_S8_EEEEZZNS1_27merge_sort_block_merge_implIS3_NS6_6detail15normal_iteratorINS6_10device_ptrIjEEEENSD_INSE_IS9_EEEEjNS1_19radix_merge_compareILb0ELb1EjNS0_19identity_decomposerEEEEE10hipError_tT0_T1_T2_jT3_P12ihipStream_tbPNSt15iterator_traitsISN_E10value_typeEPNST_ISO_E10value_typeEPSP_NS1_7vsmem_tEENKUlT_SN_SO_SP_E_clIPjSG_PS9_SI_EESM_S12_SN_SO_SP_EUlS12_E1_NS1_11comp_targetILNS1_3genE2ELNS1_11target_archE906ELNS1_3gpuE6ELNS1_3repE0EEENS1_36merge_oddeven_config_static_selectorELNS0_4arch9wavefront6targetE0EEEvSO_: ; @_ZN7rocprim17ROCPRIM_400000_NS6detail17trampoline_kernelINS0_14default_configENS1_38merge_sort_block_merge_config_selectorIjN6thrust23THRUST_200600_302600_NS5tupleIffNS6_9null_typeES8_S8_S8_S8_S8_S8_S8_EEEEZZNS1_27merge_sort_block_merge_implIS3_NS6_6detail15normal_iteratorINS6_10device_ptrIjEEEENSD_INSE_IS9_EEEEjNS1_19radix_merge_compareILb0ELb1EjNS0_19identity_decomposerEEEEE10hipError_tT0_T1_T2_jT3_P12ihipStream_tbPNSt15iterator_traitsISN_E10value_typeEPNST_ISO_E10value_typeEPSP_NS1_7vsmem_tEENKUlT_SN_SO_SP_E_clIPjSG_PS9_SI_EESM_S12_SN_SO_SP_EUlS12_E1_NS1_11comp_targetILNS1_3genE2ELNS1_11target_archE906ELNS1_3gpuE6ELNS1_3repE0EEENS1_36merge_oddeven_config_static_selectorELNS0_4arch9wavefront6targetE0EEEvSO_
; %bb.0:
	.section	.rodata,"a",@progbits
	.p2align	6, 0x0
	.amdhsa_kernel _ZN7rocprim17ROCPRIM_400000_NS6detail17trampoline_kernelINS0_14default_configENS1_38merge_sort_block_merge_config_selectorIjN6thrust23THRUST_200600_302600_NS5tupleIffNS6_9null_typeES8_S8_S8_S8_S8_S8_S8_EEEEZZNS1_27merge_sort_block_merge_implIS3_NS6_6detail15normal_iteratorINS6_10device_ptrIjEEEENSD_INSE_IS9_EEEEjNS1_19radix_merge_compareILb0ELb1EjNS0_19identity_decomposerEEEEE10hipError_tT0_T1_T2_jT3_P12ihipStream_tbPNSt15iterator_traitsISN_E10value_typeEPNST_ISO_E10value_typeEPSP_NS1_7vsmem_tEENKUlT_SN_SO_SP_E_clIPjSG_PS9_SI_EESM_S12_SN_SO_SP_EUlS12_E1_NS1_11comp_targetILNS1_3genE2ELNS1_11target_archE906ELNS1_3gpuE6ELNS1_3repE0EEENS1_36merge_oddeven_config_static_selectorELNS0_4arch9wavefront6targetE0EEEvSO_
		.amdhsa_group_segment_fixed_size 0
		.amdhsa_private_segment_fixed_size 0
		.amdhsa_kernarg_size 48
		.amdhsa_user_sgpr_count 2
		.amdhsa_user_sgpr_dispatch_ptr 0
		.amdhsa_user_sgpr_queue_ptr 0
		.amdhsa_user_sgpr_kernarg_segment_ptr 1
		.amdhsa_user_sgpr_dispatch_id 0
		.amdhsa_user_sgpr_kernarg_preload_length 0
		.amdhsa_user_sgpr_kernarg_preload_offset 0
		.amdhsa_user_sgpr_private_segment_size 0
		.amdhsa_wavefront_size32 1
		.amdhsa_uses_dynamic_stack 0
		.amdhsa_enable_private_segment 0
		.amdhsa_system_sgpr_workgroup_id_x 1
		.amdhsa_system_sgpr_workgroup_id_y 0
		.amdhsa_system_sgpr_workgroup_id_z 0
		.amdhsa_system_sgpr_workgroup_info 0
		.amdhsa_system_vgpr_workitem_id 0
		.amdhsa_next_free_vgpr 1
		.amdhsa_next_free_sgpr 1
		.amdhsa_named_barrier_count 0
		.amdhsa_reserve_vcc 0
		.amdhsa_float_round_mode_32 0
		.amdhsa_float_round_mode_16_64 0
		.amdhsa_float_denorm_mode_32 3
		.amdhsa_float_denorm_mode_16_64 3
		.amdhsa_fp16_overflow 0
		.amdhsa_memory_ordered 1
		.amdhsa_forward_progress 1
		.amdhsa_inst_pref_size 0
		.amdhsa_round_robin_scheduling 0
		.amdhsa_exception_fp_ieee_invalid_op 0
		.amdhsa_exception_fp_denorm_src 0
		.amdhsa_exception_fp_ieee_div_zero 0
		.amdhsa_exception_fp_ieee_overflow 0
		.amdhsa_exception_fp_ieee_underflow 0
		.amdhsa_exception_fp_ieee_inexact 0
		.amdhsa_exception_int_div_zero 0
	.end_amdhsa_kernel
	.section	.text._ZN7rocprim17ROCPRIM_400000_NS6detail17trampoline_kernelINS0_14default_configENS1_38merge_sort_block_merge_config_selectorIjN6thrust23THRUST_200600_302600_NS5tupleIffNS6_9null_typeES8_S8_S8_S8_S8_S8_S8_EEEEZZNS1_27merge_sort_block_merge_implIS3_NS6_6detail15normal_iteratorINS6_10device_ptrIjEEEENSD_INSE_IS9_EEEEjNS1_19radix_merge_compareILb0ELb1EjNS0_19identity_decomposerEEEEE10hipError_tT0_T1_T2_jT3_P12ihipStream_tbPNSt15iterator_traitsISN_E10value_typeEPNST_ISO_E10value_typeEPSP_NS1_7vsmem_tEENKUlT_SN_SO_SP_E_clIPjSG_PS9_SI_EESM_S12_SN_SO_SP_EUlS12_E1_NS1_11comp_targetILNS1_3genE2ELNS1_11target_archE906ELNS1_3gpuE6ELNS1_3repE0EEENS1_36merge_oddeven_config_static_selectorELNS0_4arch9wavefront6targetE0EEEvSO_,"axG",@progbits,_ZN7rocprim17ROCPRIM_400000_NS6detail17trampoline_kernelINS0_14default_configENS1_38merge_sort_block_merge_config_selectorIjN6thrust23THRUST_200600_302600_NS5tupleIffNS6_9null_typeES8_S8_S8_S8_S8_S8_S8_EEEEZZNS1_27merge_sort_block_merge_implIS3_NS6_6detail15normal_iteratorINS6_10device_ptrIjEEEENSD_INSE_IS9_EEEEjNS1_19radix_merge_compareILb0ELb1EjNS0_19identity_decomposerEEEEE10hipError_tT0_T1_T2_jT3_P12ihipStream_tbPNSt15iterator_traitsISN_E10value_typeEPNST_ISO_E10value_typeEPSP_NS1_7vsmem_tEENKUlT_SN_SO_SP_E_clIPjSG_PS9_SI_EESM_S12_SN_SO_SP_EUlS12_E1_NS1_11comp_targetILNS1_3genE2ELNS1_11target_archE906ELNS1_3gpuE6ELNS1_3repE0EEENS1_36merge_oddeven_config_static_selectorELNS0_4arch9wavefront6targetE0EEEvSO_,comdat
.Lfunc_end112:
	.size	_ZN7rocprim17ROCPRIM_400000_NS6detail17trampoline_kernelINS0_14default_configENS1_38merge_sort_block_merge_config_selectorIjN6thrust23THRUST_200600_302600_NS5tupleIffNS6_9null_typeES8_S8_S8_S8_S8_S8_S8_EEEEZZNS1_27merge_sort_block_merge_implIS3_NS6_6detail15normal_iteratorINS6_10device_ptrIjEEEENSD_INSE_IS9_EEEEjNS1_19radix_merge_compareILb0ELb1EjNS0_19identity_decomposerEEEEE10hipError_tT0_T1_T2_jT3_P12ihipStream_tbPNSt15iterator_traitsISN_E10value_typeEPNST_ISO_E10value_typeEPSP_NS1_7vsmem_tEENKUlT_SN_SO_SP_E_clIPjSG_PS9_SI_EESM_S12_SN_SO_SP_EUlS12_E1_NS1_11comp_targetILNS1_3genE2ELNS1_11target_archE906ELNS1_3gpuE6ELNS1_3repE0EEENS1_36merge_oddeven_config_static_selectorELNS0_4arch9wavefront6targetE0EEEvSO_, .Lfunc_end112-_ZN7rocprim17ROCPRIM_400000_NS6detail17trampoline_kernelINS0_14default_configENS1_38merge_sort_block_merge_config_selectorIjN6thrust23THRUST_200600_302600_NS5tupleIffNS6_9null_typeES8_S8_S8_S8_S8_S8_S8_EEEEZZNS1_27merge_sort_block_merge_implIS3_NS6_6detail15normal_iteratorINS6_10device_ptrIjEEEENSD_INSE_IS9_EEEEjNS1_19radix_merge_compareILb0ELb1EjNS0_19identity_decomposerEEEEE10hipError_tT0_T1_T2_jT3_P12ihipStream_tbPNSt15iterator_traitsISN_E10value_typeEPNST_ISO_E10value_typeEPSP_NS1_7vsmem_tEENKUlT_SN_SO_SP_E_clIPjSG_PS9_SI_EESM_S12_SN_SO_SP_EUlS12_E1_NS1_11comp_targetILNS1_3genE2ELNS1_11target_archE906ELNS1_3gpuE6ELNS1_3repE0EEENS1_36merge_oddeven_config_static_selectorELNS0_4arch9wavefront6targetE0EEEvSO_
                                        ; -- End function
	.set _ZN7rocprim17ROCPRIM_400000_NS6detail17trampoline_kernelINS0_14default_configENS1_38merge_sort_block_merge_config_selectorIjN6thrust23THRUST_200600_302600_NS5tupleIffNS6_9null_typeES8_S8_S8_S8_S8_S8_S8_EEEEZZNS1_27merge_sort_block_merge_implIS3_NS6_6detail15normal_iteratorINS6_10device_ptrIjEEEENSD_INSE_IS9_EEEEjNS1_19radix_merge_compareILb0ELb1EjNS0_19identity_decomposerEEEEE10hipError_tT0_T1_T2_jT3_P12ihipStream_tbPNSt15iterator_traitsISN_E10value_typeEPNST_ISO_E10value_typeEPSP_NS1_7vsmem_tEENKUlT_SN_SO_SP_E_clIPjSG_PS9_SI_EESM_S12_SN_SO_SP_EUlS12_E1_NS1_11comp_targetILNS1_3genE2ELNS1_11target_archE906ELNS1_3gpuE6ELNS1_3repE0EEENS1_36merge_oddeven_config_static_selectorELNS0_4arch9wavefront6targetE0EEEvSO_.num_vgpr, 0
	.set _ZN7rocprim17ROCPRIM_400000_NS6detail17trampoline_kernelINS0_14default_configENS1_38merge_sort_block_merge_config_selectorIjN6thrust23THRUST_200600_302600_NS5tupleIffNS6_9null_typeES8_S8_S8_S8_S8_S8_S8_EEEEZZNS1_27merge_sort_block_merge_implIS3_NS6_6detail15normal_iteratorINS6_10device_ptrIjEEEENSD_INSE_IS9_EEEEjNS1_19radix_merge_compareILb0ELb1EjNS0_19identity_decomposerEEEEE10hipError_tT0_T1_T2_jT3_P12ihipStream_tbPNSt15iterator_traitsISN_E10value_typeEPNST_ISO_E10value_typeEPSP_NS1_7vsmem_tEENKUlT_SN_SO_SP_E_clIPjSG_PS9_SI_EESM_S12_SN_SO_SP_EUlS12_E1_NS1_11comp_targetILNS1_3genE2ELNS1_11target_archE906ELNS1_3gpuE6ELNS1_3repE0EEENS1_36merge_oddeven_config_static_selectorELNS0_4arch9wavefront6targetE0EEEvSO_.num_agpr, 0
	.set _ZN7rocprim17ROCPRIM_400000_NS6detail17trampoline_kernelINS0_14default_configENS1_38merge_sort_block_merge_config_selectorIjN6thrust23THRUST_200600_302600_NS5tupleIffNS6_9null_typeES8_S8_S8_S8_S8_S8_S8_EEEEZZNS1_27merge_sort_block_merge_implIS3_NS6_6detail15normal_iteratorINS6_10device_ptrIjEEEENSD_INSE_IS9_EEEEjNS1_19radix_merge_compareILb0ELb1EjNS0_19identity_decomposerEEEEE10hipError_tT0_T1_T2_jT3_P12ihipStream_tbPNSt15iterator_traitsISN_E10value_typeEPNST_ISO_E10value_typeEPSP_NS1_7vsmem_tEENKUlT_SN_SO_SP_E_clIPjSG_PS9_SI_EESM_S12_SN_SO_SP_EUlS12_E1_NS1_11comp_targetILNS1_3genE2ELNS1_11target_archE906ELNS1_3gpuE6ELNS1_3repE0EEENS1_36merge_oddeven_config_static_selectorELNS0_4arch9wavefront6targetE0EEEvSO_.numbered_sgpr, 0
	.set _ZN7rocprim17ROCPRIM_400000_NS6detail17trampoline_kernelINS0_14default_configENS1_38merge_sort_block_merge_config_selectorIjN6thrust23THRUST_200600_302600_NS5tupleIffNS6_9null_typeES8_S8_S8_S8_S8_S8_S8_EEEEZZNS1_27merge_sort_block_merge_implIS3_NS6_6detail15normal_iteratorINS6_10device_ptrIjEEEENSD_INSE_IS9_EEEEjNS1_19radix_merge_compareILb0ELb1EjNS0_19identity_decomposerEEEEE10hipError_tT0_T1_T2_jT3_P12ihipStream_tbPNSt15iterator_traitsISN_E10value_typeEPNST_ISO_E10value_typeEPSP_NS1_7vsmem_tEENKUlT_SN_SO_SP_E_clIPjSG_PS9_SI_EESM_S12_SN_SO_SP_EUlS12_E1_NS1_11comp_targetILNS1_3genE2ELNS1_11target_archE906ELNS1_3gpuE6ELNS1_3repE0EEENS1_36merge_oddeven_config_static_selectorELNS0_4arch9wavefront6targetE0EEEvSO_.num_named_barrier, 0
	.set _ZN7rocprim17ROCPRIM_400000_NS6detail17trampoline_kernelINS0_14default_configENS1_38merge_sort_block_merge_config_selectorIjN6thrust23THRUST_200600_302600_NS5tupleIffNS6_9null_typeES8_S8_S8_S8_S8_S8_S8_EEEEZZNS1_27merge_sort_block_merge_implIS3_NS6_6detail15normal_iteratorINS6_10device_ptrIjEEEENSD_INSE_IS9_EEEEjNS1_19radix_merge_compareILb0ELb1EjNS0_19identity_decomposerEEEEE10hipError_tT0_T1_T2_jT3_P12ihipStream_tbPNSt15iterator_traitsISN_E10value_typeEPNST_ISO_E10value_typeEPSP_NS1_7vsmem_tEENKUlT_SN_SO_SP_E_clIPjSG_PS9_SI_EESM_S12_SN_SO_SP_EUlS12_E1_NS1_11comp_targetILNS1_3genE2ELNS1_11target_archE906ELNS1_3gpuE6ELNS1_3repE0EEENS1_36merge_oddeven_config_static_selectorELNS0_4arch9wavefront6targetE0EEEvSO_.private_seg_size, 0
	.set _ZN7rocprim17ROCPRIM_400000_NS6detail17trampoline_kernelINS0_14default_configENS1_38merge_sort_block_merge_config_selectorIjN6thrust23THRUST_200600_302600_NS5tupleIffNS6_9null_typeES8_S8_S8_S8_S8_S8_S8_EEEEZZNS1_27merge_sort_block_merge_implIS3_NS6_6detail15normal_iteratorINS6_10device_ptrIjEEEENSD_INSE_IS9_EEEEjNS1_19radix_merge_compareILb0ELb1EjNS0_19identity_decomposerEEEEE10hipError_tT0_T1_T2_jT3_P12ihipStream_tbPNSt15iterator_traitsISN_E10value_typeEPNST_ISO_E10value_typeEPSP_NS1_7vsmem_tEENKUlT_SN_SO_SP_E_clIPjSG_PS9_SI_EESM_S12_SN_SO_SP_EUlS12_E1_NS1_11comp_targetILNS1_3genE2ELNS1_11target_archE906ELNS1_3gpuE6ELNS1_3repE0EEENS1_36merge_oddeven_config_static_selectorELNS0_4arch9wavefront6targetE0EEEvSO_.uses_vcc, 0
	.set _ZN7rocprim17ROCPRIM_400000_NS6detail17trampoline_kernelINS0_14default_configENS1_38merge_sort_block_merge_config_selectorIjN6thrust23THRUST_200600_302600_NS5tupleIffNS6_9null_typeES8_S8_S8_S8_S8_S8_S8_EEEEZZNS1_27merge_sort_block_merge_implIS3_NS6_6detail15normal_iteratorINS6_10device_ptrIjEEEENSD_INSE_IS9_EEEEjNS1_19radix_merge_compareILb0ELb1EjNS0_19identity_decomposerEEEEE10hipError_tT0_T1_T2_jT3_P12ihipStream_tbPNSt15iterator_traitsISN_E10value_typeEPNST_ISO_E10value_typeEPSP_NS1_7vsmem_tEENKUlT_SN_SO_SP_E_clIPjSG_PS9_SI_EESM_S12_SN_SO_SP_EUlS12_E1_NS1_11comp_targetILNS1_3genE2ELNS1_11target_archE906ELNS1_3gpuE6ELNS1_3repE0EEENS1_36merge_oddeven_config_static_selectorELNS0_4arch9wavefront6targetE0EEEvSO_.uses_flat_scratch, 0
	.set _ZN7rocprim17ROCPRIM_400000_NS6detail17trampoline_kernelINS0_14default_configENS1_38merge_sort_block_merge_config_selectorIjN6thrust23THRUST_200600_302600_NS5tupleIffNS6_9null_typeES8_S8_S8_S8_S8_S8_S8_EEEEZZNS1_27merge_sort_block_merge_implIS3_NS6_6detail15normal_iteratorINS6_10device_ptrIjEEEENSD_INSE_IS9_EEEEjNS1_19radix_merge_compareILb0ELb1EjNS0_19identity_decomposerEEEEE10hipError_tT0_T1_T2_jT3_P12ihipStream_tbPNSt15iterator_traitsISN_E10value_typeEPNST_ISO_E10value_typeEPSP_NS1_7vsmem_tEENKUlT_SN_SO_SP_E_clIPjSG_PS9_SI_EESM_S12_SN_SO_SP_EUlS12_E1_NS1_11comp_targetILNS1_3genE2ELNS1_11target_archE906ELNS1_3gpuE6ELNS1_3repE0EEENS1_36merge_oddeven_config_static_selectorELNS0_4arch9wavefront6targetE0EEEvSO_.has_dyn_sized_stack, 0
	.set _ZN7rocprim17ROCPRIM_400000_NS6detail17trampoline_kernelINS0_14default_configENS1_38merge_sort_block_merge_config_selectorIjN6thrust23THRUST_200600_302600_NS5tupleIffNS6_9null_typeES8_S8_S8_S8_S8_S8_S8_EEEEZZNS1_27merge_sort_block_merge_implIS3_NS6_6detail15normal_iteratorINS6_10device_ptrIjEEEENSD_INSE_IS9_EEEEjNS1_19radix_merge_compareILb0ELb1EjNS0_19identity_decomposerEEEEE10hipError_tT0_T1_T2_jT3_P12ihipStream_tbPNSt15iterator_traitsISN_E10value_typeEPNST_ISO_E10value_typeEPSP_NS1_7vsmem_tEENKUlT_SN_SO_SP_E_clIPjSG_PS9_SI_EESM_S12_SN_SO_SP_EUlS12_E1_NS1_11comp_targetILNS1_3genE2ELNS1_11target_archE906ELNS1_3gpuE6ELNS1_3repE0EEENS1_36merge_oddeven_config_static_selectorELNS0_4arch9wavefront6targetE0EEEvSO_.has_recursion, 0
	.set _ZN7rocprim17ROCPRIM_400000_NS6detail17trampoline_kernelINS0_14default_configENS1_38merge_sort_block_merge_config_selectorIjN6thrust23THRUST_200600_302600_NS5tupleIffNS6_9null_typeES8_S8_S8_S8_S8_S8_S8_EEEEZZNS1_27merge_sort_block_merge_implIS3_NS6_6detail15normal_iteratorINS6_10device_ptrIjEEEENSD_INSE_IS9_EEEEjNS1_19radix_merge_compareILb0ELb1EjNS0_19identity_decomposerEEEEE10hipError_tT0_T1_T2_jT3_P12ihipStream_tbPNSt15iterator_traitsISN_E10value_typeEPNST_ISO_E10value_typeEPSP_NS1_7vsmem_tEENKUlT_SN_SO_SP_E_clIPjSG_PS9_SI_EESM_S12_SN_SO_SP_EUlS12_E1_NS1_11comp_targetILNS1_3genE2ELNS1_11target_archE906ELNS1_3gpuE6ELNS1_3repE0EEENS1_36merge_oddeven_config_static_selectorELNS0_4arch9wavefront6targetE0EEEvSO_.has_indirect_call, 0
	.section	.AMDGPU.csdata,"",@progbits
; Kernel info:
; codeLenInByte = 0
; TotalNumSgprs: 0
; NumVgprs: 0
; ScratchSize: 0
; MemoryBound: 0
; FloatMode: 240
; IeeeMode: 1
; LDSByteSize: 0 bytes/workgroup (compile time only)
; SGPRBlocks: 0
; VGPRBlocks: 0
; NumSGPRsForWavesPerEU: 1
; NumVGPRsForWavesPerEU: 1
; NamedBarCnt: 0
; Occupancy: 16
; WaveLimiterHint : 0
; COMPUTE_PGM_RSRC2:SCRATCH_EN: 0
; COMPUTE_PGM_RSRC2:USER_SGPR: 2
; COMPUTE_PGM_RSRC2:TRAP_HANDLER: 0
; COMPUTE_PGM_RSRC2:TGID_X_EN: 1
; COMPUTE_PGM_RSRC2:TGID_Y_EN: 0
; COMPUTE_PGM_RSRC2:TGID_Z_EN: 0
; COMPUTE_PGM_RSRC2:TIDIG_COMP_CNT: 0
	.section	.text._ZN7rocprim17ROCPRIM_400000_NS6detail17trampoline_kernelINS0_14default_configENS1_38merge_sort_block_merge_config_selectorIjN6thrust23THRUST_200600_302600_NS5tupleIffNS6_9null_typeES8_S8_S8_S8_S8_S8_S8_EEEEZZNS1_27merge_sort_block_merge_implIS3_NS6_6detail15normal_iteratorINS6_10device_ptrIjEEEENSD_INSE_IS9_EEEEjNS1_19radix_merge_compareILb0ELb1EjNS0_19identity_decomposerEEEEE10hipError_tT0_T1_T2_jT3_P12ihipStream_tbPNSt15iterator_traitsISN_E10value_typeEPNST_ISO_E10value_typeEPSP_NS1_7vsmem_tEENKUlT_SN_SO_SP_E_clIPjSG_PS9_SI_EESM_S12_SN_SO_SP_EUlS12_E1_NS1_11comp_targetILNS1_3genE9ELNS1_11target_archE1100ELNS1_3gpuE3ELNS1_3repE0EEENS1_36merge_oddeven_config_static_selectorELNS0_4arch9wavefront6targetE0EEEvSO_,"axG",@progbits,_ZN7rocprim17ROCPRIM_400000_NS6detail17trampoline_kernelINS0_14default_configENS1_38merge_sort_block_merge_config_selectorIjN6thrust23THRUST_200600_302600_NS5tupleIffNS6_9null_typeES8_S8_S8_S8_S8_S8_S8_EEEEZZNS1_27merge_sort_block_merge_implIS3_NS6_6detail15normal_iteratorINS6_10device_ptrIjEEEENSD_INSE_IS9_EEEEjNS1_19radix_merge_compareILb0ELb1EjNS0_19identity_decomposerEEEEE10hipError_tT0_T1_T2_jT3_P12ihipStream_tbPNSt15iterator_traitsISN_E10value_typeEPNST_ISO_E10value_typeEPSP_NS1_7vsmem_tEENKUlT_SN_SO_SP_E_clIPjSG_PS9_SI_EESM_S12_SN_SO_SP_EUlS12_E1_NS1_11comp_targetILNS1_3genE9ELNS1_11target_archE1100ELNS1_3gpuE3ELNS1_3repE0EEENS1_36merge_oddeven_config_static_selectorELNS0_4arch9wavefront6targetE0EEEvSO_,comdat
	.protected	_ZN7rocprim17ROCPRIM_400000_NS6detail17trampoline_kernelINS0_14default_configENS1_38merge_sort_block_merge_config_selectorIjN6thrust23THRUST_200600_302600_NS5tupleIffNS6_9null_typeES8_S8_S8_S8_S8_S8_S8_EEEEZZNS1_27merge_sort_block_merge_implIS3_NS6_6detail15normal_iteratorINS6_10device_ptrIjEEEENSD_INSE_IS9_EEEEjNS1_19radix_merge_compareILb0ELb1EjNS0_19identity_decomposerEEEEE10hipError_tT0_T1_T2_jT3_P12ihipStream_tbPNSt15iterator_traitsISN_E10value_typeEPNST_ISO_E10value_typeEPSP_NS1_7vsmem_tEENKUlT_SN_SO_SP_E_clIPjSG_PS9_SI_EESM_S12_SN_SO_SP_EUlS12_E1_NS1_11comp_targetILNS1_3genE9ELNS1_11target_archE1100ELNS1_3gpuE3ELNS1_3repE0EEENS1_36merge_oddeven_config_static_selectorELNS0_4arch9wavefront6targetE0EEEvSO_ ; -- Begin function _ZN7rocprim17ROCPRIM_400000_NS6detail17trampoline_kernelINS0_14default_configENS1_38merge_sort_block_merge_config_selectorIjN6thrust23THRUST_200600_302600_NS5tupleIffNS6_9null_typeES8_S8_S8_S8_S8_S8_S8_EEEEZZNS1_27merge_sort_block_merge_implIS3_NS6_6detail15normal_iteratorINS6_10device_ptrIjEEEENSD_INSE_IS9_EEEEjNS1_19radix_merge_compareILb0ELb1EjNS0_19identity_decomposerEEEEE10hipError_tT0_T1_T2_jT3_P12ihipStream_tbPNSt15iterator_traitsISN_E10value_typeEPNST_ISO_E10value_typeEPSP_NS1_7vsmem_tEENKUlT_SN_SO_SP_E_clIPjSG_PS9_SI_EESM_S12_SN_SO_SP_EUlS12_E1_NS1_11comp_targetILNS1_3genE9ELNS1_11target_archE1100ELNS1_3gpuE3ELNS1_3repE0EEENS1_36merge_oddeven_config_static_selectorELNS0_4arch9wavefront6targetE0EEEvSO_
	.globl	_ZN7rocprim17ROCPRIM_400000_NS6detail17trampoline_kernelINS0_14default_configENS1_38merge_sort_block_merge_config_selectorIjN6thrust23THRUST_200600_302600_NS5tupleIffNS6_9null_typeES8_S8_S8_S8_S8_S8_S8_EEEEZZNS1_27merge_sort_block_merge_implIS3_NS6_6detail15normal_iteratorINS6_10device_ptrIjEEEENSD_INSE_IS9_EEEEjNS1_19radix_merge_compareILb0ELb1EjNS0_19identity_decomposerEEEEE10hipError_tT0_T1_T2_jT3_P12ihipStream_tbPNSt15iterator_traitsISN_E10value_typeEPNST_ISO_E10value_typeEPSP_NS1_7vsmem_tEENKUlT_SN_SO_SP_E_clIPjSG_PS9_SI_EESM_S12_SN_SO_SP_EUlS12_E1_NS1_11comp_targetILNS1_3genE9ELNS1_11target_archE1100ELNS1_3gpuE3ELNS1_3repE0EEENS1_36merge_oddeven_config_static_selectorELNS0_4arch9wavefront6targetE0EEEvSO_
	.p2align	8
	.type	_ZN7rocprim17ROCPRIM_400000_NS6detail17trampoline_kernelINS0_14default_configENS1_38merge_sort_block_merge_config_selectorIjN6thrust23THRUST_200600_302600_NS5tupleIffNS6_9null_typeES8_S8_S8_S8_S8_S8_S8_EEEEZZNS1_27merge_sort_block_merge_implIS3_NS6_6detail15normal_iteratorINS6_10device_ptrIjEEEENSD_INSE_IS9_EEEEjNS1_19radix_merge_compareILb0ELb1EjNS0_19identity_decomposerEEEEE10hipError_tT0_T1_T2_jT3_P12ihipStream_tbPNSt15iterator_traitsISN_E10value_typeEPNST_ISO_E10value_typeEPSP_NS1_7vsmem_tEENKUlT_SN_SO_SP_E_clIPjSG_PS9_SI_EESM_S12_SN_SO_SP_EUlS12_E1_NS1_11comp_targetILNS1_3genE9ELNS1_11target_archE1100ELNS1_3gpuE3ELNS1_3repE0EEENS1_36merge_oddeven_config_static_selectorELNS0_4arch9wavefront6targetE0EEEvSO_,@function
_ZN7rocprim17ROCPRIM_400000_NS6detail17trampoline_kernelINS0_14default_configENS1_38merge_sort_block_merge_config_selectorIjN6thrust23THRUST_200600_302600_NS5tupleIffNS6_9null_typeES8_S8_S8_S8_S8_S8_S8_EEEEZZNS1_27merge_sort_block_merge_implIS3_NS6_6detail15normal_iteratorINS6_10device_ptrIjEEEENSD_INSE_IS9_EEEEjNS1_19radix_merge_compareILb0ELb1EjNS0_19identity_decomposerEEEEE10hipError_tT0_T1_T2_jT3_P12ihipStream_tbPNSt15iterator_traitsISN_E10value_typeEPNST_ISO_E10value_typeEPSP_NS1_7vsmem_tEENKUlT_SN_SO_SP_E_clIPjSG_PS9_SI_EESM_S12_SN_SO_SP_EUlS12_E1_NS1_11comp_targetILNS1_3genE9ELNS1_11target_archE1100ELNS1_3gpuE3ELNS1_3repE0EEENS1_36merge_oddeven_config_static_selectorELNS0_4arch9wavefront6targetE0EEEvSO_: ; @_ZN7rocprim17ROCPRIM_400000_NS6detail17trampoline_kernelINS0_14default_configENS1_38merge_sort_block_merge_config_selectorIjN6thrust23THRUST_200600_302600_NS5tupleIffNS6_9null_typeES8_S8_S8_S8_S8_S8_S8_EEEEZZNS1_27merge_sort_block_merge_implIS3_NS6_6detail15normal_iteratorINS6_10device_ptrIjEEEENSD_INSE_IS9_EEEEjNS1_19radix_merge_compareILb0ELb1EjNS0_19identity_decomposerEEEEE10hipError_tT0_T1_T2_jT3_P12ihipStream_tbPNSt15iterator_traitsISN_E10value_typeEPNST_ISO_E10value_typeEPSP_NS1_7vsmem_tEENKUlT_SN_SO_SP_E_clIPjSG_PS9_SI_EESM_S12_SN_SO_SP_EUlS12_E1_NS1_11comp_targetILNS1_3genE9ELNS1_11target_archE1100ELNS1_3gpuE3ELNS1_3repE0EEENS1_36merge_oddeven_config_static_selectorELNS0_4arch9wavefront6targetE0EEEvSO_
; %bb.0:
	.section	.rodata,"a",@progbits
	.p2align	6, 0x0
	.amdhsa_kernel _ZN7rocprim17ROCPRIM_400000_NS6detail17trampoline_kernelINS0_14default_configENS1_38merge_sort_block_merge_config_selectorIjN6thrust23THRUST_200600_302600_NS5tupleIffNS6_9null_typeES8_S8_S8_S8_S8_S8_S8_EEEEZZNS1_27merge_sort_block_merge_implIS3_NS6_6detail15normal_iteratorINS6_10device_ptrIjEEEENSD_INSE_IS9_EEEEjNS1_19radix_merge_compareILb0ELb1EjNS0_19identity_decomposerEEEEE10hipError_tT0_T1_T2_jT3_P12ihipStream_tbPNSt15iterator_traitsISN_E10value_typeEPNST_ISO_E10value_typeEPSP_NS1_7vsmem_tEENKUlT_SN_SO_SP_E_clIPjSG_PS9_SI_EESM_S12_SN_SO_SP_EUlS12_E1_NS1_11comp_targetILNS1_3genE9ELNS1_11target_archE1100ELNS1_3gpuE3ELNS1_3repE0EEENS1_36merge_oddeven_config_static_selectorELNS0_4arch9wavefront6targetE0EEEvSO_
		.amdhsa_group_segment_fixed_size 0
		.amdhsa_private_segment_fixed_size 0
		.amdhsa_kernarg_size 48
		.amdhsa_user_sgpr_count 2
		.amdhsa_user_sgpr_dispatch_ptr 0
		.amdhsa_user_sgpr_queue_ptr 0
		.amdhsa_user_sgpr_kernarg_segment_ptr 1
		.amdhsa_user_sgpr_dispatch_id 0
		.amdhsa_user_sgpr_kernarg_preload_length 0
		.amdhsa_user_sgpr_kernarg_preload_offset 0
		.amdhsa_user_sgpr_private_segment_size 0
		.amdhsa_wavefront_size32 1
		.amdhsa_uses_dynamic_stack 0
		.amdhsa_enable_private_segment 0
		.amdhsa_system_sgpr_workgroup_id_x 1
		.amdhsa_system_sgpr_workgroup_id_y 0
		.amdhsa_system_sgpr_workgroup_id_z 0
		.amdhsa_system_sgpr_workgroup_info 0
		.amdhsa_system_vgpr_workitem_id 0
		.amdhsa_next_free_vgpr 1
		.amdhsa_next_free_sgpr 1
		.amdhsa_named_barrier_count 0
		.amdhsa_reserve_vcc 0
		.amdhsa_float_round_mode_32 0
		.amdhsa_float_round_mode_16_64 0
		.amdhsa_float_denorm_mode_32 3
		.amdhsa_float_denorm_mode_16_64 3
		.amdhsa_fp16_overflow 0
		.amdhsa_memory_ordered 1
		.amdhsa_forward_progress 1
		.amdhsa_inst_pref_size 0
		.amdhsa_round_robin_scheduling 0
		.amdhsa_exception_fp_ieee_invalid_op 0
		.amdhsa_exception_fp_denorm_src 0
		.amdhsa_exception_fp_ieee_div_zero 0
		.amdhsa_exception_fp_ieee_overflow 0
		.amdhsa_exception_fp_ieee_underflow 0
		.amdhsa_exception_fp_ieee_inexact 0
		.amdhsa_exception_int_div_zero 0
	.end_amdhsa_kernel
	.section	.text._ZN7rocprim17ROCPRIM_400000_NS6detail17trampoline_kernelINS0_14default_configENS1_38merge_sort_block_merge_config_selectorIjN6thrust23THRUST_200600_302600_NS5tupleIffNS6_9null_typeES8_S8_S8_S8_S8_S8_S8_EEEEZZNS1_27merge_sort_block_merge_implIS3_NS6_6detail15normal_iteratorINS6_10device_ptrIjEEEENSD_INSE_IS9_EEEEjNS1_19radix_merge_compareILb0ELb1EjNS0_19identity_decomposerEEEEE10hipError_tT0_T1_T2_jT3_P12ihipStream_tbPNSt15iterator_traitsISN_E10value_typeEPNST_ISO_E10value_typeEPSP_NS1_7vsmem_tEENKUlT_SN_SO_SP_E_clIPjSG_PS9_SI_EESM_S12_SN_SO_SP_EUlS12_E1_NS1_11comp_targetILNS1_3genE9ELNS1_11target_archE1100ELNS1_3gpuE3ELNS1_3repE0EEENS1_36merge_oddeven_config_static_selectorELNS0_4arch9wavefront6targetE0EEEvSO_,"axG",@progbits,_ZN7rocprim17ROCPRIM_400000_NS6detail17trampoline_kernelINS0_14default_configENS1_38merge_sort_block_merge_config_selectorIjN6thrust23THRUST_200600_302600_NS5tupleIffNS6_9null_typeES8_S8_S8_S8_S8_S8_S8_EEEEZZNS1_27merge_sort_block_merge_implIS3_NS6_6detail15normal_iteratorINS6_10device_ptrIjEEEENSD_INSE_IS9_EEEEjNS1_19radix_merge_compareILb0ELb1EjNS0_19identity_decomposerEEEEE10hipError_tT0_T1_T2_jT3_P12ihipStream_tbPNSt15iterator_traitsISN_E10value_typeEPNST_ISO_E10value_typeEPSP_NS1_7vsmem_tEENKUlT_SN_SO_SP_E_clIPjSG_PS9_SI_EESM_S12_SN_SO_SP_EUlS12_E1_NS1_11comp_targetILNS1_3genE9ELNS1_11target_archE1100ELNS1_3gpuE3ELNS1_3repE0EEENS1_36merge_oddeven_config_static_selectorELNS0_4arch9wavefront6targetE0EEEvSO_,comdat
.Lfunc_end113:
	.size	_ZN7rocprim17ROCPRIM_400000_NS6detail17trampoline_kernelINS0_14default_configENS1_38merge_sort_block_merge_config_selectorIjN6thrust23THRUST_200600_302600_NS5tupleIffNS6_9null_typeES8_S8_S8_S8_S8_S8_S8_EEEEZZNS1_27merge_sort_block_merge_implIS3_NS6_6detail15normal_iteratorINS6_10device_ptrIjEEEENSD_INSE_IS9_EEEEjNS1_19radix_merge_compareILb0ELb1EjNS0_19identity_decomposerEEEEE10hipError_tT0_T1_T2_jT3_P12ihipStream_tbPNSt15iterator_traitsISN_E10value_typeEPNST_ISO_E10value_typeEPSP_NS1_7vsmem_tEENKUlT_SN_SO_SP_E_clIPjSG_PS9_SI_EESM_S12_SN_SO_SP_EUlS12_E1_NS1_11comp_targetILNS1_3genE9ELNS1_11target_archE1100ELNS1_3gpuE3ELNS1_3repE0EEENS1_36merge_oddeven_config_static_selectorELNS0_4arch9wavefront6targetE0EEEvSO_, .Lfunc_end113-_ZN7rocprim17ROCPRIM_400000_NS6detail17trampoline_kernelINS0_14default_configENS1_38merge_sort_block_merge_config_selectorIjN6thrust23THRUST_200600_302600_NS5tupleIffNS6_9null_typeES8_S8_S8_S8_S8_S8_S8_EEEEZZNS1_27merge_sort_block_merge_implIS3_NS6_6detail15normal_iteratorINS6_10device_ptrIjEEEENSD_INSE_IS9_EEEEjNS1_19radix_merge_compareILb0ELb1EjNS0_19identity_decomposerEEEEE10hipError_tT0_T1_T2_jT3_P12ihipStream_tbPNSt15iterator_traitsISN_E10value_typeEPNST_ISO_E10value_typeEPSP_NS1_7vsmem_tEENKUlT_SN_SO_SP_E_clIPjSG_PS9_SI_EESM_S12_SN_SO_SP_EUlS12_E1_NS1_11comp_targetILNS1_3genE9ELNS1_11target_archE1100ELNS1_3gpuE3ELNS1_3repE0EEENS1_36merge_oddeven_config_static_selectorELNS0_4arch9wavefront6targetE0EEEvSO_
                                        ; -- End function
	.set _ZN7rocprim17ROCPRIM_400000_NS6detail17trampoline_kernelINS0_14default_configENS1_38merge_sort_block_merge_config_selectorIjN6thrust23THRUST_200600_302600_NS5tupleIffNS6_9null_typeES8_S8_S8_S8_S8_S8_S8_EEEEZZNS1_27merge_sort_block_merge_implIS3_NS6_6detail15normal_iteratorINS6_10device_ptrIjEEEENSD_INSE_IS9_EEEEjNS1_19radix_merge_compareILb0ELb1EjNS0_19identity_decomposerEEEEE10hipError_tT0_T1_T2_jT3_P12ihipStream_tbPNSt15iterator_traitsISN_E10value_typeEPNST_ISO_E10value_typeEPSP_NS1_7vsmem_tEENKUlT_SN_SO_SP_E_clIPjSG_PS9_SI_EESM_S12_SN_SO_SP_EUlS12_E1_NS1_11comp_targetILNS1_3genE9ELNS1_11target_archE1100ELNS1_3gpuE3ELNS1_3repE0EEENS1_36merge_oddeven_config_static_selectorELNS0_4arch9wavefront6targetE0EEEvSO_.num_vgpr, 0
	.set _ZN7rocprim17ROCPRIM_400000_NS6detail17trampoline_kernelINS0_14default_configENS1_38merge_sort_block_merge_config_selectorIjN6thrust23THRUST_200600_302600_NS5tupleIffNS6_9null_typeES8_S8_S8_S8_S8_S8_S8_EEEEZZNS1_27merge_sort_block_merge_implIS3_NS6_6detail15normal_iteratorINS6_10device_ptrIjEEEENSD_INSE_IS9_EEEEjNS1_19radix_merge_compareILb0ELb1EjNS0_19identity_decomposerEEEEE10hipError_tT0_T1_T2_jT3_P12ihipStream_tbPNSt15iterator_traitsISN_E10value_typeEPNST_ISO_E10value_typeEPSP_NS1_7vsmem_tEENKUlT_SN_SO_SP_E_clIPjSG_PS9_SI_EESM_S12_SN_SO_SP_EUlS12_E1_NS1_11comp_targetILNS1_3genE9ELNS1_11target_archE1100ELNS1_3gpuE3ELNS1_3repE0EEENS1_36merge_oddeven_config_static_selectorELNS0_4arch9wavefront6targetE0EEEvSO_.num_agpr, 0
	.set _ZN7rocprim17ROCPRIM_400000_NS6detail17trampoline_kernelINS0_14default_configENS1_38merge_sort_block_merge_config_selectorIjN6thrust23THRUST_200600_302600_NS5tupleIffNS6_9null_typeES8_S8_S8_S8_S8_S8_S8_EEEEZZNS1_27merge_sort_block_merge_implIS3_NS6_6detail15normal_iteratorINS6_10device_ptrIjEEEENSD_INSE_IS9_EEEEjNS1_19radix_merge_compareILb0ELb1EjNS0_19identity_decomposerEEEEE10hipError_tT0_T1_T2_jT3_P12ihipStream_tbPNSt15iterator_traitsISN_E10value_typeEPNST_ISO_E10value_typeEPSP_NS1_7vsmem_tEENKUlT_SN_SO_SP_E_clIPjSG_PS9_SI_EESM_S12_SN_SO_SP_EUlS12_E1_NS1_11comp_targetILNS1_3genE9ELNS1_11target_archE1100ELNS1_3gpuE3ELNS1_3repE0EEENS1_36merge_oddeven_config_static_selectorELNS0_4arch9wavefront6targetE0EEEvSO_.numbered_sgpr, 0
	.set _ZN7rocprim17ROCPRIM_400000_NS6detail17trampoline_kernelINS0_14default_configENS1_38merge_sort_block_merge_config_selectorIjN6thrust23THRUST_200600_302600_NS5tupleIffNS6_9null_typeES8_S8_S8_S8_S8_S8_S8_EEEEZZNS1_27merge_sort_block_merge_implIS3_NS6_6detail15normal_iteratorINS6_10device_ptrIjEEEENSD_INSE_IS9_EEEEjNS1_19radix_merge_compareILb0ELb1EjNS0_19identity_decomposerEEEEE10hipError_tT0_T1_T2_jT3_P12ihipStream_tbPNSt15iterator_traitsISN_E10value_typeEPNST_ISO_E10value_typeEPSP_NS1_7vsmem_tEENKUlT_SN_SO_SP_E_clIPjSG_PS9_SI_EESM_S12_SN_SO_SP_EUlS12_E1_NS1_11comp_targetILNS1_3genE9ELNS1_11target_archE1100ELNS1_3gpuE3ELNS1_3repE0EEENS1_36merge_oddeven_config_static_selectorELNS0_4arch9wavefront6targetE0EEEvSO_.num_named_barrier, 0
	.set _ZN7rocprim17ROCPRIM_400000_NS6detail17trampoline_kernelINS0_14default_configENS1_38merge_sort_block_merge_config_selectorIjN6thrust23THRUST_200600_302600_NS5tupleIffNS6_9null_typeES8_S8_S8_S8_S8_S8_S8_EEEEZZNS1_27merge_sort_block_merge_implIS3_NS6_6detail15normal_iteratorINS6_10device_ptrIjEEEENSD_INSE_IS9_EEEEjNS1_19radix_merge_compareILb0ELb1EjNS0_19identity_decomposerEEEEE10hipError_tT0_T1_T2_jT3_P12ihipStream_tbPNSt15iterator_traitsISN_E10value_typeEPNST_ISO_E10value_typeEPSP_NS1_7vsmem_tEENKUlT_SN_SO_SP_E_clIPjSG_PS9_SI_EESM_S12_SN_SO_SP_EUlS12_E1_NS1_11comp_targetILNS1_3genE9ELNS1_11target_archE1100ELNS1_3gpuE3ELNS1_3repE0EEENS1_36merge_oddeven_config_static_selectorELNS0_4arch9wavefront6targetE0EEEvSO_.private_seg_size, 0
	.set _ZN7rocprim17ROCPRIM_400000_NS6detail17trampoline_kernelINS0_14default_configENS1_38merge_sort_block_merge_config_selectorIjN6thrust23THRUST_200600_302600_NS5tupleIffNS6_9null_typeES8_S8_S8_S8_S8_S8_S8_EEEEZZNS1_27merge_sort_block_merge_implIS3_NS6_6detail15normal_iteratorINS6_10device_ptrIjEEEENSD_INSE_IS9_EEEEjNS1_19radix_merge_compareILb0ELb1EjNS0_19identity_decomposerEEEEE10hipError_tT0_T1_T2_jT3_P12ihipStream_tbPNSt15iterator_traitsISN_E10value_typeEPNST_ISO_E10value_typeEPSP_NS1_7vsmem_tEENKUlT_SN_SO_SP_E_clIPjSG_PS9_SI_EESM_S12_SN_SO_SP_EUlS12_E1_NS1_11comp_targetILNS1_3genE9ELNS1_11target_archE1100ELNS1_3gpuE3ELNS1_3repE0EEENS1_36merge_oddeven_config_static_selectorELNS0_4arch9wavefront6targetE0EEEvSO_.uses_vcc, 0
	.set _ZN7rocprim17ROCPRIM_400000_NS6detail17trampoline_kernelINS0_14default_configENS1_38merge_sort_block_merge_config_selectorIjN6thrust23THRUST_200600_302600_NS5tupleIffNS6_9null_typeES8_S8_S8_S8_S8_S8_S8_EEEEZZNS1_27merge_sort_block_merge_implIS3_NS6_6detail15normal_iteratorINS6_10device_ptrIjEEEENSD_INSE_IS9_EEEEjNS1_19radix_merge_compareILb0ELb1EjNS0_19identity_decomposerEEEEE10hipError_tT0_T1_T2_jT3_P12ihipStream_tbPNSt15iterator_traitsISN_E10value_typeEPNST_ISO_E10value_typeEPSP_NS1_7vsmem_tEENKUlT_SN_SO_SP_E_clIPjSG_PS9_SI_EESM_S12_SN_SO_SP_EUlS12_E1_NS1_11comp_targetILNS1_3genE9ELNS1_11target_archE1100ELNS1_3gpuE3ELNS1_3repE0EEENS1_36merge_oddeven_config_static_selectorELNS0_4arch9wavefront6targetE0EEEvSO_.uses_flat_scratch, 0
	.set _ZN7rocprim17ROCPRIM_400000_NS6detail17trampoline_kernelINS0_14default_configENS1_38merge_sort_block_merge_config_selectorIjN6thrust23THRUST_200600_302600_NS5tupleIffNS6_9null_typeES8_S8_S8_S8_S8_S8_S8_EEEEZZNS1_27merge_sort_block_merge_implIS3_NS6_6detail15normal_iteratorINS6_10device_ptrIjEEEENSD_INSE_IS9_EEEEjNS1_19radix_merge_compareILb0ELb1EjNS0_19identity_decomposerEEEEE10hipError_tT0_T1_T2_jT3_P12ihipStream_tbPNSt15iterator_traitsISN_E10value_typeEPNST_ISO_E10value_typeEPSP_NS1_7vsmem_tEENKUlT_SN_SO_SP_E_clIPjSG_PS9_SI_EESM_S12_SN_SO_SP_EUlS12_E1_NS1_11comp_targetILNS1_3genE9ELNS1_11target_archE1100ELNS1_3gpuE3ELNS1_3repE0EEENS1_36merge_oddeven_config_static_selectorELNS0_4arch9wavefront6targetE0EEEvSO_.has_dyn_sized_stack, 0
	.set _ZN7rocprim17ROCPRIM_400000_NS6detail17trampoline_kernelINS0_14default_configENS1_38merge_sort_block_merge_config_selectorIjN6thrust23THRUST_200600_302600_NS5tupleIffNS6_9null_typeES8_S8_S8_S8_S8_S8_S8_EEEEZZNS1_27merge_sort_block_merge_implIS3_NS6_6detail15normal_iteratorINS6_10device_ptrIjEEEENSD_INSE_IS9_EEEEjNS1_19radix_merge_compareILb0ELb1EjNS0_19identity_decomposerEEEEE10hipError_tT0_T1_T2_jT3_P12ihipStream_tbPNSt15iterator_traitsISN_E10value_typeEPNST_ISO_E10value_typeEPSP_NS1_7vsmem_tEENKUlT_SN_SO_SP_E_clIPjSG_PS9_SI_EESM_S12_SN_SO_SP_EUlS12_E1_NS1_11comp_targetILNS1_3genE9ELNS1_11target_archE1100ELNS1_3gpuE3ELNS1_3repE0EEENS1_36merge_oddeven_config_static_selectorELNS0_4arch9wavefront6targetE0EEEvSO_.has_recursion, 0
	.set _ZN7rocprim17ROCPRIM_400000_NS6detail17trampoline_kernelINS0_14default_configENS1_38merge_sort_block_merge_config_selectorIjN6thrust23THRUST_200600_302600_NS5tupleIffNS6_9null_typeES8_S8_S8_S8_S8_S8_S8_EEEEZZNS1_27merge_sort_block_merge_implIS3_NS6_6detail15normal_iteratorINS6_10device_ptrIjEEEENSD_INSE_IS9_EEEEjNS1_19radix_merge_compareILb0ELb1EjNS0_19identity_decomposerEEEEE10hipError_tT0_T1_T2_jT3_P12ihipStream_tbPNSt15iterator_traitsISN_E10value_typeEPNST_ISO_E10value_typeEPSP_NS1_7vsmem_tEENKUlT_SN_SO_SP_E_clIPjSG_PS9_SI_EESM_S12_SN_SO_SP_EUlS12_E1_NS1_11comp_targetILNS1_3genE9ELNS1_11target_archE1100ELNS1_3gpuE3ELNS1_3repE0EEENS1_36merge_oddeven_config_static_selectorELNS0_4arch9wavefront6targetE0EEEvSO_.has_indirect_call, 0
	.section	.AMDGPU.csdata,"",@progbits
; Kernel info:
; codeLenInByte = 0
; TotalNumSgprs: 0
; NumVgprs: 0
; ScratchSize: 0
; MemoryBound: 0
; FloatMode: 240
; IeeeMode: 1
; LDSByteSize: 0 bytes/workgroup (compile time only)
; SGPRBlocks: 0
; VGPRBlocks: 0
; NumSGPRsForWavesPerEU: 1
; NumVGPRsForWavesPerEU: 1
; NamedBarCnt: 0
; Occupancy: 16
; WaveLimiterHint : 0
; COMPUTE_PGM_RSRC2:SCRATCH_EN: 0
; COMPUTE_PGM_RSRC2:USER_SGPR: 2
; COMPUTE_PGM_RSRC2:TRAP_HANDLER: 0
; COMPUTE_PGM_RSRC2:TGID_X_EN: 1
; COMPUTE_PGM_RSRC2:TGID_Y_EN: 0
; COMPUTE_PGM_RSRC2:TGID_Z_EN: 0
; COMPUTE_PGM_RSRC2:TIDIG_COMP_CNT: 0
	.section	.text._ZN7rocprim17ROCPRIM_400000_NS6detail17trampoline_kernelINS0_14default_configENS1_38merge_sort_block_merge_config_selectorIjN6thrust23THRUST_200600_302600_NS5tupleIffNS6_9null_typeES8_S8_S8_S8_S8_S8_S8_EEEEZZNS1_27merge_sort_block_merge_implIS3_NS6_6detail15normal_iteratorINS6_10device_ptrIjEEEENSD_INSE_IS9_EEEEjNS1_19radix_merge_compareILb0ELb1EjNS0_19identity_decomposerEEEEE10hipError_tT0_T1_T2_jT3_P12ihipStream_tbPNSt15iterator_traitsISN_E10value_typeEPNST_ISO_E10value_typeEPSP_NS1_7vsmem_tEENKUlT_SN_SO_SP_E_clIPjSG_PS9_SI_EESM_S12_SN_SO_SP_EUlS12_E1_NS1_11comp_targetILNS1_3genE8ELNS1_11target_archE1030ELNS1_3gpuE2ELNS1_3repE0EEENS1_36merge_oddeven_config_static_selectorELNS0_4arch9wavefront6targetE0EEEvSO_,"axG",@progbits,_ZN7rocprim17ROCPRIM_400000_NS6detail17trampoline_kernelINS0_14default_configENS1_38merge_sort_block_merge_config_selectorIjN6thrust23THRUST_200600_302600_NS5tupleIffNS6_9null_typeES8_S8_S8_S8_S8_S8_S8_EEEEZZNS1_27merge_sort_block_merge_implIS3_NS6_6detail15normal_iteratorINS6_10device_ptrIjEEEENSD_INSE_IS9_EEEEjNS1_19radix_merge_compareILb0ELb1EjNS0_19identity_decomposerEEEEE10hipError_tT0_T1_T2_jT3_P12ihipStream_tbPNSt15iterator_traitsISN_E10value_typeEPNST_ISO_E10value_typeEPSP_NS1_7vsmem_tEENKUlT_SN_SO_SP_E_clIPjSG_PS9_SI_EESM_S12_SN_SO_SP_EUlS12_E1_NS1_11comp_targetILNS1_3genE8ELNS1_11target_archE1030ELNS1_3gpuE2ELNS1_3repE0EEENS1_36merge_oddeven_config_static_selectorELNS0_4arch9wavefront6targetE0EEEvSO_,comdat
	.protected	_ZN7rocprim17ROCPRIM_400000_NS6detail17trampoline_kernelINS0_14default_configENS1_38merge_sort_block_merge_config_selectorIjN6thrust23THRUST_200600_302600_NS5tupleIffNS6_9null_typeES8_S8_S8_S8_S8_S8_S8_EEEEZZNS1_27merge_sort_block_merge_implIS3_NS6_6detail15normal_iteratorINS6_10device_ptrIjEEEENSD_INSE_IS9_EEEEjNS1_19radix_merge_compareILb0ELb1EjNS0_19identity_decomposerEEEEE10hipError_tT0_T1_T2_jT3_P12ihipStream_tbPNSt15iterator_traitsISN_E10value_typeEPNST_ISO_E10value_typeEPSP_NS1_7vsmem_tEENKUlT_SN_SO_SP_E_clIPjSG_PS9_SI_EESM_S12_SN_SO_SP_EUlS12_E1_NS1_11comp_targetILNS1_3genE8ELNS1_11target_archE1030ELNS1_3gpuE2ELNS1_3repE0EEENS1_36merge_oddeven_config_static_selectorELNS0_4arch9wavefront6targetE0EEEvSO_ ; -- Begin function _ZN7rocprim17ROCPRIM_400000_NS6detail17trampoline_kernelINS0_14default_configENS1_38merge_sort_block_merge_config_selectorIjN6thrust23THRUST_200600_302600_NS5tupleIffNS6_9null_typeES8_S8_S8_S8_S8_S8_S8_EEEEZZNS1_27merge_sort_block_merge_implIS3_NS6_6detail15normal_iteratorINS6_10device_ptrIjEEEENSD_INSE_IS9_EEEEjNS1_19radix_merge_compareILb0ELb1EjNS0_19identity_decomposerEEEEE10hipError_tT0_T1_T2_jT3_P12ihipStream_tbPNSt15iterator_traitsISN_E10value_typeEPNST_ISO_E10value_typeEPSP_NS1_7vsmem_tEENKUlT_SN_SO_SP_E_clIPjSG_PS9_SI_EESM_S12_SN_SO_SP_EUlS12_E1_NS1_11comp_targetILNS1_3genE8ELNS1_11target_archE1030ELNS1_3gpuE2ELNS1_3repE0EEENS1_36merge_oddeven_config_static_selectorELNS0_4arch9wavefront6targetE0EEEvSO_
	.globl	_ZN7rocprim17ROCPRIM_400000_NS6detail17trampoline_kernelINS0_14default_configENS1_38merge_sort_block_merge_config_selectorIjN6thrust23THRUST_200600_302600_NS5tupleIffNS6_9null_typeES8_S8_S8_S8_S8_S8_S8_EEEEZZNS1_27merge_sort_block_merge_implIS3_NS6_6detail15normal_iteratorINS6_10device_ptrIjEEEENSD_INSE_IS9_EEEEjNS1_19radix_merge_compareILb0ELb1EjNS0_19identity_decomposerEEEEE10hipError_tT0_T1_T2_jT3_P12ihipStream_tbPNSt15iterator_traitsISN_E10value_typeEPNST_ISO_E10value_typeEPSP_NS1_7vsmem_tEENKUlT_SN_SO_SP_E_clIPjSG_PS9_SI_EESM_S12_SN_SO_SP_EUlS12_E1_NS1_11comp_targetILNS1_3genE8ELNS1_11target_archE1030ELNS1_3gpuE2ELNS1_3repE0EEENS1_36merge_oddeven_config_static_selectorELNS0_4arch9wavefront6targetE0EEEvSO_
	.p2align	8
	.type	_ZN7rocprim17ROCPRIM_400000_NS6detail17trampoline_kernelINS0_14default_configENS1_38merge_sort_block_merge_config_selectorIjN6thrust23THRUST_200600_302600_NS5tupleIffNS6_9null_typeES8_S8_S8_S8_S8_S8_S8_EEEEZZNS1_27merge_sort_block_merge_implIS3_NS6_6detail15normal_iteratorINS6_10device_ptrIjEEEENSD_INSE_IS9_EEEEjNS1_19radix_merge_compareILb0ELb1EjNS0_19identity_decomposerEEEEE10hipError_tT0_T1_T2_jT3_P12ihipStream_tbPNSt15iterator_traitsISN_E10value_typeEPNST_ISO_E10value_typeEPSP_NS1_7vsmem_tEENKUlT_SN_SO_SP_E_clIPjSG_PS9_SI_EESM_S12_SN_SO_SP_EUlS12_E1_NS1_11comp_targetILNS1_3genE8ELNS1_11target_archE1030ELNS1_3gpuE2ELNS1_3repE0EEENS1_36merge_oddeven_config_static_selectorELNS0_4arch9wavefront6targetE0EEEvSO_,@function
_ZN7rocprim17ROCPRIM_400000_NS6detail17trampoline_kernelINS0_14default_configENS1_38merge_sort_block_merge_config_selectorIjN6thrust23THRUST_200600_302600_NS5tupleIffNS6_9null_typeES8_S8_S8_S8_S8_S8_S8_EEEEZZNS1_27merge_sort_block_merge_implIS3_NS6_6detail15normal_iteratorINS6_10device_ptrIjEEEENSD_INSE_IS9_EEEEjNS1_19radix_merge_compareILb0ELb1EjNS0_19identity_decomposerEEEEE10hipError_tT0_T1_T2_jT3_P12ihipStream_tbPNSt15iterator_traitsISN_E10value_typeEPNST_ISO_E10value_typeEPSP_NS1_7vsmem_tEENKUlT_SN_SO_SP_E_clIPjSG_PS9_SI_EESM_S12_SN_SO_SP_EUlS12_E1_NS1_11comp_targetILNS1_3genE8ELNS1_11target_archE1030ELNS1_3gpuE2ELNS1_3repE0EEENS1_36merge_oddeven_config_static_selectorELNS0_4arch9wavefront6targetE0EEEvSO_: ; @_ZN7rocprim17ROCPRIM_400000_NS6detail17trampoline_kernelINS0_14default_configENS1_38merge_sort_block_merge_config_selectorIjN6thrust23THRUST_200600_302600_NS5tupleIffNS6_9null_typeES8_S8_S8_S8_S8_S8_S8_EEEEZZNS1_27merge_sort_block_merge_implIS3_NS6_6detail15normal_iteratorINS6_10device_ptrIjEEEENSD_INSE_IS9_EEEEjNS1_19radix_merge_compareILb0ELb1EjNS0_19identity_decomposerEEEEE10hipError_tT0_T1_T2_jT3_P12ihipStream_tbPNSt15iterator_traitsISN_E10value_typeEPNST_ISO_E10value_typeEPSP_NS1_7vsmem_tEENKUlT_SN_SO_SP_E_clIPjSG_PS9_SI_EESM_S12_SN_SO_SP_EUlS12_E1_NS1_11comp_targetILNS1_3genE8ELNS1_11target_archE1030ELNS1_3gpuE2ELNS1_3repE0EEENS1_36merge_oddeven_config_static_selectorELNS0_4arch9wavefront6targetE0EEEvSO_
; %bb.0:
	.section	.rodata,"a",@progbits
	.p2align	6, 0x0
	.amdhsa_kernel _ZN7rocprim17ROCPRIM_400000_NS6detail17trampoline_kernelINS0_14default_configENS1_38merge_sort_block_merge_config_selectorIjN6thrust23THRUST_200600_302600_NS5tupleIffNS6_9null_typeES8_S8_S8_S8_S8_S8_S8_EEEEZZNS1_27merge_sort_block_merge_implIS3_NS6_6detail15normal_iteratorINS6_10device_ptrIjEEEENSD_INSE_IS9_EEEEjNS1_19radix_merge_compareILb0ELb1EjNS0_19identity_decomposerEEEEE10hipError_tT0_T1_T2_jT3_P12ihipStream_tbPNSt15iterator_traitsISN_E10value_typeEPNST_ISO_E10value_typeEPSP_NS1_7vsmem_tEENKUlT_SN_SO_SP_E_clIPjSG_PS9_SI_EESM_S12_SN_SO_SP_EUlS12_E1_NS1_11comp_targetILNS1_3genE8ELNS1_11target_archE1030ELNS1_3gpuE2ELNS1_3repE0EEENS1_36merge_oddeven_config_static_selectorELNS0_4arch9wavefront6targetE0EEEvSO_
		.amdhsa_group_segment_fixed_size 0
		.amdhsa_private_segment_fixed_size 0
		.amdhsa_kernarg_size 48
		.amdhsa_user_sgpr_count 2
		.amdhsa_user_sgpr_dispatch_ptr 0
		.amdhsa_user_sgpr_queue_ptr 0
		.amdhsa_user_sgpr_kernarg_segment_ptr 1
		.amdhsa_user_sgpr_dispatch_id 0
		.amdhsa_user_sgpr_kernarg_preload_length 0
		.amdhsa_user_sgpr_kernarg_preload_offset 0
		.amdhsa_user_sgpr_private_segment_size 0
		.amdhsa_wavefront_size32 1
		.amdhsa_uses_dynamic_stack 0
		.amdhsa_enable_private_segment 0
		.amdhsa_system_sgpr_workgroup_id_x 1
		.amdhsa_system_sgpr_workgroup_id_y 0
		.amdhsa_system_sgpr_workgroup_id_z 0
		.amdhsa_system_sgpr_workgroup_info 0
		.amdhsa_system_vgpr_workitem_id 0
		.amdhsa_next_free_vgpr 1
		.amdhsa_next_free_sgpr 1
		.amdhsa_named_barrier_count 0
		.amdhsa_reserve_vcc 0
		.amdhsa_float_round_mode_32 0
		.amdhsa_float_round_mode_16_64 0
		.amdhsa_float_denorm_mode_32 3
		.amdhsa_float_denorm_mode_16_64 3
		.amdhsa_fp16_overflow 0
		.amdhsa_memory_ordered 1
		.amdhsa_forward_progress 1
		.amdhsa_inst_pref_size 0
		.amdhsa_round_robin_scheduling 0
		.amdhsa_exception_fp_ieee_invalid_op 0
		.amdhsa_exception_fp_denorm_src 0
		.amdhsa_exception_fp_ieee_div_zero 0
		.amdhsa_exception_fp_ieee_overflow 0
		.amdhsa_exception_fp_ieee_underflow 0
		.amdhsa_exception_fp_ieee_inexact 0
		.amdhsa_exception_int_div_zero 0
	.end_amdhsa_kernel
	.section	.text._ZN7rocprim17ROCPRIM_400000_NS6detail17trampoline_kernelINS0_14default_configENS1_38merge_sort_block_merge_config_selectorIjN6thrust23THRUST_200600_302600_NS5tupleIffNS6_9null_typeES8_S8_S8_S8_S8_S8_S8_EEEEZZNS1_27merge_sort_block_merge_implIS3_NS6_6detail15normal_iteratorINS6_10device_ptrIjEEEENSD_INSE_IS9_EEEEjNS1_19radix_merge_compareILb0ELb1EjNS0_19identity_decomposerEEEEE10hipError_tT0_T1_T2_jT3_P12ihipStream_tbPNSt15iterator_traitsISN_E10value_typeEPNST_ISO_E10value_typeEPSP_NS1_7vsmem_tEENKUlT_SN_SO_SP_E_clIPjSG_PS9_SI_EESM_S12_SN_SO_SP_EUlS12_E1_NS1_11comp_targetILNS1_3genE8ELNS1_11target_archE1030ELNS1_3gpuE2ELNS1_3repE0EEENS1_36merge_oddeven_config_static_selectorELNS0_4arch9wavefront6targetE0EEEvSO_,"axG",@progbits,_ZN7rocprim17ROCPRIM_400000_NS6detail17trampoline_kernelINS0_14default_configENS1_38merge_sort_block_merge_config_selectorIjN6thrust23THRUST_200600_302600_NS5tupleIffNS6_9null_typeES8_S8_S8_S8_S8_S8_S8_EEEEZZNS1_27merge_sort_block_merge_implIS3_NS6_6detail15normal_iteratorINS6_10device_ptrIjEEEENSD_INSE_IS9_EEEEjNS1_19radix_merge_compareILb0ELb1EjNS0_19identity_decomposerEEEEE10hipError_tT0_T1_T2_jT3_P12ihipStream_tbPNSt15iterator_traitsISN_E10value_typeEPNST_ISO_E10value_typeEPSP_NS1_7vsmem_tEENKUlT_SN_SO_SP_E_clIPjSG_PS9_SI_EESM_S12_SN_SO_SP_EUlS12_E1_NS1_11comp_targetILNS1_3genE8ELNS1_11target_archE1030ELNS1_3gpuE2ELNS1_3repE0EEENS1_36merge_oddeven_config_static_selectorELNS0_4arch9wavefront6targetE0EEEvSO_,comdat
.Lfunc_end114:
	.size	_ZN7rocprim17ROCPRIM_400000_NS6detail17trampoline_kernelINS0_14default_configENS1_38merge_sort_block_merge_config_selectorIjN6thrust23THRUST_200600_302600_NS5tupleIffNS6_9null_typeES8_S8_S8_S8_S8_S8_S8_EEEEZZNS1_27merge_sort_block_merge_implIS3_NS6_6detail15normal_iteratorINS6_10device_ptrIjEEEENSD_INSE_IS9_EEEEjNS1_19radix_merge_compareILb0ELb1EjNS0_19identity_decomposerEEEEE10hipError_tT0_T1_T2_jT3_P12ihipStream_tbPNSt15iterator_traitsISN_E10value_typeEPNST_ISO_E10value_typeEPSP_NS1_7vsmem_tEENKUlT_SN_SO_SP_E_clIPjSG_PS9_SI_EESM_S12_SN_SO_SP_EUlS12_E1_NS1_11comp_targetILNS1_3genE8ELNS1_11target_archE1030ELNS1_3gpuE2ELNS1_3repE0EEENS1_36merge_oddeven_config_static_selectorELNS0_4arch9wavefront6targetE0EEEvSO_, .Lfunc_end114-_ZN7rocprim17ROCPRIM_400000_NS6detail17trampoline_kernelINS0_14default_configENS1_38merge_sort_block_merge_config_selectorIjN6thrust23THRUST_200600_302600_NS5tupleIffNS6_9null_typeES8_S8_S8_S8_S8_S8_S8_EEEEZZNS1_27merge_sort_block_merge_implIS3_NS6_6detail15normal_iteratorINS6_10device_ptrIjEEEENSD_INSE_IS9_EEEEjNS1_19radix_merge_compareILb0ELb1EjNS0_19identity_decomposerEEEEE10hipError_tT0_T1_T2_jT3_P12ihipStream_tbPNSt15iterator_traitsISN_E10value_typeEPNST_ISO_E10value_typeEPSP_NS1_7vsmem_tEENKUlT_SN_SO_SP_E_clIPjSG_PS9_SI_EESM_S12_SN_SO_SP_EUlS12_E1_NS1_11comp_targetILNS1_3genE8ELNS1_11target_archE1030ELNS1_3gpuE2ELNS1_3repE0EEENS1_36merge_oddeven_config_static_selectorELNS0_4arch9wavefront6targetE0EEEvSO_
                                        ; -- End function
	.set _ZN7rocprim17ROCPRIM_400000_NS6detail17trampoline_kernelINS0_14default_configENS1_38merge_sort_block_merge_config_selectorIjN6thrust23THRUST_200600_302600_NS5tupleIffNS6_9null_typeES8_S8_S8_S8_S8_S8_S8_EEEEZZNS1_27merge_sort_block_merge_implIS3_NS6_6detail15normal_iteratorINS6_10device_ptrIjEEEENSD_INSE_IS9_EEEEjNS1_19radix_merge_compareILb0ELb1EjNS0_19identity_decomposerEEEEE10hipError_tT0_T1_T2_jT3_P12ihipStream_tbPNSt15iterator_traitsISN_E10value_typeEPNST_ISO_E10value_typeEPSP_NS1_7vsmem_tEENKUlT_SN_SO_SP_E_clIPjSG_PS9_SI_EESM_S12_SN_SO_SP_EUlS12_E1_NS1_11comp_targetILNS1_3genE8ELNS1_11target_archE1030ELNS1_3gpuE2ELNS1_3repE0EEENS1_36merge_oddeven_config_static_selectorELNS0_4arch9wavefront6targetE0EEEvSO_.num_vgpr, 0
	.set _ZN7rocprim17ROCPRIM_400000_NS6detail17trampoline_kernelINS0_14default_configENS1_38merge_sort_block_merge_config_selectorIjN6thrust23THRUST_200600_302600_NS5tupleIffNS6_9null_typeES8_S8_S8_S8_S8_S8_S8_EEEEZZNS1_27merge_sort_block_merge_implIS3_NS6_6detail15normal_iteratorINS6_10device_ptrIjEEEENSD_INSE_IS9_EEEEjNS1_19radix_merge_compareILb0ELb1EjNS0_19identity_decomposerEEEEE10hipError_tT0_T1_T2_jT3_P12ihipStream_tbPNSt15iterator_traitsISN_E10value_typeEPNST_ISO_E10value_typeEPSP_NS1_7vsmem_tEENKUlT_SN_SO_SP_E_clIPjSG_PS9_SI_EESM_S12_SN_SO_SP_EUlS12_E1_NS1_11comp_targetILNS1_3genE8ELNS1_11target_archE1030ELNS1_3gpuE2ELNS1_3repE0EEENS1_36merge_oddeven_config_static_selectorELNS0_4arch9wavefront6targetE0EEEvSO_.num_agpr, 0
	.set _ZN7rocprim17ROCPRIM_400000_NS6detail17trampoline_kernelINS0_14default_configENS1_38merge_sort_block_merge_config_selectorIjN6thrust23THRUST_200600_302600_NS5tupleIffNS6_9null_typeES8_S8_S8_S8_S8_S8_S8_EEEEZZNS1_27merge_sort_block_merge_implIS3_NS6_6detail15normal_iteratorINS6_10device_ptrIjEEEENSD_INSE_IS9_EEEEjNS1_19radix_merge_compareILb0ELb1EjNS0_19identity_decomposerEEEEE10hipError_tT0_T1_T2_jT3_P12ihipStream_tbPNSt15iterator_traitsISN_E10value_typeEPNST_ISO_E10value_typeEPSP_NS1_7vsmem_tEENKUlT_SN_SO_SP_E_clIPjSG_PS9_SI_EESM_S12_SN_SO_SP_EUlS12_E1_NS1_11comp_targetILNS1_3genE8ELNS1_11target_archE1030ELNS1_3gpuE2ELNS1_3repE0EEENS1_36merge_oddeven_config_static_selectorELNS0_4arch9wavefront6targetE0EEEvSO_.numbered_sgpr, 0
	.set _ZN7rocprim17ROCPRIM_400000_NS6detail17trampoline_kernelINS0_14default_configENS1_38merge_sort_block_merge_config_selectorIjN6thrust23THRUST_200600_302600_NS5tupleIffNS6_9null_typeES8_S8_S8_S8_S8_S8_S8_EEEEZZNS1_27merge_sort_block_merge_implIS3_NS6_6detail15normal_iteratorINS6_10device_ptrIjEEEENSD_INSE_IS9_EEEEjNS1_19radix_merge_compareILb0ELb1EjNS0_19identity_decomposerEEEEE10hipError_tT0_T1_T2_jT3_P12ihipStream_tbPNSt15iterator_traitsISN_E10value_typeEPNST_ISO_E10value_typeEPSP_NS1_7vsmem_tEENKUlT_SN_SO_SP_E_clIPjSG_PS9_SI_EESM_S12_SN_SO_SP_EUlS12_E1_NS1_11comp_targetILNS1_3genE8ELNS1_11target_archE1030ELNS1_3gpuE2ELNS1_3repE0EEENS1_36merge_oddeven_config_static_selectorELNS0_4arch9wavefront6targetE0EEEvSO_.num_named_barrier, 0
	.set _ZN7rocprim17ROCPRIM_400000_NS6detail17trampoline_kernelINS0_14default_configENS1_38merge_sort_block_merge_config_selectorIjN6thrust23THRUST_200600_302600_NS5tupleIffNS6_9null_typeES8_S8_S8_S8_S8_S8_S8_EEEEZZNS1_27merge_sort_block_merge_implIS3_NS6_6detail15normal_iteratorINS6_10device_ptrIjEEEENSD_INSE_IS9_EEEEjNS1_19radix_merge_compareILb0ELb1EjNS0_19identity_decomposerEEEEE10hipError_tT0_T1_T2_jT3_P12ihipStream_tbPNSt15iterator_traitsISN_E10value_typeEPNST_ISO_E10value_typeEPSP_NS1_7vsmem_tEENKUlT_SN_SO_SP_E_clIPjSG_PS9_SI_EESM_S12_SN_SO_SP_EUlS12_E1_NS1_11comp_targetILNS1_3genE8ELNS1_11target_archE1030ELNS1_3gpuE2ELNS1_3repE0EEENS1_36merge_oddeven_config_static_selectorELNS0_4arch9wavefront6targetE0EEEvSO_.private_seg_size, 0
	.set _ZN7rocprim17ROCPRIM_400000_NS6detail17trampoline_kernelINS0_14default_configENS1_38merge_sort_block_merge_config_selectorIjN6thrust23THRUST_200600_302600_NS5tupleIffNS6_9null_typeES8_S8_S8_S8_S8_S8_S8_EEEEZZNS1_27merge_sort_block_merge_implIS3_NS6_6detail15normal_iteratorINS6_10device_ptrIjEEEENSD_INSE_IS9_EEEEjNS1_19radix_merge_compareILb0ELb1EjNS0_19identity_decomposerEEEEE10hipError_tT0_T1_T2_jT3_P12ihipStream_tbPNSt15iterator_traitsISN_E10value_typeEPNST_ISO_E10value_typeEPSP_NS1_7vsmem_tEENKUlT_SN_SO_SP_E_clIPjSG_PS9_SI_EESM_S12_SN_SO_SP_EUlS12_E1_NS1_11comp_targetILNS1_3genE8ELNS1_11target_archE1030ELNS1_3gpuE2ELNS1_3repE0EEENS1_36merge_oddeven_config_static_selectorELNS0_4arch9wavefront6targetE0EEEvSO_.uses_vcc, 0
	.set _ZN7rocprim17ROCPRIM_400000_NS6detail17trampoline_kernelINS0_14default_configENS1_38merge_sort_block_merge_config_selectorIjN6thrust23THRUST_200600_302600_NS5tupleIffNS6_9null_typeES8_S8_S8_S8_S8_S8_S8_EEEEZZNS1_27merge_sort_block_merge_implIS3_NS6_6detail15normal_iteratorINS6_10device_ptrIjEEEENSD_INSE_IS9_EEEEjNS1_19radix_merge_compareILb0ELb1EjNS0_19identity_decomposerEEEEE10hipError_tT0_T1_T2_jT3_P12ihipStream_tbPNSt15iterator_traitsISN_E10value_typeEPNST_ISO_E10value_typeEPSP_NS1_7vsmem_tEENKUlT_SN_SO_SP_E_clIPjSG_PS9_SI_EESM_S12_SN_SO_SP_EUlS12_E1_NS1_11comp_targetILNS1_3genE8ELNS1_11target_archE1030ELNS1_3gpuE2ELNS1_3repE0EEENS1_36merge_oddeven_config_static_selectorELNS0_4arch9wavefront6targetE0EEEvSO_.uses_flat_scratch, 0
	.set _ZN7rocprim17ROCPRIM_400000_NS6detail17trampoline_kernelINS0_14default_configENS1_38merge_sort_block_merge_config_selectorIjN6thrust23THRUST_200600_302600_NS5tupleIffNS6_9null_typeES8_S8_S8_S8_S8_S8_S8_EEEEZZNS1_27merge_sort_block_merge_implIS3_NS6_6detail15normal_iteratorINS6_10device_ptrIjEEEENSD_INSE_IS9_EEEEjNS1_19radix_merge_compareILb0ELb1EjNS0_19identity_decomposerEEEEE10hipError_tT0_T1_T2_jT3_P12ihipStream_tbPNSt15iterator_traitsISN_E10value_typeEPNST_ISO_E10value_typeEPSP_NS1_7vsmem_tEENKUlT_SN_SO_SP_E_clIPjSG_PS9_SI_EESM_S12_SN_SO_SP_EUlS12_E1_NS1_11comp_targetILNS1_3genE8ELNS1_11target_archE1030ELNS1_3gpuE2ELNS1_3repE0EEENS1_36merge_oddeven_config_static_selectorELNS0_4arch9wavefront6targetE0EEEvSO_.has_dyn_sized_stack, 0
	.set _ZN7rocprim17ROCPRIM_400000_NS6detail17trampoline_kernelINS0_14default_configENS1_38merge_sort_block_merge_config_selectorIjN6thrust23THRUST_200600_302600_NS5tupleIffNS6_9null_typeES8_S8_S8_S8_S8_S8_S8_EEEEZZNS1_27merge_sort_block_merge_implIS3_NS6_6detail15normal_iteratorINS6_10device_ptrIjEEEENSD_INSE_IS9_EEEEjNS1_19radix_merge_compareILb0ELb1EjNS0_19identity_decomposerEEEEE10hipError_tT0_T1_T2_jT3_P12ihipStream_tbPNSt15iterator_traitsISN_E10value_typeEPNST_ISO_E10value_typeEPSP_NS1_7vsmem_tEENKUlT_SN_SO_SP_E_clIPjSG_PS9_SI_EESM_S12_SN_SO_SP_EUlS12_E1_NS1_11comp_targetILNS1_3genE8ELNS1_11target_archE1030ELNS1_3gpuE2ELNS1_3repE0EEENS1_36merge_oddeven_config_static_selectorELNS0_4arch9wavefront6targetE0EEEvSO_.has_recursion, 0
	.set _ZN7rocprim17ROCPRIM_400000_NS6detail17trampoline_kernelINS0_14default_configENS1_38merge_sort_block_merge_config_selectorIjN6thrust23THRUST_200600_302600_NS5tupleIffNS6_9null_typeES8_S8_S8_S8_S8_S8_S8_EEEEZZNS1_27merge_sort_block_merge_implIS3_NS6_6detail15normal_iteratorINS6_10device_ptrIjEEEENSD_INSE_IS9_EEEEjNS1_19radix_merge_compareILb0ELb1EjNS0_19identity_decomposerEEEEE10hipError_tT0_T1_T2_jT3_P12ihipStream_tbPNSt15iterator_traitsISN_E10value_typeEPNST_ISO_E10value_typeEPSP_NS1_7vsmem_tEENKUlT_SN_SO_SP_E_clIPjSG_PS9_SI_EESM_S12_SN_SO_SP_EUlS12_E1_NS1_11comp_targetILNS1_3genE8ELNS1_11target_archE1030ELNS1_3gpuE2ELNS1_3repE0EEENS1_36merge_oddeven_config_static_selectorELNS0_4arch9wavefront6targetE0EEEvSO_.has_indirect_call, 0
	.section	.AMDGPU.csdata,"",@progbits
; Kernel info:
; codeLenInByte = 0
; TotalNumSgprs: 0
; NumVgprs: 0
; ScratchSize: 0
; MemoryBound: 0
; FloatMode: 240
; IeeeMode: 1
; LDSByteSize: 0 bytes/workgroup (compile time only)
; SGPRBlocks: 0
; VGPRBlocks: 0
; NumSGPRsForWavesPerEU: 1
; NumVGPRsForWavesPerEU: 1
; NamedBarCnt: 0
; Occupancy: 16
; WaveLimiterHint : 0
; COMPUTE_PGM_RSRC2:SCRATCH_EN: 0
; COMPUTE_PGM_RSRC2:USER_SGPR: 2
; COMPUTE_PGM_RSRC2:TRAP_HANDLER: 0
; COMPUTE_PGM_RSRC2:TGID_X_EN: 1
; COMPUTE_PGM_RSRC2:TGID_Y_EN: 0
; COMPUTE_PGM_RSRC2:TGID_Z_EN: 0
; COMPUTE_PGM_RSRC2:TIDIG_COMP_CNT: 0
	.section	.text._ZN7rocprim17ROCPRIM_400000_NS6detail17trampoline_kernelINS0_14default_configENS1_38merge_sort_block_merge_config_selectorIjN6thrust23THRUST_200600_302600_NS5tupleIffNS6_9null_typeES8_S8_S8_S8_S8_S8_S8_EEEEZZNS1_27merge_sort_block_merge_implIS3_NS6_6detail15normal_iteratorINS6_10device_ptrIjEEEENSD_INSE_IS9_EEEEjNS1_19radix_merge_compareILb0ELb1EjNS0_19identity_decomposerEEEEE10hipError_tT0_T1_T2_jT3_P12ihipStream_tbPNSt15iterator_traitsISN_E10value_typeEPNST_ISO_E10value_typeEPSP_NS1_7vsmem_tEENKUlT_SN_SO_SP_E_clISG_PjSI_PS9_EESM_S12_SN_SO_SP_EUlS12_E_NS1_11comp_targetILNS1_3genE0ELNS1_11target_archE4294967295ELNS1_3gpuE0ELNS1_3repE0EEENS1_48merge_mergepath_partition_config_static_selectorELNS0_4arch9wavefront6targetE0EEEvSO_,"axG",@progbits,_ZN7rocprim17ROCPRIM_400000_NS6detail17trampoline_kernelINS0_14default_configENS1_38merge_sort_block_merge_config_selectorIjN6thrust23THRUST_200600_302600_NS5tupleIffNS6_9null_typeES8_S8_S8_S8_S8_S8_S8_EEEEZZNS1_27merge_sort_block_merge_implIS3_NS6_6detail15normal_iteratorINS6_10device_ptrIjEEEENSD_INSE_IS9_EEEEjNS1_19radix_merge_compareILb0ELb1EjNS0_19identity_decomposerEEEEE10hipError_tT0_T1_T2_jT3_P12ihipStream_tbPNSt15iterator_traitsISN_E10value_typeEPNST_ISO_E10value_typeEPSP_NS1_7vsmem_tEENKUlT_SN_SO_SP_E_clISG_PjSI_PS9_EESM_S12_SN_SO_SP_EUlS12_E_NS1_11comp_targetILNS1_3genE0ELNS1_11target_archE4294967295ELNS1_3gpuE0ELNS1_3repE0EEENS1_48merge_mergepath_partition_config_static_selectorELNS0_4arch9wavefront6targetE0EEEvSO_,comdat
	.protected	_ZN7rocprim17ROCPRIM_400000_NS6detail17trampoline_kernelINS0_14default_configENS1_38merge_sort_block_merge_config_selectorIjN6thrust23THRUST_200600_302600_NS5tupleIffNS6_9null_typeES8_S8_S8_S8_S8_S8_S8_EEEEZZNS1_27merge_sort_block_merge_implIS3_NS6_6detail15normal_iteratorINS6_10device_ptrIjEEEENSD_INSE_IS9_EEEEjNS1_19radix_merge_compareILb0ELb1EjNS0_19identity_decomposerEEEEE10hipError_tT0_T1_T2_jT3_P12ihipStream_tbPNSt15iterator_traitsISN_E10value_typeEPNST_ISO_E10value_typeEPSP_NS1_7vsmem_tEENKUlT_SN_SO_SP_E_clISG_PjSI_PS9_EESM_S12_SN_SO_SP_EUlS12_E_NS1_11comp_targetILNS1_3genE0ELNS1_11target_archE4294967295ELNS1_3gpuE0ELNS1_3repE0EEENS1_48merge_mergepath_partition_config_static_selectorELNS0_4arch9wavefront6targetE0EEEvSO_ ; -- Begin function _ZN7rocprim17ROCPRIM_400000_NS6detail17trampoline_kernelINS0_14default_configENS1_38merge_sort_block_merge_config_selectorIjN6thrust23THRUST_200600_302600_NS5tupleIffNS6_9null_typeES8_S8_S8_S8_S8_S8_S8_EEEEZZNS1_27merge_sort_block_merge_implIS3_NS6_6detail15normal_iteratorINS6_10device_ptrIjEEEENSD_INSE_IS9_EEEEjNS1_19radix_merge_compareILb0ELb1EjNS0_19identity_decomposerEEEEE10hipError_tT0_T1_T2_jT3_P12ihipStream_tbPNSt15iterator_traitsISN_E10value_typeEPNST_ISO_E10value_typeEPSP_NS1_7vsmem_tEENKUlT_SN_SO_SP_E_clISG_PjSI_PS9_EESM_S12_SN_SO_SP_EUlS12_E_NS1_11comp_targetILNS1_3genE0ELNS1_11target_archE4294967295ELNS1_3gpuE0ELNS1_3repE0EEENS1_48merge_mergepath_partition_config_static_selectorELNS0_4arch9wavefront6targetE0EEEvSO_
	.globl	_ZN7rocprim17ROCPRIM_400000_NS6detail17trampoline_kernelINS0_14default_configENS1_38merge_sort_block_merge_config_selectorIjN6thrust23THRUST_200600_302600_NS5tupleIffNS6_9null_typeES8_S8_S8_S8_S8_S8_S8_EEEEZZNS1_27merge_sort_block_merge_implIS3_NS6_6detail15normal_iteratorINS6_10device_ptrIjEEEENSD_INSE_IS9_EEEEjNS1_19radix_merge_compareILb0ELb1EjNS0_19identity_decomposerEEEEE10hipError_tT0_T1_T2_jT3_P12ihipStream_tbPNSt15iterator_traitsISN_E10value_typeEPNST_ISO_E10value_typeEPSP_NS1_7vsmem_tEENKUlT_SN_SO_SP_E_clISG_PjSI_PS9_EESM_S12_SN_SO_SP_EUlS12_E_NS1_11comp_targetILNS1_3genE0ELNS1_11target_archE4294967295ELNS1_3gpuE0ELNS1_3repE0EEENS1_48merge_mergepath_partition_config_static_selectorELNS0_4arch9wavefront6targetE0EEEvSO_
	.p2align	8
	.type	_ZN7rocprim17ROCPRIM_400000_NS6detail17trampoline_kernelINS0_14default_configENS1_38merge_sort_block_merge_config_selectorIjN6thrust23THRUST_200600_302600_NS5tupleIffNS6_9null_typeES8_S8_S8_S8_S8_S8_S8_EEEEZZNS1_27merge_sort_block_merge_implIS3_NS6_6detail15normal_iteratorINS6_10device_ptrIjEEEENSD_INSE_IS9_EEEEjNS1_19radix_merge_compareILb0ELb1EjNS0_19identity_decomposerEEEEE10hipError_tT0_T1_T2_jT3_P12ihipStream_tbPNSt15iterator_traitsISN_E10value_typeEPNST_ISO_E10value_typeEPSP_NS1_7vsmem_tEENKUlT_SN_SO_SP_E_clISG_PjSI_PS9_EESM_S12_SN_SO_SP_EUlS12_E_NS1_11comp_targetILNS1_3genE0ELNS1_11target_archE4294967295ELNS1_3gpuE0ELNS1_3repE0EEENS1_48merge_mergepath_partition_config_static_selectorELNS0_4arch9wavefront6targetE0EEEvSO_,@function
_ZN7rocprim17ROCPRIM_400000_NS6detail17trampoline_kernelINS0_14default_configENS1_38merge_sort_block_merge_config_selectorIjN6thrust23THRUST_200600_302600_NS5tupleIffNS6_9null_typeES8_S8_S8_S8_S8_S8_S8_EEEEZZNS1_27merge_sort_block_merge_implIS3_NS6_6detail15normal_iteratorINS6_10device_ptrIjEEEENSD_INSE_IS9_EEEEjNS1_19radix_merge_compareILb0ELb1EjNS0_19identity_decomposerEEEEE10hipError_tT0_T1_T2_jT3_P12ihipStream_tbPNSt15iterator_traitsISN_E10value_typeEPNST_ISO_E10value_typeEPSP_NS1_7vsmem_tEENKUlT_SN_SO_SP_E_clISG_PjSI_PS9_EESM_S12_SN_SO_SP_EUlS12_E_NS1_11comp_targetILNS1_3genE0ELNS1_11target_archE4294967295ELNS1_3gpuE0ELNS1_3repE0EEENS1_48merge_mergepath_partition_config_static_selectorELNS0_4arch9wavefront6targetE0EEEvSO_: ; @_ZN7rocprim17ROCPRIM_400000_NS6detail17trampoline_kernelINS0_14default_configENS1_38merge_sort_block_merge_config_selectorIjN6thrust23THRUST_200600_302600_NS5tupleIffNS6_9null_typeES8_S8_S8_S8_S8_S8_S8_EEEEZZNS1_27merge_sort_block_merge_implIS3_NS6_6detail15normal_iteratorINS6_10device_ptrIjEEEENSD_INSE_IS9_EEEEjNS1_19radix_merge_compareILb0ELb1EjNS0_19identity_decomposerEEEEE10hipError_tT0_T1_T2_jT3_P12ihipStream_tbPNSt15iterator_traitsISN_E10value_typeEPNST_ISO_E10value_typeEPSP_NS1_7vsmem_tEENKUlT_SN_SO_SP_E_clISG_PjSI_PS9_EESM_S12_SN_SO_SP_EUlS12_E_NS1_11comp_targetILNS1_3genE0ELNS1_11target_archE4294967295ELNS1_3gpuE0ELNS1_3repE0EEENS1_48merge_mergepath_partition_config_static_selectorELNS0_4arch9wavefront6targetE0EEEvSO_
; %bb.0:
	s_load_b32 s2, s[0:1], 0x0
	s_bfe_u32 s3, ttmp6, 0x4000c
	s_and_b32 s4, ttmp6, 15
	s_add_co_i32 s3, s3, 1
	s_getreg_b32 s5, hwreg(HW_REG_IB_STS2, 6, 4)
	s_mul_i32 s3, ttmp9, s3
	s_delay_alu instid0(SALU_CYCLE_1) | instskip(SKIP_2) | instid1(SALU_CYCLE_1)
	s_add_co_i32 s4, s4, s3
	s_cmp_eq_u32 s5, 0
	s_cselect_b32 s3, ttmp9, s4
	v_lshl_or_b32 v8, s3, 7, v0
	s_wait_kmcnt 0x0
	s_delay_alu instid0(VALU_DEP_1)
	v_cmp_gt_u32_e32 vcc_lo, s2, v8
	s_and_saveexec_b32 s2, vcc_lo
	s_cbranch_execz .LBB115_6
; %bb.1:
	s_load_b64 s[2:3], s[0:1], 0x4
	s_mov_b32 s7, exec_lo
	s_wait_kmcnt 0x0
	s_lshr_b32 s4, s2, 9
	s_delay_alu instid0(SALU_CYCLE_1) | instskip(NEXT) | instid1(SALU_CYCLE_1)
	s_and_b32 s4, s4, 0x7ffffe
	s_sub_co_i32 s5, 0, s4
	s_add_co_i32 s4, s4, -1
	s_delay_alu instid0(SALU_CYCLE_1) | instskip(NEXT) | instid1(VALU_DEP_1)
	v_and_b32_e32 v1, s4, v8
	v_dual_lshlrev_b32 v1, 10, v1 :: v_dual_bitop2_b32 v0, s5, v8 bitop3:0x40
	s_delay_alu instid0(VALU_DEP_1) | instskip(NEXT) | instid1(VALU_DEP_1)
	v_lshlrev_b32_e32 v0, 10, v0
	v_add_min_u32_e64 v2, v0, s2, s3
	v_min_u32_e32 v0, s3, v0
	s_delay_alu instid0(VALU_DEP_2) | instskip(SKIP_1) | instid1(VALU_DEP_1)
	v_add_min_u32_e64 v3, v2, s2, s3
	s_load_b64 s[2:3], s[0:1], 0x20
	v_dual_sub_nc_u32 v4, v3, v0 :: v_dual_sub_nc_u32 v3, v3, v2
	s_delay_alu instid0(VALU_DEP_1) | instskip(SKIP_1) | instid1(VALU_DEP_2)
	v_min_u32_e32 v10, v4, v1
	v_sub_nc_u32_e32 v1, v2, v0
	v_sub_nc_u32_e64 v9, v10, v3 clamp
	s_delay_alu instid0(VALU_DEP_2) | instskip(NEXT) | instid1(VALU_DEP_1)
	v_min_u32_e32 v11, v10, v1
	v_cmpx_lt_u32_e64 v9, v11
	s_cbranch_execz .LBB115_5
; %bb.2:
	s_load_b96 s[4:6], s[0:1], 0x10
	v_mov_b32_e32 v3, 0
	s_wait_xcnt 0x0
	s_mov_b32 s0, 0
	s_delay_alu instid0(VALU_DEP_1) | instskip(SKIP_1) | instid1(VALU_DEP_1)
	v_mov_b32_e32 v1, v3
	s_wait_kmcnt 0x0
	v_lshl_add_u64 v[4:5], v[0:1], 2, s[4:5]
	v_lshl_add_u64 v[6:7], v[2:3], 2, s[4:5]
.LBB115_3:                              ; =>This Inner Loop Header: Depth=1
	v_add_nc_u32_e32 v1, v11, v9
	s_delay_alu instid0(VALU_DEP_1) | instskip(NEXT) | instid1(VALU_DEP_1)
	v_dual_mov_b32 v13, v3 :: v_dual_lshrrev_b32 v2, 1, v1
	v_xad_u32 v12, v2, -1, v10
	v_lshl_add_u64 v[14:15], v[2:3], 2, v[4:5]
	s_delay_alu instid0(VALU_DEP_2)
	v_lshl_add_u64 v[12:13], v[12:13], 2, v[6:7]
	s_clause 0x1
	flat_load_b32 v1, v[14:15]
	flat_load_b32 v16, v[12:13]
	s_wait_loadcnt_dscnt 0x101
	s_wait_xcnt 0x0
	v_dual_add_nc_u32 v13, 1, v2 :: v_dual_bitop2_b32 v1, s6, v1 bitop3:0x40
	s_wait_loadcnt_dscnt 0x0
	v_and_b32_e32 v12, s6, v16
	s_delay_alu instid0(VALU_DEP_1) | instskip(NEXT) | instid1(VALU_DEP_3)
	v_cmp_gt_u32_e32 vcc_lo, v1, v12
	v_dual_cndmask_b32 v11, v11, v2, vcc_lo :: v_dual_cndmask_b32 v9, v13, v9, vcc_lo
	s_delay_alu instid0(VALU_DEP_1) | instskip(SKIP_1) | instid1(SALU_CYCLE_1)
	v_cmp_ge_u32_e32 vcc_lo, v9, v11
	s_or_b32 s0, vcc_lo, s0
	s_and_not1_b32 exec_lo, exec_lo, s0
	s_cbranch_execnz .LBB115_3
; %bb.4:
	s_or_b32 exec_lo, exec_lo, s0
.LBB115_5:
	s_delay_alu instid0(SALU_CYCLE_1)
	s_or_b32 exec_lo, exec_lo, s7
	v_add_nc_u32_e32 v0, v9, v0
	s_wait_kmcnt 0x0
	global_store_b32 v8, v0, s[2:3] scale_offset
.LBB115_6:
	s_endpgm
	.section	.rodata,"a",@progbits
	.p2align	6, 0x0
	.amdhsa_kernel _ZN7rocprim17ROCPRIM_400000_NS6detail17trampoline_kernelINS0_14default_configENS1_38merge_sort_block_merge_config_selectorIjN6thrust23THRUST_200600_302600_NS5tupleIffNS6_9null_typeES8_S8_S8_S8_S8_S8_S8_EEEEZZNS1_27merge_sort_block_merge_implIS3_NS6_6detail15normal_iteratorINS6_10device_ptrIjEEEENSD_INSE_IS9_EEEEjNS1_19radix_merge_compareILb0ELb1EjNS0_19identity_decomposerEEEEE10hipError_tT0_T1_T2_jT3_P12ihipStream_tbPNSt15iterator_traitsISN_E10value_typeEPNST_ISO_E10value_typeEPSP_NS1_7vsmem_tEENKUlT_SN_SO_SP_E_clISG_PjSI_PS9_EESM_S12_SN_SO_SP_EUlS12_E_NS1_11comp_targetILNS1_3genE0ELNS1_11target_archE4294967295ELNS1_3gpuE0ELNS1_3repE0EEENS1_48merge_mergepath_partition_config_static_selectorELNS0_4arch9wavefront6targetE0EEEvSO_
		.amdhsa_group_segment_fixed_size 0
		.amdhsa_private_segment_fixed_size 0
		.amdhsa_kernarg_size 40
		.amdhsa_user_sgpr_count 2
		.amdhsa_user_sgpr_dispatch_ptr 0
		.amdhsa_user_sgpr_queue_ptr 0
		.amdhsa_user_sgpr_kernarg_segment_ptr 1
		.amdhsa_user_sgpr_dispatch_id 0
		.amdhsa_user_sgpr_kernarg_preload_length 0
		.amdhsa_user_sgpr_kernarg_preload_offset 0
		.amdhsa_user_sgpr_private_segment_size 0
		.amdhsa_wavefront_size32 1
		.amdhsa_uses_dynamic_stack 0
		.amdhsa_enable_private_segment 0
		.amdhsa_system_sgpr_workgroup_id_x 1
		.amdhsa_system_sgpr_workgroup_id_y 0
		.amdhsa_system_sgpr_workgroup_id_z 0
		.amdhsa_system_sgpr_workgroup_info 0
		.amdhsa_system_vgpr_workitem_id 0
		.amdhsa_next_free_vgpr 17
		.amdhsa_next_free_sgpr 8
		.amdhsa_named_barrier_count 0
		.amdhsa_reserve_vcc 1
		.amdhsa_float_round_mode_32 0
		.amdhsa_float_round_mode_16_64 0
		.amdhsa_float_denorm_mode_32 3
		.amdhsa_float_denorm_mode_16_64 3
		.amdhsa_fp16_overflow 0
		.amdhsa_memory_ordered 1
		.amdhsa_forward_progress 1
		.amdhsa_inst_pref_size 4
		.amdhsa_round_robin_scheduling 0
		.amdhsa_exception_fp_ieee_invalid_op 0
		.amdhsa_exception_fp_denorm_src 0
		.amdhsa_exception_fp_ieee_div_zero 0
		.amdhsa_exception_fp_ieee_overflow 0
		.amdhsa_exception_fp_ieee_underflow 0
		.amdhsa_exception_fp_ieee_inexact 0
		.amdhsa_exception_int_div_zero 0
	.end_amdhsa_kernel
	.section	.text._ZN7rocprim17ROCPRIM_400000_NS6detail17trampoline_kernelINS0_14default_configENS1_38merge_sort_block_merge_config_selectorIjN6thrust23THRUST_200600_302600_NS5tupleIffNS6_9null_typeES8_S8_S8_S8_S8_S8_S8_EEEEZZNS1_27merge_sort_block_merge_implIS3_NS6_6detail15normal_iteratorINS6_10device_ptrIjEEEENSD_INSE_IS9_EEEEjNS1_19radix_merge_compareILb0ELb1EjNS0_19identity_decomposerEEEEE10hipError_tT0_T1_T2_jT3_P12ihipStream_tbPNSt15iterator_traitsISN_E10value_typeEPNST_ISO_E10value_typeEPSP_NS1_7vsmem_tEENKUlT_SN_SO_SP_E_clISG_PjSI_PS9_EESM_S12_SN_SO_SP_EUlS12_E_NS1_11comp_targetILNS1_3genE0ELNS1_11target_archE4294967295ELNS1_3gpuE0ELNS1_3repE0EEENS1_48merge_mergepath_partition_config_static_selectorELNS0_4arch9wavefront6targetE0EEEvSO_,"axG",@progbits,_ZN7rocprim17ROCPRIM_400000_NS6detail17trampoline_kernelINS0_14default_configENS1_38merge_sort_block_merge_config_selectorIjN6thrust23THRUST_200600_302600_NS5tupleIffNS6_9null_typeES8_S8_S8_S8_S8_S8_S8_EEEEZZNS1_27merge_sort_block_merge_implIS3_NS6_6detail15normal_iteratorINS6_10device_ptrIjEEEENSD_INSE_IS9_EEEEjNS1_19radix_merge_compareILb0ELb1EjNS0_19identity_decomposerEEEEE10hipError_tT0_T1_T2_jT3_P12ihipStream_tbPNSt15iterator_traitsISN_E10value_typeEPNST_ISO_E10value_typeEPSP_NS1_7vsmem_tEENKUlT_SN_SO_SP_E_clISG_PjSI_PS9_EESM_S12_SN_SO_SP_EUlS12_E_NS1_11comp_targetILNS1_3genE0ELNS1_11target_archE4294967295ELNS1_3gpuE0ELNS1_3repE0EEENS1_48merge_mergepath_partition_config_static_selectorELNS0_4arch9wavefront6targetE0EEEvSO_,comdat
.Lfunc_end115:
	.size	_ZN7rocprim17ROCPRIM_400000_NS6detail17trampoline_kernelINS0_14default_configENS1_38merge_sort_block_merge_config_selectorIjN6thrust23THRUST_200600_302600_NS5tupleIffNS6_9null_typeES8_S8_S8_S8_S8_S8_S8_EEEEZZNS1_27merge_sort_block_merge_implIS3_NS6_6detail15normal_iteratorINS6_10device_ptrIjEEEENSD_INSE_IS9_EEEEjNS1_19radix_merge_compareILb0ELb1EjNS0_19identity_decomposerEEEEE10hipError_tT0_T1_T2_jT3_P12ihipStream_tbPNSt15iterator_traitsISN_E10value_typeEPNST_ISO_E10value_typeEPSP_NS1_7vsmem_tEENKUlT_SN_SO_SP_E_clISG_PjSI_PS9_EESM_S12_SN_SO_SP_EUlS12_E_NS1_11comp_targetILNS1_3genE0ELNS1_11target_archE4294967295ELNS1_3gpuE0ELNS1_3repE0EEENS1_48merge_mergepath_partition_config_static_selectorELNS0_4arch9wavefront6targetE0EEEvSO_, .Lfunc_end115-_ZN7rocprim17ROCPRIM_400000_NS6detail17trampoline_kernelINS0_14default_configENS1_38merge_sort_block_merge_config_selectorIjN6thrust23THRUST_200600_302600_NS5tupleIffNS6_9null_typeES8_S8_S8_S8_S8_S8_S8_EEEEZZNS1_27merge_sort_block_merge_implIS3_NS6_6detail15normal_iteratorINS6_10device_ptrIjEEEENSD_INSE_IS9_EEEEjNS1_19radix_merge_compareILb0ELb1EjNS0_19identity_decomposerEEEEE10hipError_tT0_T1_T2_jT3_P12ihipStream_tbPNSt15iterator_traitsISN_E10value_typeEPNST_ISO_E10value_typeEPSP_NS1_7vsmem_tEENKUlT_SN_SO_SP_E_clISG_PjSI_PS9_EESM_S12_SN_SO_SP_EUlS12_E_NS1_11comp_targetILNS1_3genE0ELNS1_11target_archE4294967295ELNS1_3gpuE0ELNS1_3repE0EEENS1_48merge_mergepath_partition_config_static_selectorELNS0_4arch9wavefront6targetE0EEEvSO_
                                        ; -- End function
	.set _ZN7rocprim17ROCPRIM_400000_NS6detail17trampoline_kernelINS0_14default_configENS1_38merge_sort_block_merge_config_selectorIjN6thrust23THRUST_200600_302600_NS5tupleIffNS6_9null_typeES8_S8_S8_S8_S8_S8_S8_EEEEZZNS1_27merge_sort_block_merge_implIS3_NS6_6detail15normal_iteratorINS6_10device_ptrIjEEEENSD_INSE_IS9_EEEEjNS1_19radix_merge_compareILb0ELb1EjNS0_19identity_decomposerEEEEE10hipError_tT0_T1_T2_jT3_P12ihipStream_tbPNSt15iterator_traitsISN_E10value_typeEPNST_ISO_E10value_typeEPSP_NS1_7vsmem_tEENKUlT_SN_SO_SP_E_clISG_PjSI_PS9_EESM_S12_SN_SO_SP_EUlS12_E_NS1_11comp_targetILNS1_3genE0ELNS1_11target_archE4294967295ELNS1_3gpuE0ELNS1_3repE0EEENS1_48merge_mergepath_partition_config_static_selectorELNS0_4arch9wavefront6targetE0EEEvSO_.num_vgpr, 17
	.set _ZN7rocprim17ROCPRIM_400000_NS6detail17trampoline_kernelINS0_14default_configENS1_38merge_sort_block_merge_config_selectorIjN6thrust23THRUST_200600_302600_NS5tupleIffNS6_9null_typeES8_S8_S8_S8_S8_S8_S8_EEEEZZNS1_27merge_sort_block_merge_implIS3_NS6_6detail15normal_iteratorINS6_10device_ptrIjEEEENSD_INSE_IS9_EEEEjNS1_19radix_merge_compareILb0ELb1EjNS0_19identity_decomposerEEEEE10hipError_tT0_T1_T2_jT3_P12ihipStream_tbPNSt15iterator_traitsISN_E10value_typeEPNST_ISO_E10value_typeEPSP_NS1_7vsmem_tEENKUlT_SN_SO_SP_E_clISG_PjSI_PS9_EESM_S12_SN_SO_SP_EUlS12_E_NS1_11comp_targetILNS1_3genE0ELNS1_11target_archE4294967295ELNS1_3gpuE0ELNS1_3repE0EEENS1_48merge_mergepath_partition_config_static_selectorELNS0_4arch9wavefront6targetE0EEEvSO_.num_agpr, 0
	.set _ZN7rocprim17ROCPRIM_400000_NS6detail17trampoline_kernelINS0_14default_configENS1_38merge_sort_block_merge_config_selectorIjN6thrust23THRUST_200600_302600_NS5tupleIffNS6_9null_typeES8_S8_S8_S8_S8_S8_S8_EEEEZZNS1_27merge_sort_block_merge_implIS3_NS6_6detail15normal_iteratorINS6_10device_ptrIjEEEENSD_INSE_IS9_EEEEjNS1_19radix_merge_compareILb0ELb1EjNS0_19identity_decomposerEEEEE10hipError_tT0_T1_T2_jT3_P12ihipStream_tbPNSt15iterator_traitsISN_E10value_typeEPNST_ISO_E10value_typeEPSP_NS1_7vsmem_tEENKUlT_SN_SO_SP_E_clISG_PjSI_PS9_EESM_S12_SN_SO_SP_EUlS12_E_NS1_11comp_targetILNS1_3genE0ELNS1_11target_archE4294967295ELNS1_3gpuE0ELNS1_3repE0EEENS1_48merge_mergepath_partition_config_static_selectorELNS0_4arch9wavefront6targetE0EEEvSO_.numbered_sgpr, 8
	.set _ZN7rocprim17ROCPRIM_400000_NS6detail17trampoline_kernelINS0_14default_configENS1_38merge_sort_block_merge_config_selectorIjN6thrust23THRUST_200600_302600_NS5tupleIffNS6_9null_typeES8_S8_S8_S8_S8_S8_S8_EEEEZZNS1_27merge_sort_block_merge_implIS3_NS6_6detail15normal_iteratorINS6_10device_ptrIjEEEENSD_INSE_IS9_EEEEjNS1_19radix_merge_compareILb0ELb1EjNS0_19identity_decomposerEEEEE10hipError_tT0_T1_T2_jT3_P12ihipStream_tbPNSt15iterator_traitsISN_E10value_typeEPNST_ISO_E10value_typeEPSP_NS1_7vsmem_tEENKUlT_SN_SO_SP_E_clISG_PjSI_PS9_EESM_S12_SN_SO_SP_EUlS12_E_NS1_11comp_targetILNS1_3genE0ELNS1_11target_archE4294967295ELNS1_3gpuE0ELNS1_3repE0EEENS1_48merge_mergepath_partition_config_static_selectorELNS0_4arch9wavefront6targetE0EEEvSO_.num_named_barrier, 0
	.set _ZN7rocprim17ROCPRIM_400000_NS6detail17trampoline_kernelINS0_14default_configENS1_38merge_sort_block_merge_config_selectorIjN6thrust23THRUST_200600_302600_NS5tupleIffNS6_9null_typeES8_S8_S8_S8_S8_S8_S8_EEEEZZNS1_27merge_sort_block_merge_implIS3_NS6_6detail15normal_iteratorINS6_10device_ptrIjEEEENSD_INSE_IS9_EEEEjNS1_19radix_merge_compareILb0ELb1EjNS0_19identity_decomposerEEEEE10hipError_tT0_T1_T2_jT3_P12ihipStream_tbPNSt15iterator_traitsISN_E10value_typeEPNST_ISO_E10value_typeEPSP_NS1_7vsmem_tEENKUlT_SN_SO_SP_E_clISG_PjSI_PS9_EESM_S12_SN_SO_SP_EUlS12_E_NS1_11comp_targetILNS1_3genE0ELNS1_11target_archE4294967295ELNS1_3gpuE0ELNS1_3repE0EEENS1_48merge_mergepath_partition_config_static_selectorELNS0_4arch9wavefront6targetE0EEEvSO_.private_seg_size, 0
	.set _ZN7rocprim17ROCPRIM_400000_NS6detail17trampoline_kernelINS0_14default_configENS1_38merge_sort_block_merge_config_selectorIjN6thrust23THRUST_200600_302600_NS5tupleIffNS6_9null_typeES8_S8_S8_S8_S8_S8_S8_EEEEZZNS1_27merge_sort_block_merge_implIS3_NS6_6detail15normal_iteratorINS6_10device_ptrIjEEEENSD_INSE_IS9_EEEEjNS1_19radix_merge_compareILb0ELb1EjNS0_19identity_decomposerEEEEE10hipError_tT0_T1_T2_jT3_P12ihipStream_tbPNSt15iterator_traitsISN_E10value_typeEPNST_ISO_E10value_typeEPSP_NS1_7vsmem_tEENKUlT_SN_SO_SP_E_clISG_PjSI_PS9_EESM_S12_SN_SO_SP_EUlS12_E_NS1_11comp_targetILNS1_3genE0ELNS1_11target_archE4294967295ELNS1_3gpuE0ELNS1_3repE0EEENS1_48merge_mergepath_partition_config_static_selectorELNS0_4arch9wavefront6targetE0EEEvSO_.uses_vcc, 1
	.set _ZN7rocprim17ROCPRIM_400000_NS6detail17trampoline_kernelINS0_14default_configENS1_38merge_sort_block_merge_config_selectorIjN6thrust23THRUST_200600_302600_NS5tupleIffNS6_9null_typeES8_S8_S8_S8_S8_S8_S8_EEEEZZNS1_27merge_sort_block_merge_implIS3_NS6_6detail15normal_iteratorINS6_10device_ptrIjEEEENSD_INSE_IS9_EEEEjNS1_19radix_merge_compareILb0ELb1EjNS0_19identity_decomposerEEEEE10hipError_tT0_T1_T2_jT3_P12ihipStream_tbPNSt15iterator_traitsISN_E10value_typeEPNST_ISO_E10value_typeEPSP_NS1_7vsmem_tEENKUlT_SN_SO_SP_E_clISG_PjSI_PS9_EESM_S12_SN_SO_SP_EUlS12_E_NS1_11comp_targetILNS1_3genE0ELNS1_11target_archE4294967295ELNS1_3gpuE0ELNS1_3repE0EEENS1_48merge_mergepath_partition_config_static_selectorELNS0_4arch9wavefront6targetE0EEEvSO_.uses_flat_scratch, 1
	.set _ZN7rocprim17ROCPRIM_400000_NS6detail17trampoline_kernelINS0_14default_configENS1_38merge_sort_block_merge_config_selectorIjN6thrust23THRUST_200600_302600_NS5tupleIffNS6_9null_typeES8_S8_S8_S8_S8_S8_S8_EEEEZZNS1_27merge_sort_block_merge_implIS3_NS6_6detail15normal_iteratorINS6_10device_ptrIjEEEENSD_INSE_IS9_EEEEjNS1_19radix_merge_compareILb0ELb1EjNS0_19identity_decomposerEEEEE10hipError_tT0_T1_T2_jT3_P12ihipStream_tbPNSt15iterator_traitsISN_E10value_typeEPNST_ISO_E10value_typeEPSP_NS1_7vsmem_tEENKUlT_SN_SO_SP_E_clISG_PjSI_PS9_EESM_S12_SN_SO_SP_EUlS12_E_NS1_11comp_targetILNS1_3genE0ELNS1_11target_archE4294967295ELNS1_3gpuE0ELNS1_3repE0EEENS1_48merge_mergepath_partition_config_static_selectorELNS0_4arch9wavefront6targetE0EEEvSO_.has_dyn_sized_stack, 0
	.set _ZN7rocprim17ROCPRIM_400000_NS6detail17trampoline_kernelINS0_14default_configENS1_38merge_sort_block_merge_config_selectorIjN6thrust23THRUST_200600_302600_NS5tupleIffNS6_9null_typeES8_S8_S8_S8_S8_S8_S8_EEEEZZNS1_27merge_sort_block_merge_implIS3_NS6_6detail15normal_iteratorINS6_10device_ptrIjEEEENSD_INSE_IS9_EEEEjNS1_19radix_merge_compareILb0ELb1EjNS0_19identity_decomposerEEEEE10hipError_tT0_T1_T2_jT3_P12ihipStream_tbPNSt15iterator_traitsISN_E10value_typeEPNST_ISO_E10value_typeEPSP_NS1_7vsmem_tEENKUlT_SN_SO_SP_E_clISG_PjSI_PS9_EESM_S12_SN_SO_SP_EUlS12_E_NS1_11comp_targetILNS1_3genE0ELNS1_11target_archE4294967295ELNS1_3gpuE0ELNS1_3repE0EEENS1_48merge_mergepath_partition_config_static_selectorELNS0_4arch9wavefront6targetE0EEEvSO_.has_recursion, 0
	.set _ZN7rocprim17ROCPRIM_400000_NS6detail17trampoline_kernelINS0_14default_configENS1_38merge_sort_block_merge_config_selectorIjN6thrust23THRUST_200600_302600_NS5tupleIffNS6_9null_typeES8_S8_S8_S8_S8_S8_S8_EEEEZZNS1_27merge_sort_block_merge_implIS3_NS6_6detail15normal_iteratorINS6_10device_ptrIjEEEENSD_INSE_IS9_EEEEjNS1_19radix_merge_compareILb0ELb1EjNS0_19identity_decomposerEEEEE10hipError_tT0_T1_T2_jT3_P12ihipStream_tbPNSt15iterator_traitsISN_E10value_typeEPNST_ISO_E10value_typeEPSP_NS1_7vsmem_tEENKUlT_SN_SO_SP_E_clISG_PjSI_PS9_EESM_S12_SN_SO_SP_EUlS12_E_NS1_11comp_targetILNS1_3genE0ELNS1_11target_archE4294967295ELNS1_3gpuE0ELNS1_3repE0EEENS1_48merge_mergepath_partition_config_static_selectorELNS0_4arch9wavefront6targetE0EEEvSO_.has_indirect_call, 0
	.section	.AMDGPU.csdata,"",@progbits
; Kernel info:
; codeLenInByte = 452
; TotalNumSgprs: 10
; NumVgprs: 17
; ScratchSize: 0
; MemoryBound: 0
; FloatMode: 240
; IeeeMode: 1
; LDSByteSize: 0 bytes/workgroup (compile time only)
; SGPRBlocks: 0
; VGPRBlocks: 1
; NumSGPRsForWavesPerEU: 10
; NumVGPRsForWavesPerEU: 17
; NamedBarCnt: 0
; Occupancy: 16
; WaveLimiterHint : 0
; COMPUTE_PGM_RSRC2:SCRATCH_EN: 0
; COMPUTE_PGM_RSRC2:USER_SGPR: 2
; COMPUTE_PGM_RSRC2:TRAP_HANDLER: 0
; COMPUTE_PGM_RSRC2:TGID_X_EN: 1
; COMPUTE_PGM_RSRC2:TGID_Y_EN: 0
; COMPUTE_PGM_RSRC2:TGID_Z_EN: 0
; COMPUTE_PGM_RSRC2:TIDIG_COMP_CNT: 0
	.section	.text._ZN7rocprim17ROCPRIM_400000_NS6detail17trampoline_kernelINS0_14default_configENS1_38merge_sort_block_merge_config_selectorIjN6thrust23THRUST_200600_302600_NS5tupleIffNS6_9null_typeES8_S8_S8_S8_S8_S8_S8_EEEEZZNS1_27merge_sort_block_merge_implIS3_NS6_6detail15normal_iteratorINS6_10device_ptrIjEEEENSD_INSE_IS9_EEEEjNS1_19radix_merge_compareILb0ELb1EjNS0_19identity_decomposerEEEEE10hipError_tT0_T1_T2_jT3_P12ihipStream_tbPNSt15iterator_traitsISN_E10value_typeEPNST_ISO_E10value_typeEPSP_NS1_7vsmem_tEENKUlT_SN_SO_SP_E_clISG_PjSI_PS9_EESM_S12_SN_SO_SP_EUlS12_E_NS1_11comp_targetILNS1_3genE10ELNS1_11target_archE1201ELNS1_3gpuE5ELNS1_3repE0EEENS1_48merge_mergepath_partition_config_static_selectorELNS0_4arch9wavefront6targetE0EEEvSO_,"axG",@progbits,_ZN7rocprim17ROCPRIM_400000_NS6detail17trampoline_kernelINS0_14default_configENS1_38merge_sort_block_merge_config_selectorIjN6thrust23THRUST_200600_302600_NS5tupleIffNS6_9null_typeES8_S8_S8_S8_S8_S8_S8_EEEEZZNS1_27merge_sort_block_merge_implIS3_NS6_6detail15normal_iteratorINS6_10device_ptrIjEEEENSD_INSE_IS9_EEEEjNS1_19radix_merge_compareILb0ELb1EjNS0_19identity_decomposerEEEEE10hipError_tT0_T1_T2_jT3_P12ihipStream_tbPNSt15iterator_traitsISN_E10value_typeEPNST_ISO_E10value_typeEPSP_NS1_7vsmem_tEENKUlT_SN_SO_SP_E_clISG_PjSI_PS9_EESM_S12_SN_SO_SP_EUlS12_E_NS1_11comp_targetILNS1_3genE10ELNS1_11target_archE1201ELNS1_3gpuE5ELNS1_3repE0EEENS1_48merge_mergepath_partition_config_static_selectorELNS0_4arch9wavefront6targetE0EEEvSO_,comdat
	.protected	_ZN7rocprim17ROCPRIM_400000_NS6detail17trampoline_kernelINS0_14default_configENS1_38merge_sort_block_merge_config_selectorIjN6thrust23THRUST_200600_302600_NS5tupleIffNS6_9null_typeES8_S8_S8_S8_S8_S8_S8_EEEEZZNS1_27merge_sort_block_merge_implIS3_NS6_6detail15normal_iteratorINS6_10device_ptrIjEEEENSD_INSE_IS9_EEEEjNS1_19radix_merge_compareILb0ELb1EjNS0_19identity_decomposerEEEEE10hipError_tT0_T1_T2_jT3_P12ihipStream_tbPNSt15iterator_traitsISN_E10value_typeEPNST_ISO_E10value_typeEPSP_NS1_7vsmem_tEENKUlT_SN_SO_SP_E_clISG_PjSI_PS9_EESM_S12_SN_SO_SP_EUlS12_E_NS1_11comp_targetILNS1_3genE10ELNS1_11target_archE1201ELNS1_3gpuE5ELNS1_3repE0EEENS1_48merge_mergepath_partition_config_static_selectorELNS0_4arch9wavefront6targetE0EEEvSO_ ; -- Begin function _ZN7rocprim17ROCPRIM_400000_NS6detail17trampoline_kernelINS0_14default_configENS1_38merge_sort_block_merge_config_selectorIjN6thrust23THRUST_200600_302600_NS5tupleIffNS6_9null_typeES8_S8_S8_S8_S8_S8_S8_EEEEZZNS1_27merge_sort_block_merge_implIS3_NS6_6detail15normal_iteratorINS6_10device_ptrIjEEEENSD_INSE_IS9_EEEEjNS1_19radix_merge_compareILb0ELb1EjNS0_19identity_decomposerEEEEE10hipError_tT0_T1_T2_jT3_P12ihipStream_tbPNSt15iterator_traitsISN_E10value_typeEPNST_ISO_E10value_typeEPSP_NS1_7vsmem_tEENKUlT_SN_SO_SP_E_clISG_PjSI_PS9_EESM_S12_SN_SO_SP_EUlS12_E_NS1_11comp_targetILNS1_3genE10ELNS1_11target_archE1201ELNS1_3gpuE5ELNS1_3repE0EEENS1_48merge_mergepath_partition_config_static_selectorELNS0_4arch9wavefront6targetE0EEEvSO_
	.globl	_ZN7rocprim17ROCPRIM_400000_NS6detail17trampoline_kernelINS0_14default_configENS1_38merge_sort_block_merge_config_selectorIjN6thrust23THRUST_200600_302600_NS5tupleIffNS6_9null_typeES8_S8_S8_S8_S8_S8_S8_EEEEZZNS1_27merge_sort_block_merge_implIS3_NS6_6detail15normal_iteratorINS6_10device_ptrIjEEEENSD_INSE_IS9_EEEEjNS1_19radix_merge_compareILb0ELb1EjNS0_19identity_decomposerEEEEE10hipError_tT0_T1_T2_jT3_P12ihipStream_tbPNSt15iterator_traitsISN_E10value_typeEPNST_ISO_E10value_typeEPSP_NS1_7vsmem_tEENKUlT_SN_SO_SP_E_clISG_PjSI_PS9_EESM_S12_SN_SO_SP_EUlS12_E_NS1_11comp_targetILNS1_3genE10ELNS1_11target_archE1201ELNS1_3gpuE5ELNS1_3repE0EEENS1_48merge_mergepath_partition_config_static_selectorELNS0_4arch9wavefront6targetE0EEEvSO_
	.p2align	8
	.type	_ZN7rocprim17ROCPRIM_400000_NS6detail17trampoline_kernelINS0_14default_configENS1_38merge_sort_block_merge_config_selectorIjN6thrust23THRUST_200600_302600_NS5tupleIffNS6_9null_typeES8_S8_S8_S8_S8_S8_S8_EEEEZZNS1_27merge_sort_block_merge_implIS3_NS6_6detail15normal_iteratorINS6_10device_ptrIjEEEENSD_INSE_IS9_EEEEjNS1_19radix_merge_compareILb0ELb1EjNS0_19identity_decomposerEEEEE10hipError_tT0_T1_T2_jT3_P12ihipStream_tbPNSt15iterator_traitsISN_E10value_typeEPNST_ISO_E10value_typeEPSP_NS1_7vsmem_tEENKUlT_SN_SO_SP_E_clISG_PjSI_PS9_EESM_S12_SN_SO_SP_EUlS12_E_NS1_11comp_targetILNS1_3genE10ELNS1_11target_archE1201ELNS1_3gpuE5ELNS1_3repE0EEENS1_48merge_mergepath_partition_config_static_selectorELNS0_4arch9wavefront6targetE0EEEvSO_,@function
_ZN7rocprim17ROCPRIM_400000_NS6detail17trampoline_kernelINS0_14default_configENS1_38merge_sort_block_merge_config_selectorIjN6thrust23THRUST_200600_302600_NS5tupleIffNS6_9null_typeES8_S8_S8_S8_S8_S8_S8_EEEEZZNS1_27merge_sort_block_merge_implIS3_NS6_6detail15normal_iteratorINS6_10device_ptrIjEEEENSD_INSE_IS9_EEEEjNS1_19radix_merge_compareILb0ELb1EjNS0_19identity_decomposerEEEEE10hipError_tT0_T1_T2_jT3_P12ihipStream_tbPNSt15iterator_traitsISN_E10value_typeEPNST_ISO_E10value_typeEPSP_NS1_7vsmem_tEENKUlT_SN_SO_SP_E_clISG_PjSI_PS9_EESM_S12_SN_SO_SP_EUlS12_E_NS1_11comp_targetILNS1_3genE10ELNS1_11target_archE1201ELNS1_3gpuE5ELNS1_3repE0EEENS1_48merge_mergepath_partition_config_static_selectorELNS0_4arch9wavefront6targetE0EEEvSO_: ; @_ZN7rocprim17ROCPRIM_400000_NS6detail17trampoline_kernelINS0_14default_configENS1_38merge_sort_block_merge_config_selectorIjN6thrust23THRUST_200600_302600_NS5tupleIffNS6_9null_typeES8_S8_S8_S8_S8_S8_S8_EEEEZZNS1_27merge_sort_block_merge_implIS3_NS6_6detail15normal_iteratorINS6_10device_ptrIjEEEENSD_INSE_IS9_EEEEjNS1_19radix_merge_compareILb0ELb1EjNS0_19identity_decomposerEEEEE10hipError_tT0_T1_T2_jT3_P12ihipStream_tbPNSt15iterator_traitsISN_E10value_typeEPNST_ISO_E10value_typeEPSP_NS1_7vsmem_tEENKUlT_SN_SO_SP_E_clISG_PjSI_PS9_EESM_S12_SN_SO_SP_EUlS12_E_NS1_11comp_targetILNS1_3genE10ELNS1_11target_archE1201ELNS1_3gpuE5ELNS1_3repE0EEENS1_48merge_mergepath_partition_config_static_selectorELNS0_4arch9wavefront6targetE0EEEvSO_
; %bb.0:
	.section	.rodata,"a",@progbits
	.p2align	6, 0x0
	.amdhsa_kernel _ZN7rocprim17ROCPRIM_400000_NS6detail17trampoline_kernelINS0_14default_configENS1_38merge_sort_block_merge_config_selectorIjN6thrust23THRUST_200600_302600_NS5tupleIffNS6_9null_typeES8_S8_S8_S8_S8_S8_S8_EEEEZZNS1_27merge_sort_block_merge_implIS3_NS6_6detail15normal_iteratorINS6_10device_ptrIjEEEENSD_INSE_IS9_EEEEjNS1_19radix_merge_compareILb0ELb1EjNS0_19identity_decomposerEEEEE10hipError_tT0_T1_T2_jT3_P12ihipStream_tbPNSt15iterator_traitsISN_E10value_typeEPNST_ISO_E10value_typeEPSP_NS1_7vsmem_tEENKUlT_SN_SO_SP_E_clISG_PjSI_PS9_EESM_S12_SN_SO_SP_EUlS12_E_NS1_11comp_targetILNS1_3genE10ELNS1_11target_archE1201ELNS1_3gpuE5ELNS1_3repE0EEENS1_48merge_mergepath_partition_config_static_selectorELNS0_4arch9wavefront6targetE0EEEvSO_
		.amdhsa_group_segment_fixed_size 0
		.amdhsa_private_segment_fixed_size 0
		.amdhsa_kernarg_size 40
		.amdhsa_user_sgpr_count 2
		.amdhsa_user_sgpr_dispatch_ptr 0
		.amdhsa_user_sgpr_queue_ptr 0
		.amdhsa_user_sgpr_kernarg_segment_ptr 1
		.amdhsa_user_sgpr_dispatch_id 0
		.amdhsa_user_sgpr_kernarg_preload_length 0
		.amdhsa_user_sgpr_kernarg_preload_offset 0
		.amdhsa_user_sgpr_private_segment_size 0
		.amdhsa_wavefront_size32 1
		.amdhsa_uses_dynamic_stack 0
		.amdhsa_enable_private_segment 0
		.amdhsa_system_sgpr_workgroup_id_x 1
		.amdhsa_system_sgpr_workgroup_id_y 0
		.amdhsa_system_sgpr_workgroup_id_z 0
		.amdhsa_system_sgpr_workgroup_info 0
		.amdhsa_system_vgpr_workitem_id 0
		.amdhsa_next_free_vgpr 1
		.amdhsa_next_free_sgpr 1
		.amdhsa_named_barrier_count 0
		.amdhsa_reserve_vcc 0
		.amdhsa_float_round_mode_32 0
		.amdhsa_float_round_mode_16_64 0
		.amdhsa_float_denorm_mode_32 3
		.amdhsa_float_denorm_mode_16_64 3
		.amdhsa_fp16_overflow 0
		.amdhsa_memory_ordered 1
		.amdhsa_forward_progress 1
		.amdhsa_inst_pref_size 0
		.amdhsa_round_robin_scheduling 0
		.amdhsa_exception_fp_ieee_invalid_op 0
		.amdhsa_exception_fp_denorm_src 0
		.amdhsa_exception_fp_ieee_div_zero 0
		.amdhsa_exception_fp_ieee_overflow 0
		.amdhsa_exception_fp_ieee_underflow 0
		.amdhsa_exception_fp_ieee_inexact 0
		.amdhsa_exception_int_div_zero 0
	.end_amdhsa_kernel
	.section	.text._ZN7rocprim17ROCPRIM_400000_NS6detail17trampoline_kernelINS0_14default_configENS1_38merge_sort_block_merge_config_selectorIjN6thrust23THRUST_200600_302600_NS5tupleIffNS6_9null_typeES8_S8_S8_S8_S8_S8_S8_EEEEZZNS1_27merge_sort_block_merge_implIS3_NS6_6detail15normal_iteratorINS6_10device_ptrIjEEEENSD_INSE_IS9_EEEEjNS1_19radix_merge_compareILb0ELb1EjNS0_19identity_decomposerEEEEE10hipError_tT0_T1_T2_jT3_P12ihipStream_tbPNSt15iterator_traitsISN_E10value_typeEPNST_ISO_E10value_typeEPSP_NS1_7vsmem_tEENKUlT_SN_SO_SP_E_clISG_PjSI_PS9_EESM_S12_SN_SO_SP_EUlS12_E_NS1_11comp_targetILNS1_3genE10ELNS1_11target_archE1201ELNS1_3gpuE5ELNS1_3repE0EEENS1_48merge_mergepath_partition_config_static_selectorELNS0_4arch9wavefront6targetE0EEEvSO_,"axG",@progbits,_ZN7rocprim17ROCPRIM_400000_NS6detail17trampoline_kernelINS0_14default_configENS1_38merge_sort_block_merge_config_selectorIjN6thrust23THRUST_200600_302600_NS5tupleIffNS6_9null_typeES8_S8_S8_S8_S8_S8_S8_EEEEZZNS1_27merge_sort_block_merge_implIS3_NS6_6detail15normal_iteratorINS6_10device_ptrIjEEEENSD_INSE_IS9_EEEEjNS1_19radix_merge_compareILb0ELb1EjNS0_19identity_decomposerEEEEE10hipError_tT0_T1_T2_jT3_P12ihipStream_tbPNSt15iterator_traitsISN_E10value_typeEPNST_ISO_E10value_typeEPSP_NS1_7vsmem_tEENKUlT_SN_SO_SP_E_clISG_PjSI_PS9_EESM_S12_SN_SO_SP_EUlS12_E_NS1_11comp_targetILNS1_3genE10ELNS1_11target_archE1201ELNS1_3gpuE5ELNS1_3repE0EEENS1_48merge_mergepath_partition_config_static_selectorELNS0_4arch9wavefront6targetE0EEEvSO_,comdat
.Lfunc_end116:
	.size	_ZN7rocprim17ROCPRIM_400000_NS6detail17trampoline_kernelINS0_14default_configENS1_38merge_sort_block_merge_config_selectorIjN6thrust23THRUST_200600_302600_NS5tupleIffNS6_9null_typeES8_S8_S8_S8_S8_S8_S8_EEEEZZNS1_27merge_sort_block_merge_implIS3_NS6_6detail15normal_iteratorINS6_10device_ptrIjEEEENSD_INSE_IS9_EEEEjNS1_19radix_merge_compareILb0ELb1EjNS0_19identity_decomposerEEEEE10hipError_tT0_T1_T2_jT3_P12ihipStream_tbPNSt15iterator_traitsISN_E10value_typeEPNST_ISO_E10value_typeEPSP_NS1_7vsmem_tEENKUlT_SN_SO_SP_E_clISG_PjSI_PS9_EESM_S12_SN_SO_SP_EUlS12_E_NS1_11comp_targetILNS1_3genE10ELNS1_11target_archE1201ELNS1_3gpuE5ELNS1_3repE0EEENS1_48merge_mergepath_partition_config_static_selectorELNS0_4arch9wavefront6targetE0EEEvSO_, .Lfunc_end116-_ZN7rocprim17ROCPRIM_400000_NS6detail17trampoline_kernelINS0_14default_configENS1_38merge_sort_block_merge_config_selectorIjN6thrust23THRUST_200600_302600_NS5tupleIffNS6_9null_typeES8_S8_S8_S8_S8_S8_S8_EEEEZZNS1_27merge_sort_block_merge_implIS3_NS6_6detail15normal_iteratorINS6_10device_ptrIjEEEENSD_INSE_IS9_EEEEjNS1_19radix_merge_compareILb0ELb1EjNS0_19identity_decomposerEEEEE10hipError_tT0_T1_T2_jT3_P12ihipStream_tbPNSt15iterator_traitsISN_E10value_typeEPNST_ISO_E10value_typeEPSP_NS1_7vsmem_tEENKUlT_SN_SO_SP_E_clISG_PjSI_PS9_EESM_S12_SN_SO_SP_EUlS12_E_NS1_11comp_targetILNS1_3genE10ELNS1_11target_archE1201ELNS1_3gpuE5ELNS1_3repE0EEENS1_48merge_mergepath_partition_config_static_selectorELNS0_4arch9wavefront6targetE0EEEvSO_
                                        ; -- End function
	.set _ZN7rocprim17ROCPRIM_400000_NS6detail17trampoline_kernelINS0_14default_configENS1_38merge_sort_block_merge_config_selectorIjN6thrust23THRUST_200600_302600_NS5tupleIffNS6_9null_typeES8_S8_S8_S8_S8_S8_S8_EEEEZZNS1_27merge_sort_block_merge_implIS3_NS6_6detail15normal_iteratorINS6_10device_ptrIjEEEENSD_INSE_IS9_EEEEjNS1_19radix_merge_compareILb0ELb1EjNS0_19identity_decomposerEEEEE10hipError_tT0_T1_T2_jT3_P12ihipStream_tbPNSt15iterator_traitsISN_E10value_typeEPNST_ISO_E10value_typeEPSP_NS1_7vsmem_tEENKUlT_SN_SO_SP_E_clISG_PjSI_PS9_EESM_S12_SN_SO_SP_EUlS12_E_NS1_11comp_targetILNS1_3genE10ELNS1_11target_archE1201ELNS1_3gpuE5ELNS1_3repE0EEENS1_48merge_mergepath_partition_config_static_selectorELNS0_4arch9wavefront6targetE0EEEvSO_.num_vgpr, 0
	.set _ZN7rocprim17ROCPRIM_400000_NS6detail17trampoline_kernelINS0_14default_configENS1_38merge_sort_block_merge_config_selectorIjN6thrust23THRUST_200600_302600_NS5tupleIffNS6_9null_typeES8_S8_S8_S8_S8_S8_S8_EEEEZZNS1_27merge_sort_block_merge_implIS3_NS6_6detail15normal_iteratorINS6_10device_ptrIjEEEENSD_INSE_IS9_EEEEjNS1_19radix_merge_compareILb0ELb1EjNS0_19identity_decomposerEEEEE10hipError_tT0_T1_T2_jT3_P12ihipStream_tbPNSt15iterator_traitsISN_E10value_typeEPNST_ISO_E10value_typeEPSP_NS1_7vsmem_tEENKUlT_SN_SO_SP_E_clISG_PjSI_PS9_EESM_S12_SN_SO_SP_EUlS12_E_NS1_11comp_targetILNS1_3genE10ELNS1_11target_archE1201ELNS1_3gpuE5ELNS1_3repE0EEENS1_48merge_mergepath_partition_config_static_selectorELNS0_4arch9wavefront6targetE0EEEvSO_.num_agpr, 0
	.set _ZN7rocprim17ROCPRIM_400000_NS6detail17trampoline_kernelINS0_14default_configENS1_38merge_sort_block_merge_config_selectorIjN6thrust23THRUST_200600_302600_NS5tupleIffNS6_9null_typeES8_S8_S8_S8_S8_S8_S8_EEEEZZNS1_27merge_sort_block_merge_implIS3_NS6_6detail15normal_iteratorINS6_10device_ptrIjEEEENSD_INSE_IS9_EEEEjNS1_19radix_merge_compareILb0ELb1EjNS0_19identity_decomposerEEEEE10hipError_tT0_T1_T2_jT3_P12ihipStream_tbPNSt15iterator_traitsISN_E10value_typeEPNST_ISO_E10value_typeEPSP_NS1_7vsmem_tEENKUlT_SN_SO_SP_E_clISG_PjSI_PS9_EESM_S12_SN_SO_SP_EUlS12_E_NS1_11comp_targetILNS1_3genE10ELNS1_11target_archE1201ELNS1_3gpuE5ELNS1_3repE0EEENS1_48merge_mergepath_partition_config_static_selectorELNS0_4arch9wavefront6targetE0EEEvSO_.numbered_sgpr, 0
	.set _ZN7rocprim17ROCPRIM_400000_NS6detail17trampoline_kernelINS0_14default_configENS1_38merge_sort_block_merge_config_selectorIjN6thrust23THRUST_200600_302600_NS5tupleIffNS6_9null_typeES8_S8_S8_S8_S8_S8_S8_EEEEZZNS1_27merge_sort_block_merge_implIS3_NS6_6detail15normal_iteratorINS6_10device_ptrIjEEEENSD_INSE_IS9_EEEEjNS1_19radix_merge_compareILb0ELb1EjNS0_19identity_decomposerEEEEE10hipError_tT0_T1_T2_jT3_P12ihipStream_tbPNSt15iterator_traitsISN_E10value_typeEPNST_ISO_E10value_typeEPSP_NS1_7vsmem_tEENKUlT_SN_SO_SP_E_clISG_PjSI_PS9_EESM_S12_SN_SO_SP_EUlS12_E_NS1_11comp_targetILNS1_3genE10ELNS1_11target_archE1201ELNS1_3gpuE5ELNS1_3repE0EEENS1_48merge_mergepath_partition_config_static_selectorELNS0_4arch9wavefront6targetE0EEEvSO_.num_named_barrier, 0
	.set _ZN7rocprim17ROCPRIM_400000_NS6detail17trampoline_kernelINS0_14default_configENS1_38merge_sort_block_merge_config_selectorIjN6thrust23THRUST_200600_302600_NS5tupleIffNS6_9null_typeES8_S8_S8_S8_S8_S8_S8_EEEEZZNS1_27merge_sort_block_merge_implIS3_NS6_6detail15normal_iteratorINS6_10device_ptrIjEEEENSD_INSE_IS9_EEEEjNS1_19radix_merge_compareILb0ELb1EjNS0_19identity_decomposerEEEEE10hipError_tT0_T1_T2_jT3_P12ihipStream_tbPNSt15iterator_traitsISN_E10value_typeEPNST_ISO_E10value_typeEPSP_NS1_7vsmem_tEENKUlT_SN_SO_SP_E_clISG_PjSI_PS9_EESM_S12_SN_SO_SP_EUlS12_E_NS1_11comp_targetILNS1_3genE10ELNS1_11target_archE1201ELNS1_3gpuE5ELNS1_3repE0EEENS1_48merge_mergepath_partition_config_static_selectorELNS0_4arch9wavefront6targetE0EEEvSO_.private_seg_size, 0
	.set _ZN7rocprim17ROCPRIM_400000_NS6detail17trampoline_kernelINS0_14default_configENS1_38merge_sort_block_merge_config_selectorIjN6thrust23THRUST_200600_302600_NS5tupleIffNS6_9null_typeES8_S8_S8_S8_S8_S8_S8_EEEEZZNS1_27merge_sort_block_merge_implIS3_NS6_6detail15normal_iteratorINS6_10device_ptrIjEEEENSD_INSE_IS9_EEEEjNS1_19radix_merge_compareILb0ELb1EjNS0_19identity_decomposerEEEEE10hipError_tT0_T1_T2_jT3_P12ihipStream_tbPNSt15iterator_traitsISN_E10value_typeEPNST_ISO_E10value_typeEPSP_NS1_7vsmem_tEENKUlT_SN_SO_SP_E_clISG_PjSI_PS9_EESM_S12_SN_SO_SP_EUlS12_E_NS1_11comp_targetILNS1_3genE10ELNS1_11target_archE1201ELNS1_3gpuE5ELNS1_3repE0EEENS1_48merge_mergepath_partition_config_static_selectorELNS0_4arch9wavefront6targetE0EEEvSO_.uses_vcc, 0
	.set _ZN7rocprim17ROCPRIM_400000_NS6detail17trampoline_kernelINS0_14default_configENS1_38merge_sort_block_merge_config_selectorIjN6thrust23THRUST_200600_302600_NS5tupleIffNS6_9null_typeES8_S8_S8_S8_S8_S8_S8_EEEEZZNS1_27merge_sort_block_merge_implIS3_NS6_6detail15normal_iteratorINS6_10device_ptrIjEEEENSD_INSE_IS9_EEEEjNS1_19radix_merge_compareILb0ELb1EjNS0_19identity_decomposerEEEEE10hipError_tT0_T1_T2_jT3_P12ihipStream_tbPNSt15iterator_traitsISN_E10value_typeEPNST_ISO_E10value_typeEPSP_NS1_7vsmem_tEENKUlT_SN_SO_SP_E_clISG_PjSI_PS9_EESM_S12_SN_SO_SP_EUlS12_E_NS1_11comp_targetILNS1_3genE10ELNS1_11target_archE1201ELNS1_3gpuE5ELNS1_3repE0EEENS1_48merge_mergepath_partition_config_static_selectorELNS0_4arch9wavefront6targetE0EEEvSO_.uses_flat_scratch, 0
	.set _ZN7rocprim17ROCPRIM_400000_NS6detail17trampoline_kernelINS0_14default_configENS1_38merge_sort_block_merge_config_selectorIjN6thrust23THRUST_200600_302600_NS5tupleIffNS6_9null_typeES8_S8_S8_S8_S8_S8_S8_EEEEZZNS1_27merge_sort_block_merge_implIS3_NS6_6detail15normal_iteratorINS6_10device_ptrIjEEEENSD_INSE_IS9_EEEEjNS1_19radix_merge_compareILb0ELb1EjNS0_19identity_decomposerEEEEE10hipError_tT0_T1_T2_jT3_P12ihipStream_tbPNSt15iterator_traitsISN_E10value_typeEPNST_ISO_E10value_typeEPSP_NS1_7vsmem_tEENKUlT_SN_SO_SP_E_clISG_PjSI_PS9_EESM_S12_SN_SO_SP_EUlS12_E_NS1_11comp_targetILNS1_3genE10ELNS1_11target_archE1201ELNS1_3gpuE5ELNS1_3repE0EEENS1_48merge_mergepath_partition_config_static_selectorELNS0_4arch9wavefront6targetE0EEEvSO_.has_dyn_sized_stack, 0
	.set _ZN7rocprim17ROCPRIM_400000_NS6detail17trampoline_kernelINS0_14default_configENS1_38merge_sort_block_merge_config_selectorIjN6thrust23THRUST_200600_302600_NS5tupleIffNS6_9null_typeES8_S8_S8_S8_S8_S8_S8_EEEEZZNS1_27merge_sort_block_merge_implIS3_NS6_6detail15normal_iteratorINS6_10device_ptrIjEEEENSD_INSE_IS9_EEEEjNS1_19radix_merge_compareILb0ELb1EjNS0_19identity_decomposerEEEEE10hipError_tT0_T1_T2_jT3_P12ihipStream_tbPNSt15iterator_traitsISN_E10value_typeEPNST_ISO_E10value_typeEPSP_NS1_7vsmem_tEENKUlT_SN_SO_SP_E_clISG_PjSI_PS9_EESM_S12_SN_SO_SP_EUlS12_E_NS1_11comp_targetILNS1_3genE10ELNS1_11target_archE1201ELNS1_3gpuE5ELNS1_3repE0EEENS1_48merge_mergepath_partition_config_static_selectorELNS0_4arch9wavefront6targetE0EEEvSO_.has_recursion, 0
	.set _ZN7rocprim17ROCPRIM_400000_NS6detail17trampoline_kernelINS0_14default_configENS1_38merge_sort_block_merge_config_selectorIjN6thrust23THRUST_200600_302600_NS5tupleIffNS6_9null_typeES8_S8_S8_S8_S8_S8_S8_EEEEZZNS1_27merge_sort_block_merge_implIS3_NS6_6detail15normal_iteratorINS6_10device_ptrIjEEEENSD_INSE_IS9_EEEEjNS1_19radix_merge_compareILb0ELb1EjNS0_19identity_decomposerEEEEE10hipError_tT0_T1_T2_jT3_P12ihipStream_tbPNSt15iterator_traitsISN_E10value_typeEPNST_ISO_E10value_typeEPSP_NS1_7vsmem_tEENKUlT_SN_SO_SP_E_clISG_PjSI_PS9_EESM_S12_SN_SO_SP_EUlS12_E_NS1_11comp_targetILNS1_3genE10ELNS1_11target_archE1201ELNS1_3gpuE5ELNS1_3repE0EEENS1_48merge_mergepath_partition_config_static_selectorELNS0_4arch9wavefront6targetE0EEEvSO_.has_indirect_call, 0
	.section	.AMDGPU.csdata,"",@progbits
; Kernel info:
; codeLenInByte = 0
; TotalNumSgprs: 0
; NumVgprs: 0
; ScratchSize: 0
; MemoryBound: 0
; FloatMode: 240
; IeeeMode: 1
; LDSByteSize: 0 bytes/workgroup (compile time only)
; SGPRBlocks: 0
; VGPRBlocks: 0
; NumSGPRsForWavesPerEU: 1
; NumVGPRsForWavesPerEU: 1
; NamedBarCnt: 0
; Occupancy: 16
; WaveLimiterHint : 0
; COMPUTE_PGM_RSRC2:SCRATCH_EN: 0
; COMPUTE_PGM_RSRC2:USER_SGPR: 2
; COMPUTE_PGM_RSRC2:TRAP_HANDLER: 0
; COMPUTE_PGM_RSRC2:TGID_X_EN: 1
; COMPUTE_PGM_RSRC2:TGID_Y_EN: 0
; COMPUTE_PGM_RSRC2:TGID_Z_EN: 0
; COMPUTE_PGM_RSRC2:TIDIG_COMP_CNT: 0
	.section	.text._ZN7rocprim17ROCPRIM_400000_NS6detail17trampoline_kernelINS0_14default_configENS1_38merge_sort_block_merge_config_selectorIjN6thrust23THRUST_200600_302600_NS5tupleIffNS6_9null_typeES8_S8_S8_S8_S8_S8_S8_EEEEZZNS1_27merge_sort_block_merge_implIS3_NS6_6detail15normal_iteratorINS6_10device_ptrIjEEEENSD_INSE_IS9_EEEEjNS1_19radix_merge_compareILb0ELb1EjNS0_19identity_decomposerEEEEE10hipError_tT0_T1_T2_jT3_P12ihipStream_tbPNSt15iterator_traitsISN_E10value_typeEPNST_ISO_E10value_typeEPSP_NS1_7vsmem_tEENKUlT_SN_SO_SP_E_clISG_PjSI_PS9_EESM_S12_SN_SO_SP_EUlS12_E_NS1_11comp_targetILNS1_3genE5ELNS1_11target_archE942ELNS1_3gpuE9ELNS1_3repE0EEENS1_48merge_mergepath_partition_config_static_selectorELNS0_4arch9wavefront6targetE0EEEvSO_,"axG",@progbits,_ZN7rocprim17ROCPRIM_400000_NS6detail17trampoline_kernelINS0_14default_configENS1_38merge_sort_block_merge_config_selectorIjN6thrust23THRUST_200600_302600_NS5tupleIffNS6_9null_typeES8_S8_S8_S8_S8_S8_S8_EEEEZZNS1_27merge_sort_block_merge_implIS3_NS6_6detail15normal_iteratorINS6_10device_ptrIjEEEENSD_INSE_IS9_EEEEjNS1_19radix_merge_compareILb0ELb1EjNS0_19identity_decomposerEEEEE10hipError_tT0_T1_T2_jT3_P12ihipStream_tbPNSt15iterator_traitsISN_E10value_typeEPNST_ISO_E10value_typeEPSP_NS1_7vsmem_tEENKUlT_SN_SO_SP_E_clISG_PjSI_PS9_EESM_S12_SN_SO_SP_EUlS12_E_NS1_11comp_targetILNS1_3genE5ELNS1_11target_archE942ELNS1_3gpuE9ELNS1_3repE0EEENS1_48merge_mergepath_partition_config_static_selectorELNS0_4arch9wavefront6targetE0EEEvSO_,comdat
	.protected	_ZN7rocprim17ROCPRIM_400000_NS6detail17trampoline_kernelINS0_14default_configENS1_38merge_sort_block_merge_config_selectorIjN6thrust23THRUST_200600_302600_NS5tupleIffNS6_9null_typeES8_S8_S8_S8_S8_S8_S8_EEEEZZNS1_27merge_sort_block_merge_implIS3_NS6_6detail15normal_iteratorINS6_10device_ptrIjEEEENSD_INSE_IS9_EEEEjNS1_19radix_merge_compareILb0ELb1EjNS0_19identity_decomposerEEEEE10hipError_tT0_T1_T2_jT3_P12ihipStream_tbPNSt15iterator_traitsISN_E10value_typeEPNST_ISO_E10value_typeEPSP_NS1_7vsmem_tEENKUlT_SN_SO_SP_E_clISG_PjSI_PS9_EESM_S12_SN_SO_SP_EUlS12_E_NS1_11comp_targetILNS1_3genE5ELNS1_11target_archE942ELNS1_3gpuE9ELNS1_3repE0EEENS1_48merge_mergepath_partition_config_static_selectorELNS0_4arch9wavefront6targetE0EEEvSO_ ; -- Begin function _ZN7rocprim17ROCPRIM_400000_NS6detail17trampoline_kernelINS0_14default_configENS1_38merge_sort_block_merge_config_selectorIjN6thrust23THRUST_200600_302600_NS5tupleIffNS6_9null_typeES8_S8_S8_S8_S8_S8_S8_EEEEZZNS1_27merge_sort_block_merge_implIS3_NS6_6detail15normal_iteratorINS6_10device_ptrIjEEEENSD_INSE_IS9_EEEEjNS1_19radix_merge_compareILb0ELb1EjNS0_19identity_decomposerEEEEE10hipError_tT0_T1_T2_jT3_P12ihipStream_tbPNSt15iterator_traitsISN_E10value_typeEPNST_ISO_E10value_typeEPSP_NS1_7vsmem_tEENKUlT_SN_SO_SP_E_clISG_PjSI_PS9_EESM_S12_SN_SO_SP_EUlS12_E_NS1_11comp_targetILNS1_3genE5ELNS1_11target_archE942ELNS1_3gpuE9ELNS1_3repE0EEENS1_48merge_mergepath_partition_config_static_selectorELNS0_4arch9wavefront6targetE0EEEvSO_
	.globl	_ZN7rocprim17ROCPRIM_400000_NS6detail17trampoline_kernelINS0_14default_configENS1_38merge_sort_block_merge_config_selectorIjN6thrust23THRUST_200600_302600_NS5tupleIffNS6_9null_typeES8_S8_S8_S8_S8_S8_S8_EEEEZZNS1_27merge_sort_block_merge_implIS3_NS6_6detail15normal_iteratorINS6_10device_ptrIjEEEENSD_INSE_IS9_EEEEjNS1_19radix_merge_compareILb0ELb1EjNS0_19identity_decomposerEEEEE10hipError_tT0_T1_T2_jT3_P12ihipStream_tbPNSt15iterator_traitsISN_E10value_typeEPNST_ISO_E10value_typeEPSP_NS1_7vsmem_tEENKUlT_SN_SO_SP_E_clISG_PjSI_PS9_EESM_S12_SN_SO_SP_EUlS12_E_NS1_11comp_targetILNS1_3genE5ELNS1_11target_archE942ELNS1_3gpuE9ELNS1_3repE0EEENS1_48merge_mergepath_partition_config_static_selectorELNS0_4arch9wavefront6targetE0EEEvSO_
	.p2align	8
	.type	_ZN7rocprim17ROCPRIM_400000_NS6detail17trampoline_kernelINS0_14default_configENS1_38merge_sort_block_merge_config_selectorIjN6thrust23THRUST_200600_302600_NS5tupleIffNS6_9null_typeES8_S8_S8_S8_S8_S8_S8_EEEEZZNS1_27merge_sort_block_merge_implIS3_NS6_6detail15normal_iteratorINS6_10device_ptrIjEEEENSD_INSE_IS9_EEEEjNS1_19radix_merge_compareILb0ELb1EjNS0_19identity_decomposerEEEEE10hipError_tT0_T1_T2_jT3_P12ihipStream_tbPNSt15iterator_traitsISN_E10value_typeEPNST_ISO_E10value_typeEPSP_NS1_7vsmem_tEENKUlT_SN_SO_SP_E_clISG_PjSI_PS9_EESM_S12_SN_SO_SP_EUlS12_E_NS1_11comp_targetILNS1_3genE5ELNS1_11target_archE942ELNS1_3gpuE9ELNS1_3repE0EEENS1_48merge_mergepath_partition_config_static_selectorELNS0_4arch9wavefront6targetE0EEEvSO_,@function
_ZN7rocprim17ROCPRIM_400000_NS6detail17trampoline_kernelINS0_14default_configENS1_38merge_sort_block_merge_config_selectorIjN6thrust23THRUST_200600_302600_NS5tupleIffNS6_9null_typeES8_S8_S8_S8_S8_S8_S8_EEEEZZNS1_27merge_sort_block_merge_implIS3_NS6_6detail15normal_iteratorINS6_10device_ptrIjEEEENSD_INSE_IS9_EEEEjNS1_19radix_merge_compareILb0ELb1EjNS0_19identity_decomposerEEEEE10hipError_tT0_T1_T2_jT3_P12ihipStream_tbPNSt15iterator_traitsISN_E10value_typeEPNST_ISO_E10value_typeEPSP_NS1_7vsmem_tEENKUlT_SN_SO_SP_E_clISG_PjSI_PS9_EESM_S12_SN_SO_SP_EUlS12_E_NS1_11comp_targetILNS1_3genE5ELNS1_11target_archE942ELNS1_3gpuE9ELNS1_3repE0EEENS1_48merge_mergepath_partition_config_static_selectorELNS0_4arch9wavefront6targetE0EEEvSO_: ; @_ZN7rocprim17ROCPRIM_400000_NS6detail17trampoline_kernelINS0_14default_configENS1_38merge_sort_block_merge_config_selectorIjN6thrust23THRUST_200600_302600_NS5tupleIffNS6_9null_typeES8_S8_S8_S8_S8_S8_S8_EEEEZZNS1_27merge_sort_block_merge_implIS3_NS6_6detail15normal_iteratorINS6_10device_ptrIjEEEENSD_INSE_IS9_EEEEjNS1_19radix_merge_compareILb0ELb1EjNS0_19identity_decomposerEEEEE10hipError_tT0_T1_T2_jT3_P12ihipStream_tbPNSt15iterator_traitsISN_E10value_typeEPNST_ISO_E10value_typeEPSP_NS1_7vsmem_tEENKUlT_SN_SO_SP_E_clISG_PjSI_PS9_EESM_S12_SN_SO_SP_EUlS12_E_NS1_11comp_targetILNS1_3genE5ELNS1_11target_archE942ELNS1_3gpuE9ELNS1_3repE0EEENS1_48merge_mergepath_partition_config_static_selectorELNS0_4arch9wavefront6targetE0EEEvSO_
; %bb.0:
	.section	.rodata,"a",@progbits
	.p2align	6, 0x0
	.amdhsa_kernel _ZN7rocprim17ROCPRIM_400000_NS6detail17trampoline_kernelINS0_14default_configENS1_38merge_sort_block_merge_config_selectorIjN6thrust23THRUST_200600_302600_NS5tupleIffNS6_9null_typeES8_S8_S8_S8_S8_S8_S8_EEEEZZNS1_27merge_sort_block_merge_implIS3_NS6_6detail15normal_iteratorINS6_10device_ptrIjEEEENSD_INSE_IS9_EEEEjNS1_19radix_merge_compareILb0ELb1EjNS0_19identity_decomposerEEEEE10hipError_tT0_T1_T2_jT3_P12ihipStream_tbPNSt15iterator_traitsISN_E10value_typeEPNST_ISO_E10value_typeEPSP_NS1_7vsmem_tEENKUlT_SN_SO_SP_E_clISG_PjSI_PS9_EESM_S12_SN_SO_SP_EUlS12_E_NS1_11comp_targetILNS1_3genE5ELNS1_11target_archE942ELNS1_3gpuE9ELNS1_3repE0EEENS1_48merge_mergepath_partition_config_static_selectorELNS0_4arch9wavefront6targetE0EEEvSO_
		.amdhsa_group_segment_fixed_size 0
		.amdhsa_private_segment_fixed_size 0
		.amdhsa_kernarg_size 40
		.amdhsa_user_sgpr_count 2
		.amdhsa_user_sgpr_dispatch_ptr 0
		.amdhsa_user_sgpr_queue_ptr 0
		.amdhsa_user_sgpr_kernarg_segment_ptr 1
		.amdhsa_user_sgpr_dispatch_id 0
		.amdhsa_user_sgpr_kernarg_preload_length 0
		.amdhsa_user_sgpr_kernarg_preload_offset 0
		.amdhsa_user_sgpr_private_segment_size 0
		.amdhsa_wavefront_size32 1
		.amdhsa_uses_dynamic_stack 0
		.amdhsa_enable_private_segment 0
		.amdhsa_system_sgpr_workgroup_id_x 1
		.amdhsa_system_sgpr_workgroup_id_y 0
		.amdhsa_system_sgpr_workgroup_id_z 0
		.amdhsa_system_sgpr_workgroup_info 0
		.amdhsa_system_vgpr_workitem_id 0
		.amdhsa_next_free_vgpr 1
		.amdhsa_next_free_sgpr 1
		.amdhsa_named_barrier_count 0
		.amdhsa_reserve_vcc 0
		.amdhsa_float_round_mode_32 0
		.amdhsa_float_round_mode_16_64 0
		.amdhsa_float_denorm_mode_32 3
		.amdhsa_float_denorm_mode_16_64 3
		.amdhsa_fp16_overflow 0
		.amdhsa_memory_ordered 1
		.amdhsa_forward_progress 1
		.amdhsa_inst_pref_size 0
		.amdhsa_round_robin_scheduling 0
		.amdhsa_exception_fp_ieee_invalid_op 0
		.amdhsa_exception_fp_denorm_src 0
		.amdhsa_exception_fp_ieee_div_zero 0
		.amdhsa_exception_fp_ieee_overflow 0
		.amdhsa_exception_fp_ieee_underflow 0
		.amdhsa_exception_fp_ieee_inexact 0
		.amdhsa_exception_int_div_zero 0
	.end_amdhsa_kernel
	.section	.text._ZN7rocprim17ROCPRIM_400000_NS6detail17trampoline_kernelINS0_14default_configENS1_38merge_sort_block_merge_config_selectorIjN6thrust23THRUST_200600_302600_NS5tupleIffNS6_9null_typeES8_S8_S8_S8_S8_S8_S8_EEEEZZNS1_27merge_sort_block_merge_implIS3_NS6_6detail15normal_iteratorINS6_10device_ptrIjEEEENSD_INSE_IS9_EEEEjNS1_19radix_merge_compareILb0ELb1EjNS0_19identity_decomposerEEEEE10hipError_tT0_T1_T2_jT3_P12ihipStream_tbPNSt15iterator_traitsISN_E10value_typeEPNST_ISO_E10value_typeEPSP_NS1_7vsmem_tEENKUlT_SN_SO_SP_E_clISG_PjSI_PS9_EESM_S12_SN_SO_SP_EUlS12_E_NS1_11comp_targetILNS1_3genE5ELNS1_11target_archE942ELNS1_3gpuE9ELNS1_3repE0EEENS1_48merge_mergepath_partition_config_static_selectorELNS0_4arch9wavefront6targetE0EEEvSO_,"axG",@progbits,_ZN7rocprim17ROCPRIM_400000_NS6detail17trampoline_kernelINS0_14default_configENS1_38merge_sort_block_merge_config_selectorIjN6thrust23THRUST_200600_302600_NS5tupleIffNS6_9null_typeES8_S8_S8_S8_S8_S8_S8_EEEEZZNS1_27merge_sort_block_merge_implIS3_NS6_6detail15normal_iteratorINS6_10device_ptrIjEEEENSD_INSE_IS9_EEEEjNS1_19radix_merge_compareILb0ELb1EjNS0_19identity_decomposerEEEEE10hipError_tT0_T1_T2_jT3_P12ihipStream_tbPNSt15iterator_traitsISN_E10value_typeEPNST_ISO_E10value_typeEPSP_NS1_7vsmem_tEENKUlT_SN_SO_SP_E_clISG_PjSI_PS9_EESM_S12_SN_SO_SP_EUlS12_E_NS1_11comp_targetILNS1_3genE5ELNS1_11target_archE942ELNS1_3gpuE9ELNS1_3repE0EEENS1_48merge_mergepath_partition_config_static_selectorELNS0_4arch9wavefront6targetE0EEEvSO_,comdat
.Lfunc_end117:
	.size	_ZN7rocprim17ROCPRIM_400000_NS6detail17trampoline_kernelINS0_14default_configENS1_38merge_sort_block_merge_config_selectorIjN6thrust23THRUST_200600_302600_NS5tupleIffNS6_9null_typeES8_S8_S8_S8_S8_S8_S8_EEEEZZNS1_27merge_sort_block_merge_implIS3_NS6_6detail15normal_iteratorINS6_10device_ptrIjEEEENSD_INSE_IS9_EEEEjNS1_19radix_merge_compareILb0ELb1EjNS0_19identity_decomposerEEEEE10hipError_tT0_T1_T2_jT3_P12ihipStream_tbPNSt15iterator_traitsISN_E10value_typeEPNST_ISO_E10value_typeEPSP_NS1_7vsmem_tEENKUlT_SN_SO_SP_E_clISG_PjSI_PS9_EESM_S12_SN_SO_SP_EUlS12_E_NS1_11comp_targetILNS1_3genE5ELNS1_11target_archE942ELNS1_3gpuE9ELNS1_3repE0EEENS1_48merge_mergepath_partition_config_static_selectorELNS0_4arch9wavefront6targetE0EEEvSO_, .Lfunc_end117-_ZN7rocprim17ROCPRIM_400000_NS6detail17trampoline_kernelINS0_14default_configENS1_38merge_sort_block_merge_config_selectorIjN6thrust23THRUST_200600_302600_NS5tupleIffNS6_9null_typeES8_S8_S8_S8_S8_S8_S8_EEEEZZNS1_27merge_sort_block_merge_implIS3_NS6_6detail15normal_iteratorINS6_10device_ptrIjEEEENSD_INSE_IS9_EEEEjNS1_19radix_merge_compareILb0ELb1EjNS0_19identity_decomposerEEEEE10hipError_tT0_T1_T2_jT3_P12ihipStream_tbPNSt15iterator_traitsISN_E10value_typeEPNST_ISO_E10value_typeEPSP_NS1_7vsmem_tEENKUlT_SN_SO_SP_E_clISG_PjSI_PS9_EESM_S12_SN_SO_SP_EUlS12_E_NS1_11comp_targetILNS1_3genE5ELNS1_11target_archE942ELNS1_3gpuE9ELNS1_3repE0EEENS1_48merge_mergepath_partition_config_static_selectorELNS0_4arch9wavefront6targetE0EEEvSO_
                                        ; -- End function
	.set _ZN7rocprim17ROCPRIM_400000_NS6detail17trampoline_kernelINS0_14default_configENS1_38merge_sort_block_merge_config_selectorIjN6thrust23THRUST_200600_302600_NS5tupleIffNS6_9null_typeES8_S8_S8_S8_S8_S8_S8_EEEEZZNS1_27merge_sort_block_merge_implIS3_NS6_6detail15normal_iteratorINS6_10device_ptrIjEEEENSD_INSE_IS9_EEEEjNS1_19radix_merge_compareILb0ELb1EjNS0_19identity_decomposerEEEEE10hipError_tT0_T1_T2_jT3_P12ihipStream_tbPNSt15iterator_traitsISN_E10value_typeEPNST_ISO_E10value_typeEPSP_NS1_7vsmem_tEENKUlT_SN_SO_SP_E_clISG_PjSI_PS9_EESM_S12_SN_SO_SP_EUlS12_E_NS1_11comp_targetILNS1_3genE5ELNS1_11target_archE942ELNS1_3gpuE9ELNS1_3repE0EEENS1_48merge_mergepath_partition_config_static_selectorELNS0_4arch9wavefront6targetE0EEEvSO_.num_vgpr, 0
	.set _ZN7rocprim17ROCPRIM_400000_NS6detail17trampoline_kernelINS0_14default_configENS1_38merge_sort_block_merge_config_selectorIjN6thrust23THRUST_200600_302600_NS5tupleIffNS6_9null_typeES8_S8_S8_S8_S8_S8_S8_EEEEZZNS1_27merge_sort_block_merge_implIS3_NS6_6detail15normal_iteratorINS6_10device_ptrIjEEEENSD_INSE_IS9_EEEEjNS1_19radix_merge_compareILb0ELb1EjNS0_19identity_decomposerEEEEE10hipError_tT0_T1_T2_jT3_P12ihipStream_tbPNSt15iterator_traitsISN_E10value_typeEPNST_ISO_E10value_typeEPSP_NS1_7vsmem_tEENKUlT_SN_SO_SP_E_clISG_PjSI_PS9_EESM_S12_SN_SO_SP_EUlS12_E_NS1_11comp_targetILNS1_3genE5ELNS1_11target_archE942ELNS1_3gpuE9ELNS1_3repE0EEENS1_48merge_mergepath_partition_config_static_selectorELNS0_4arch9wavefront6targetE0EEEvSO_.num_agpr, 0
	.set _ZN7rocprim17ROCPRIM_400000_NS6detail17trampoline_kernelINS0_14default_configENS1_38merge_sort_block_merge_config_selectorIjN6thrust23THRUST_200600_302600_NS5tupleIffNS6_9null_typeES8_S8_S8_S8_S8_S8_S8_EEEEZZNS1_27merge_sort_block_merge_implIS3_NS6_6detail15normal_iteratorINS6_10device_ptrIjEEEENSD_INSE_IS9_EEEEjNS1_19radix_merge_compareILb0ELb1EjNS0_19identity_decomposerEEEEE10hipError_tT0_T1_T2_jT3_P12ihipStream_tbPNSt15iterator_traitsISN_E10value_typeEPNST_ISO_E10value_typeEPSP_NS1_7vsmem_tEENKUlT_SN_SO_SP_E_clISG_PjSI_PS9_EESM_S12_SN_SO_SP_EUlS12_E_NS1_11comp_targetILNS1_3genE5ELNS1_11target_archE942ELNS1_3gpuE9ELNS1_3repE0EEENS1_48merge_mergepath_partition_config_static_selectorELNS0_4arch9wavefront6targetE0EEEvSO_.numbered_sgpr, 0
	.set _ZN7rocprim17ROCPRIM_400000_NS6detail17trampoline_kernelINS0_14default_configENS1_38merge_sort_block_merge_config_selectorIjN6thrust23THRUST_200600_302600_NS5tupleIffNS6_9null_typeES8_S8_S8_S8_S8_S8_S8_EEEEZZNS1_27merge_sort_block_merge_implIS3_NS6_6detail15normal_iteratorINS6_10device_ptrIjEEEENSD_INSE_IS9_EEEEjNS1_19radix_merge_compareILb0ELb1EjNS0_19identity_decomposerEEEEE10hipError_tT0_T1_T2_jT3_P12ihipStream_tbPNSt15iterator_traitsISN_E10value_typeEPNST_ISO_E10value_typeEPSP_NS1_7vsmem_tEENKUlT_SN_SO_SP_E_clISG_PjSI_PS9_EESM_S12_SN_SO_SP_EUlS12_E_NS1_11comp_targetILNS1_3genE5ELNS1_11target_archE942ELNS1_3gpuE9ELNS1_3repE0EEENS1_48merge_mergepath_partition_config_static_selectorELNS0_4arch9wavefront6targetE0EEEvSO_.num_named_barrier, 0
	.set _ZN7rocprim17ROCPRIM_400000_NS6detail17trampoline_kernelINS0_14default_configENS1_38merge_sort_block_merge_config_selectorIjN6thrust23THRUST_200600_302600_NS5tupleIffNS6_9null_typeES8_S8_S8_S8_S8_S8_S8_EEEEZZNS1_27merge_sort_block_merge_implIS3_NS6_6detail15normal_iteratorINS6_10device_ptrIjEEEENSD_INSE_IS9_EEEEjNS1_19radix_merge_compareILb0ELb1EjNS0_19identity_decomposerEEEEE10hipError_tT0_T1_T2_jT3_P12ihipStream_tbPNSt15iterator_traitsISN_E10value_typeEPNST_ISO_E10value_typeEPSP_NS1_7vsmem_tEENKUlT_SN_SO_SP_E_clISG_PjSI_PS9_EESM_S12_SN_SO_SP_EUlS12_E_NS1_11comp_targetILNS1_3genE5ELNS1_11target_archE942ELNS1_3gpuE9ELNS1_3repE0EEENS1_48merge_mergepath_partition_config_static_selectorELNS0_4arch9wavefront6targetE0EEEvSO_.private_seg_size, 0
	.set _ZN7rocprim17ROCPRIM_400000_NS6detail17trampoline_kernelINS0_14default_configENS1_38merge_sort_block_merge_config_selectorIjN6thrust23THRUST_200600_302600_NS5tupleIffNS6_9null_typeES8_S8_S8_S8_S8_S8_S8_EEEEZZNS1_27merge_sort_block_merge_implIS3_NS6_6detail15normal_iteratorINS6_10device_ptrIjEEEENSD_INSE_IS9_EEEEjNS1_19radix_merge_compareILb0ELb1EjNS0_19identity_decomposerEEEEE10hipError_tT0_T1_T2_jT3_P12ihipStream_tbPNSt15iterator_traitsISN_E10value_typeEPNST_ISO_E10value_typeEPSP_NS1_7vsmem_tEENKUlT_SN_SO_SP_E_clISG_PjSI_PS9_EESM_S12_SN_SO_SP_EUlS12_E_NS1_11comp_targetILNS1_3genE5ELNS1_11target_archE942ELNS1_3gpuE9ELNS1_3repE0EEENS1_48merge_mergepath_partition_config_static_selectorELNS0_4arch9wavefront6targetE0EEEvSO_.uses_vcc, 0
	.set _ZN7rocprim17ROCPRIM_400000_NS6detail17trampoline_kernelINS0_14default_configENS1_38merge_sort_block_merge_config_selectorIjN6thrust23THRUST_200600_302600_NS5tupleIffNS6_9null_typeES8_S8_S8_S8_S8_S8_S8_EEEEZZNS1_27merge_sort_block_merge_implIS3_NS6_6detail15normal_iteratorINS6_10device_ptrIjEEEENSD_INSE_IS9_EEEEjNS1_19radix_merge_compareILb0ELb1EjNS0_19identity_decomposerEEEEE10hipError_tT0_T1_T2_jT3_P12ihipStream_tbPNSt15iterator_traitsISN_E10value_typeEPNST_ISO_E10value_typeEPSP_NS1_7vsmem_tEENKUlT_SN_SO_SP_E_clISG_PjSI_PS9_EESM_S12_SN_SO_SP_EUlS12_E_NS1_11comp_targetILNS1_3genE5ELNS1_11target_archE942ELNS1_3gpuE9ELNS1_3repE0EEENS1_48merge_mergepath_partition_config_static_selectorELNS0_4arch9wavefront6targetE0EEEvSO_.uses_flat_scratch, 0
	.set _ZN7rocprim17ROCPRIM_400000_NS6detail17trampoline_kernelINS0_14default_configENS1_38merge_sort_block_merge_config_selectorIjN6thrust23THRUST_200600_302600_NS5tupleIffNS6_9null_typeES8_S8_S8_S8_S8_S8_S8_EEEEZZNS1_27merge_sort_block_merge_implIS3_NS6_6detail15normal_iteratorINS6_10device_ptrIjEEEENSD_INSE_IS9_EEEEjNS1_19radix_merge_compareILb0ELb1EjNS0_19identity_decomposerEEEEE10hipError_tT0_T1_T2_jT3_P12ihipStream_tbPNSt15iterator_traitsISN_E10value_typeEPNST_ISO_E10value_typeEPSP_NS1_7vsmem_tEENKUlT_SN_SO_SP_E_clISG_PjSI_PS9_EESM_S12_SN_SO_SP_EUlS12_E_NS1_11comp_targetILNS1_3genE5ELNS1_11target_archE942ELNS1_3gpuE9ELNS1_3repE0EEENS1_48merge_mergepath_partition_config_static_selectorELNS0_4arch9wavefront6targetE0EEEvSO_.has_dyn_sized_stack, 0
	.set _ZN7rocprim17ROCPRIM_400000_NS6detail17trampoline_kernelINS0_14default_configENS1_38merge_sort_block_merge_config_selectorIjN6thrust23THRUST_200600_302600_NS5tupleIffNS6_9null_typeES8_S8_S8_S8_S8_S8_S8_EEEEZZNS1_27merge_sort_block_merge_implIS3_NS6_6detail15normal_iteratorINS6_10device_ptrIjEEEENSD_INSE_IS9_EEEEjNS1_19radix_merge_compareILb0ELb1EjNS0_19identity_decomposerEEEEE10hipError_tT0_T1_T2_jT3_P12ihipStream_tbPNSt15iterator_traitsISN_E10value_typeEPNST_ISO_E10value_typeEPSP_NS1_7vsmem_tEENKUlT_SN_SO_SP_E_clISG_PjSI_PS9_EESM_S12_SN_SO_SP_EUlS12_E_NS1_11comp_targetILNS1_3genE5ELNS1_11target_archE942ELNS1_3gpuE9ELNS1_3repE0EEENS1_48merge_mergepath_partition_config_static_selectorELNS0_4arch9wavefront6targetE0EEEvSO_.has_recursion, 0
	.set _ZN7rocprim17ROCPRIM_400000_NS6detail17trampoline_kernelINS0_14default_configENS1_38merge_sort_block_merge_config_selectorIjN6thrust23THRUST_200600_302600_NS5tupleIffNS6_9null_typeES8_S8_S8_S8_S8_S8_S8_EEEEZZNS1_27merge_sort_block_merge_implIS3_NS6_6detail15normal_iteratorINS6_10device_ptrIjEEEENSD_INSE_IS9_EEEEjNS1_19radix_merge_compareILb0ELb1EjNS0_19identity_decomposerEEEEE10hipError_tT0_T1_T2_jT3_P12ihipStream_tbPNSt15iterator_traitsISN_E10value_typeEPNST_ISO_E10value_typeEPSP_NS1_7vsmem_tEENKUlT_SN_SO_SP_E_clISG_PjSI_PS9_EESM_S12_SN_SO_SP_EUlS12_E_NS1_11comp_targetILNS1_3genE5ELNS1_11target_archE942ELNS1_3gpuE9ELNS1_3repE0EEENS1_48merge_mergepath_partition_config_static_selectorELNS0_4arch9wavefront6targetE0EEEvSO_.has_indirect_call, 0
	.section	.AMDGPU.csdata,"",@progbits
; Kernel info:
; codeLenInByte = 0
; TotalNumSgprs: 0
; NumVgprs: 0
; ScratchSize: 0
; MemoryBound: 0
; FloatMode: 240
; IeeeMode: 1
; LDSByteSize: 0 bytes/workgroup (compile time only)
; SGPRBlocks: 0
; VGPRBlocks: 0
; NumSGPRsForWavesPerEU: 1
; NumVGPRsForWavesPerEU: 1
; NamedBarCnt: 0
; Occupancy: 16
; WaveLimiterHint : 0
; COMPUTE_PGM_RSRC2:SCRATCH_EN: 0
; COMPUTE_PGM_RSRC2:USER_SGPR: 2
; COMPUTE_PGM_RSRC2:TRAP_HANDLER: 0
; COMPUTE_PGM_RSRC2:TGID_X_EN: 1
; COMPUTE_PGM_RSRC2:TGID_Y_EN: 0
; COMPUTE_PGM_RSRC2:TGID_Z_EN: 0
; COMPUTE_PGM_RSRC2:TIDIG_COMP_CNT: 0
	.section	.text._ZN7rocprim17ROCPRIM_400000_NS6detail17trampoline_kernelINS0_14default_configENS1_38merge_sort_block_merge_config_selectorIjN6thrust23THRUST_200600_302600_NS5tupleIffNS6_9null_typeES8_S8_S8_S8_S8_S8_S8_EEEEZZNS1_27merge_sort_block_merge_implIS3_NS6_6detail15normal_iteratorINS6_10device_ptrIjEEEENSD_INSE_IS9_EEEEjNS1_19radix_merge_compareILb0ELb1EjNS0_19identity_decomposerEEEEE10hipError_tT0_T1_T2_jT3_P12ihipStream_tbPNSt15iterator_traitsISN_E10value_typeEPNST_ISO_E10value_typeEPSP_NS1_7vsmem_tEENKUlT_SN_SO_SP_E_clISG_PjSI_PS9_EESM_S12_SN_SO_SP_EUlS12_E_NS1_11comp_targetILNS1_3genE4ELNS1_11target_archE910ELNS1_3gpuE8ELNS1_3repE0EEENS1_48merge_mergepath_partition_config_static_selectorELNS0_4arch9wavefront6targetE0EEEvSO_,"axG",@progbits,_ZN7rocprim17ROCPRIM_400000_NS6detail17trampoline_kernelINS0_14default_configENS1_38merge_sort_block_merge_config_selectorIjN6thrust23THRUST_200600_302600_NS5tupleIffNS6_9null_typeES8_S8_S8_S8_S8_S8_S8_EEEEZZNS1_27merge_sort_block_merge_implIS3_NS6_6detail15normal_iteratorINS6_10device_ptrIjEEEENSD_INSE_IS9_EEEEjNS1_19radix_merge_compareILb0ELb1EjNS0_19identity_decomposerEEEEE10hipError_tT0_T1_T2_jT3_P12ihipStream_tbPNSt15iterator_traitsISN_E10value_typeEPNST_ISO_E10value_typeEPSP_NS1_7vsmem_tEENKUlT_SN_SO_SP_E_clISG_PjSI_PS9_EESM_S12_SN_SO_SP_EUlS12_E_NS1_11comp_targetILNS1_3genE4ELNS1_11target_archE910ELNS1_3gpuE8ELNS1_3repE0EEENS1_48merge_mergepath_partition_config_static_selectorELNS0_4arch9wavefront6targetE0EEEvSO_,comdat
	.protected	_ZN7rocprim17ROCPRIM_400000_NS6detail17trampoline_kernelINS0_14default_configENS1_38merge_sort_block_merge_config_selectorIjN6thrust23THRUST_200600_302600_NS5tupleIffNS6_9null_typeES8_S8_S8_S8_S8_S8_S8_EEEEZZNS1_27merge_sort_block_merge_implIS3_NS6_6detail15normal_iteratorINS6_10device_ptrIjEEEENSD_INSE_IS9_EEEEjNS1_19radix_merge_compareILb0ELb1EjNS0_19identity_decomposerEEEEE10hipError_tT0_T1_T2_jT3_P12ihipStream_tbPNSt15iterator_traitsISN_E10value_typeEPNST_ISO_E10value_typeEPSP_NS1_7vsmem_tEENKUlT_SN_SO_SP_E_clISG_PjSI_PS9_EESM_S12_SN_SO_SP_EUlS12_E_NS1_11comp_targetILNS1_3genE4ELNS1_11target_archE910ELNS1_3gpuE8ELNS1_3repE0EEENS1_48merge_mergepath_partition_config_static_selectorELNS0_4arch9wavefront6targetE0EEEvSO_ ; -- Begin function _ZN7rocprim17ROCPRIM_400000_NS6detail17trampoline_kernelINS0_14default_configENS1_38merge_sort_block_merge_config_selectorIjN6thrust23THRUST_200600_302600_NS5tupleIffNS6_9null_typeES8_S8_S8_S8_S8_S8_S8_EEEEZZNS1_27merge_sort_block_merge_implIS3_NS6_6detail15normal_iteratorINS6_10device_ptrIjEEEENSD_INSE_IS9_EEEEjNS1_19radix_merge_compareILb0ELb1EjNS0_19identity_decomposerEEEEE10hipError_tT0_T1_T2_jT3_P12ihipStream_tbPNSt15iterator_traitsISN_E10value_typeEPNST_ISO_E10value_typeEPSP_NS1_7vsmem_tEENKUlT_SN_SO_SP_E_clISG_PjSI_PS9_EESM_S12_SN_SO_SP_EUlS12_E_NS1_11comp_targetILNS1_3genE4ELNS1_11target_archE910ELNS1_3gpuE8ELNS1_3repE0EEENS1_48merge_mergepath_partition_config_static_selectorELNS0_4arch9wavefront6targetE0EEEvSO_
	.globl	_ZN7rocprim17ROCPRIM_400000_NS6detail17trampoline_kernelINS0_14default_configENS1_38merge_sort_block_merge_config_selectorIjN6thrust23THRUST_200600_302600_NS5tupleIffNS6_9null_typeES8_S8_S8_S8_S8_S8_S8_EEEEZZNS1_27merge_sort_block_merge_implIS3_NS6_6detail15normal_iteratorINS6_10device_ptrIjEEEENSD_INSE_IS9_EEEEjNS1_19radix_merge_compareILb0ELb1EjNS0_19identity_decomposerEEEEE10hipError_tT0_T1_T2_jT3_P12ihipStream_tbPNSt15iterator_traitsISN_E10value_typeEPNST_ISO_E10value_typeEPSP_NS1_7vsmem_tEENKUlT_SN_SO_SP_E_clISG_PjSI_PS9_EESM_S12_SN_SO_SP_EUlS12_E_NS1_11comp_targetILNS1_3genE4ELNS1_11target_archE910ELNS1_3gpuE8ELNS1_3repE0EEENS1_48merge_mergepath_partition_config_static_selectorELNS0_4arch9wavefront6targetE0EEEvSO_
	.p2align	8
	.type	_ZN7rocprim17ROCPRIM_400000_NS6detail17trampoline_kernelINS0_14default_configENS1_38merge_sort_block_merge_config_selectorIjN6thrust23THRUST_200600_302600_NS5tupleIffNS6_9null_typeES8_S8_S8_S8_S8_S8_S8_EEEEZZNS1_27merge_sort_block_merge_implIS3_NS6_6detail15normal_iteratorINS6_10device_ptrIjEEEENSD_INSE_IS9_EEEEjNS1_19radix_merge_compareILb0ELb1EjNS0_19identity_decomposerEEEEE10hipError_tT0_T1_T2_jT3_P12ihipStream_tbPNSt15iterator_traitsISN_E10value_typeEPNST_ISO_E10value_typeEPSP_NS1_7vsmem_tEENKUlT_SN_SO_SP_E_clISG_PjSI_PS9_EESM_S12_SN_SO_SP_EUlS12_E_NS1_11comp_targetILNS1_3genE4ELNS1_11target_archE910ELNS1_3gpuE8ELNS1_3repE0EEENS1_48merge_mergepath_partition_config_static_selectorELNS0_4arch9wavefront6targetE0EEEvSO_,@function
_ZN7rocprim17ROCPRIM_400000_NS6detail17trampoline_kernelINS0_14default_configENS1_38merge_sort_block_merge_config_selectorIjN6thrust23THRUST_200600_302600_NS5tupleIffNS6_9null_typeES8_S8_S8_S8_S8_S8_S8_EEEEZZNS1_27merge_sort_block_merge_implIS3_NS6_6detail15normal_iteratorINS6_10device_ptrIjEEEENSD_INSE_IS9_EEEEjNS1_19radix_merge_compareILb0ELb1EjNS0_19identity_decomposerEEEEE10hipError_tT0_T1_T2_jT3_P12ihipStream_tbPNSt15iterator_traitsISN_E10value_typeEPNST_ISO_E10value_typeEPSP_NS1_7vsmem_tEENKUlT_SN_SO_SP_E_clISG_PjSI_PS9_EESM_S12_SN_SO_SP_EUlS12_E_NS1_11comp_targetILNS1_3genE4ELNS1_11target_archE910ELNS1_3gpuE8ELNS1_3repE0EEENS1_48merge_mergepath_partition_config_static_selectorELNS0_4arch9wavefront6targetE0EEEvSO_: ; @_ZN7rocprim17ROCPRIM_400000_NS6detail17trampoline_kernelINS0_14default_configENS1_38merge_sort_block_merge_config_selectorIjN6thrust23THRUST_200600_302600_NS5tupleIffNS6_9null_typeES8_S8_S8_S8_S8_S8_S8_EEEEZZNS1_27merge_sort_block_merge_implIS3_NS6_6detail15normal_iteratorINS6_10device_ptrIjEEEENSD_INSE_IS9_EEEEjNS1_19radix_merge_compareILb0ELb1EjNS0_19identity_decomposerEEEEE10hipError_tT0_T1_T2_jT3_P12ihipStream_tbPNSt15iterator_traitsISN_E10value_typeEPNST_ISO_E10value_typeEPSP_NS1_7vsmem_tEENKUlT_SN_SO_SP_E_clISG_PjSI_PS9_EESM_S12_SN_SO_SP_EUlS12_E_NS1_11comp_targetILNS1_3genE4ELNS1_11target_archE910ELNS1_3gpuE8ELNS1_3repE0EEENS1_48merge_mergepath_partition_config_static_selectorELNS0_4arch9wavefront6targetE0EEEvSO_
; %bb.0:
	.section	.rodata,"a",@progbits
	.p2align	6, 0x0
	.amdhsa_kernel _ZN7rocprim17ROCPRIM_400000_NS6detail17trampoline_kernelINS0_14default_configENS1_38merge_sort_block_merge_config_selectorIjN6thrust23THRUST_200600_302600_NS5tupleIffNS6_9null_typeES8_S8_S8_S8_S8_S8_S8_EEEEZZNS1_27merge_sort_block_merge_implIS3_NS6_6detail15normal_iteratorINS6_10device_ptrIjEEEENSD_INSE_IS9_EEEEjNS1_19radix_merge_compareILb0ELb1EjNS0_19identity_decomposerEEEEE10hipError_tT0_T1_T2_jT3_P12ihipStream_tbPNSt15iterator_traitsISN_E10value_typeEPNST_ISO_E10value_typeEPSP_NS1_7vsmem_tEENKUlT_SN_SO_SP_E_clISG_PjSI_PS9_EESM_S12_SN_SO_SP_EUlS12_E_NS1_11comp_targetILNS1_3genE4ELNS1_11target_archE910ELNS1_3gpuE8ELNS1_3repE0EEENS1_48merge_mergepath_partition_config_static_selectorELNS0_4arch9wavefront6targetE0EEEvSO_
		.amdhsa_group_segment_fixed_size 0
		.amdhsa_private_segment_fixed_size 0
		.amdhsa_kernarg_size 40
		.amdhsa_user_sgpr_count 2
		.amdhsa_user_sgpr_dispatch_ptr 0
		.amdhsa_user_sgpr_queue_ptr 0
		.amdhsa_user_sgpr_kernarg_segment_ptr 1
		.amdhsa_user_sgpr_dispatch_id 0
		.amdhsa_user_sgpr_kernarg_preload_length 0
		.amdhsa_user_sgpr_kernarg_preload_offset 0
		.amdhsa_user_sgpr_private_segment_size 0
		.amdhsa_wavefront_size32 1
		.amdhsa_uses_dynamic_stack 0
		.amdhsa_enable_private_segment 0
		.amdhsa_system_sgpr_workgroup_id_x 1
		.amdhsa_system_sgpr_workgroup_id_y 0
		.amdhsa_system_sgpr_workgroup_id_z 0
		.amdhsa_system_sgpr_workgroup_info 0
		.amdhsa_system_vgpr_workitem_id 0
		.amdhsa_next_free_vgpr 1
		.amdhsa_next_free_sgpr 1
		.amdhsa_named_barrier_count 0
		.amdhsa_reserve_vcc 0
		.amdhsa_float_round_mode_32 0
		.amdhsa_float_round_mode_16_64 0
		.amdhsa_float_denorm_mode_32 3
		.amdhsa_float_denorm_mode_16_64 3
		.amdhsa_fp16_overflow 0
		.amdhsa_memory_ordered 1
		.amdhsa_forward_progress 1
		.amdhsa_inst_pref_size 0
		.amdhsa_round_robin_scheduling 0
		.amdhsa_exception_fp_ieee_invalid_op 0
		.amdhsa_exception_fp_denorm_src 0
		.amdhsa_exception_fp_ieee_div_zero 0
		.amdhsa_exception_fp_ieee_overflow 0
		.amdhsa_exception_fp_ieee_underflow 0
		.amdhsa_exception_fp_ieee_inexact 0
		.amdhsa_exception_int_div_zero 0
	.end_amdhsa_kernel
	.section	.text._ZN7rocprim17ROCPRIM_400000_NS6detail17trampoline_kernelINS0_14default_configENS1_38merge_sort_block_merge_config_selectorIjN6thrust23THRUST_200600_302600_NS5tupleIffNS6_9null_typeES8_S8_S8_S8_S8_S8_S8_EEEEZZNS1_27merge_sort_block_merge_implIS3_NS6_6detail15normal_iteratorINS6_10device_ptrIjEEEENSD_INSE_IS9_EEEEjNS1_19radix_merge_compareILb0ELb1EjNS0_19identity_decomposerEEEEE10hipError_tT0_T1_T2_jT3_P12ihipStream_tbPNSt15iterator_traitsISN_E10value_typeEPNST_ISO_E10value_typeEPSP_NS1_7vsmem_tEENKUlT_SN_SO_SP_E_clISG_PjSI_PS9_EESM_S12_SN_SO_SP_EUlS12_E_NS1_11comp_targetILNS1_3genE4ELNS1_11target_archE910ELNS1_3gpuE8ELNS1_3repE0EEENS1_48merge_mergepath_partition_config_static_selectorELNS0_4arch9wavefront6targetE0EEEvSO_,"axG",@progbits,_ZN7rocprim17ROCPRIM_400000_NS6detail17trampoline_kernelINS0_14default_configENS1_38merge_sort_block_merge_config_selectorIjN6thrust23THRUST_200600_302600_NS5tupleIffNS6_9null_typeES8_S8_S8_S8_S8_S8_S8_EEEEZZNS1_27merge_sort_block_merge_implIS3_NS6_6detail15normal_iteratorINS6_10device_ptrIjEEEENSD_INSE_IS9_EEEEjNS1_19radix_merge_compareILb0ELb1EjNS0_19identity_decomposerEEEEE10hipError_tT0_T1_T2_jT3_P12ihipStream_tbPNSt15iterator_traitsISN_E10value_typeEPNST_ISO_E10value_typeEPSP_NS1_7vsmem_tEENKUlT_SN_SO_SP_E_clISG_PjSI_PS9_EESM_S12_SN_SO_SP_EUlS12_E_NS1_11comp_targetILNS1_3genE4ELNS1_11target_archE910ELNS1_3gpuE8ELNS1_3repE0EEENS1_48merge_mergepath_partition_config_static_selectorELNS0_4arch9wavefront6targetE0EEEvSO_,comdat
.Lfunc_end118:
	.size	_ZN7rocprim17ROCPRIM_400000_NS6detail17trampoline_kernelINS0_14default_configENS1_38merge_sort_block_merge_config_selectorIjN6thrust23THRUST_200600_302600_NS5tupleIffNS6_9null_typeES8_S8_S8_S8_S8_S8_S8_EEEEZZNS1_27merge_sort_block_merge_implIS3_NS6_6detail15normal_iteratorINS6_10device_ptrIjEEEENSD_INSE_IS9_EEEEjNS1_19radix_merge_compareILb0ELb1EjNS0_19identity_decomposerEEEEE10hipError_tT0_T1_T2_jT3_P12ihipStream_tbPNSt15iterator_traitsISN_E10value_typeEPNST_ISO_E10value_typeEPSP_NS1_7vsmem_tEENKUlT_SN_SO_SP_E_clISG_PjSI_PS9_EESM_S12_SN_SO_SP_EUlS12_E_NS1_11comp_targetILNS1_3genE4ELNS1_11target_archE910ELNS1_3gpuE8ELNS1_3repE0EEENS1_48merge_mergepath_partition_config_static_selectorELNS0_4arch9wavefront6targetE0EEEvSO_, .Lfunc_end118-_ZN7rocprim17ROCPRIM_400000_NS6detail17trampoline_kernelINS0_14default_configENS1_38merge_sort_block_merge_config_selectorIjN6thrust23THRUST_200600_302600_NS5tupleIffNS6_9null_typeES8_S8_S8_S8_S8_S8_S8_EEEEZZNS1_27merge_sort_block_merge_implIS3_NS6_6detail15normal_iteratorINS6_10device_ptrIjEEEENSD_INSE_IS9_EEEEjNS1_19radix_merge_compareILb0ELb1EjNS0_19identity_decomposerEEEEE10hipError_tT0_T1_T2_jT3_P12ihipStream_tbPNSt15iterator_traitsISN_E10value_typeEPNST_ISO_E10value_typeEPSP_NS1_7vsmem_tEENKUlT_SN_SO_SP_E_clISG_PjSI_PS9_EESM_S12_SN_SO_SP_EUlS12_E_NS1_11comp_targetILNS1_3genE4ELNS1_11target_archE910ELNS1_3gpuE8ELNS1_3repE0EEENS1_48merge_mergepath_partition_config_static_selectorELNS0_4arch9wavefront6targetE0EEEvSO_
                                        ; -- End function
	.set _ZN7rocprim17ROCPRIM_400000_NS6detail17trampoline_kernelINS0_14default_configENS1_38merge_sort_block_merge_config_selectorIjN6thrust23THRUST_200600_302600_NS5tupleIffNS6_9null_typeES8_S8_S8_S8_S8_S8_S8_EEEEZZNS1_27merge_sort_block_merge_implIS3_NS6_6detail15normal_iteratorINS6_10device_ptrIjEEEENSD_INSE_IS9_EEEEjNS1_19radix_merge_compareILb0ELb1EjNS0_19identity_decomposerEEEEE10hipError_tT0_T1_T2_jT3_P12ihipStream_tbPNSt15iterator_traitsISN_E10value_typeEPNST_ISO_E10value_typeEPSP_NS1_7vsmem_tEENKUlT_SN_SO_SP_E_clISG_PjSI_PS9_EESM_S12_SN_SO_SP_EUlS12_E_NS1_11comp_targetILNS1_3genE4ELNS1_11target_archE910ELNS1_3gpuE8ELNS1_3repE0EEENS1_48merge_mergepath_partition_config_static_selectorELNS0_4arch9wavefront6targetE0EEEvSO_.num_vgpr, 0
	.set _ZN7rocprim17ROCPRIM_400000_NS6detail17trampoline_kernelINS0_14default_configENS1_38merge_sort_block_merge_config_selectorIjN6thrust23THRUST_200600_302600_NS5tupleIffNS6_9null_typeES8_S8_S8_S8_S8_S8_S8_EEEEZZNS1_27merge_sort_block_merge_implIS3_NS6_6detail15normal_iteratorINS6_10device_ptrIjEEEENSD_INSE_IS9_EEEEjNS1_19radix_merge_compareILb0ELb1EjNS0_19identity_decomposerEEEEE10hipError_tT0_T1_T2_jT3_P12ihipStream_tbPNSt15iterator_traitsISN_E10value_typeEPNST_ISO_E10value_typeEPSP_NS1_7vsmem_tEENKUlT_SN_SO_SP_E_clISG_PjSI_PS9_EESM_S12_SN_SO_SP_EUlS12_E_NS1_11comp_targetILNS1_3genE4ELNS1_11target_archE910ELNS1_3gpuE8ELNS1_3repE0EEENS1_48merge_mergepath_partition_config_static_selectorELNS0_4arch9wavefront6targetE0EEEvSO_.num_agpr, 0
	.set _ZN7rocprim17ROCPRIM_400000_NS6detail17trampoline_kernelINS0_14default_configENS1_38merge_sort_block_merge_config_selectorIjN6thrust23THRUST_200600_302600_NS5tupleIffNS6_9null_typeES8_S8_S8_S8_S8_S8_S8_EEEEZZNS1_27merge_sort_block_merge_implIS3_NS6_6detail15normal_iteratorINS6_10device_ptrIjEEEENSD_INSE_IS9_EEEEjNS1_19radix_merge_compareILb0ELb1EjNS0_19identity_decomposerEEEEE10hipError_tT0_T1_T2_jT3_P12ihipStream_tbPNSt15iterator_traitsISN_E10value_typeEPNST_ISO_E10value_typeEPSP_NS1_7vsmem_tEENKUlT_SN_SO_SP_E_clISG_PjSI_PS9_EESM_S12_SN_SO_SP_EUlS12_E_NS1_11comp_targetILNS1_3genE4ELNS1_11target_archE910ELNS1_3gpuE8ELNS1_3repE0EEENS1_48merge_mergepath_partition_config_static_selectorELNS0_4arch9wavefront6targetE0EEEvSO_.numbered_sgpr, 0
	.set _ZN7rocprim17ROCPRIM_400000_NS6detail17trampoline_kernelINS0_14default_configENS1_38merge_sort_block_merge_config_selectorIjN6thrust23THRUST_200600_302600_NS5tupleIffNS6_9null_typeES8_S8_S8_S8_S8_S8_S8_EEEEZZNS1_27merge_sort_block_merge_implIS3_NS6_6detail15normal_iteratorINS6_10device_ptrIjEEEENSD_INSE_IS9_EEEEjNS1_19radix_merge_compareILb0ELb1EjNS0_19identity_decomposerEEEEE10hipError_tT0_T1_T2_jT3_P12ihipStream_tbPNSt15iterator_traitsISN_E10value_typeEPNST_ISO_E10value_typeEPSP_NS1_7vsmem_tEENKUlT_SN_SO_SP_E_clISG_PjSI_PS9_EESM_S12_SN_SO_SP_EUlS12_E_NS1_11comp_targetILNS1_3genE4ELNS1_11target_archE910ELNS1_3gpuE8ELNS1_3repE0EEENS1_48merge_mergepath_partition_config_static_selectorELNS0_4arch9wavefront6targetE0EEEvSO_.num_named_barrier, 0
	.set _ZN7rocprim17ROCPRIM_400000_NS6detail17trampoline_kernelINS0_14default_configENS1_38merge_sort_block_merge_config_selectorIjN6thrust23THRUST_200600_302600_NS5tupleIffNS6_9null_typeES8_S8_S8_S8_S8_S8_S8_EEEEZZNS1_27merge_sort_block_merge_implIS3_NS6_6detail15normal_iteratorINS6_10device_ptrIjEEEENSD_INSE_IS9_EEEEjNS1_19radix_merge_compareILb0ELb1EjNS0_19identity_decomposerEEEEE10hipError_tT0_T1_T2_jT3_P12ihipStream_tbPNSt15iterator_traitsISN_E10value_typeEPNST_ISO_E10value_typeEPSP_NS1_7vsmem_tEENKUlT_SN_SO_SP_E_clISG_PjSI_PS9_EESM_S12_SN_SO_SP_EUlS12_E_NS1_11comp_targetILNS1_3genE4ELNS1_11target_archE910ELNS1_3gpuE8ELNS1_3repE0EEENS1_48merge_mergepath_partition_config_static_selectorELNS0_4arch9wavefront6targetE0EEEvSO_.private_seg_size, 0
	.set _ZN7rocprim17ROCPRIM_400000_NS6detail17trampoline_kernelINS0_14default_configENS1_38merge_sort_block_merge_config_selectorIjN6thrust23THRUST_200600_302600_NS5tupleIffNS6_9null_typeES8_S8_S8_S8_S8_S8_S8_EEEEZZNS1_27merge_sort_block_merge_implIS3_NS6_6detail15normal_iteratorINS6_10device_ptrIjEEEENSD_INSE_IS9_EEEEjNS1_19radix_merge_compareILb0ELb1EjNS0_19identity_decomposerEEEEE10hipError_tT0_T1_T2_jT3_P12ihipStream_tbPNSt15iterator_traitsISN_E10value_typeEPNST_ISO_E10value_typeEPSP_NS1_7vsmem_tEENKUlT_SN_SO_SP_E_clISG_PjSI_PS9_EESM_S12_SN_SO_SP_EUlS12_E_NS1_11comp_targetILNS1_3genE4ELNS1_11target_archE910ELNS1_3gpuE8ELNS1_3repE0EEENS1_48merge_mergepath_partition_config_static_selectorELNS0_4arch9wavefront6targetE0EEEvSO_.uses_vcc, 0
	.set _ZN7rocprim17ROCPRIM_400000_NS6detail17trampoline_kernelINS0_14default_configENS1_38merge_sort_block_merge_config_selectorIjN6thrust23THRUST_200600_302600_NS5tupleIffNS6_9null_typeES8_S8_S8_S8_S8_S8_S8_EEEEZZNS1_27merge_sort_block_merge_implIS3_NS6_6detail15normal_iteratorINS6_10device_ptrIjEEEENSD_INSE_IS9_EEEEjNS1_19radix_merge_compareILb0ELb1EjNS0_19identity_decomposerEEEEE10hipError_tT0_T1_T2_jT3_P12ihipStream_tbPNSt15iterator_traitsISN_E10value_typeEPNST_ISO_E10value_typeEPSP_NS1_7vsmem_tEENKUlT_SN_SO_SP_E_clISG_PjSI_PS9_EESM_S12_SN_SO_SP_EUlS12_E_NS1_11comp_targetILNS1_3genE4ELNS1_11target_archE910ELNS1_3gpuE8ELNS1_3repE0EEENS1_48merge_mergepath_partition_config_static_selectorELNS0_4arch9wavefront6targetE0EEEvSO_.uses_flat_scratch, 0
	.set _ZN7rocprim17ROCPRIM_400000_NS6detail17trampoline_kernelINS0_14default_configENS1_38merge_sort_block_merge_config_selectorIjN6thrust23THRUST_200600_302600_NS5tupleIffNS6_9null_typeES8_S8_S8_S8_S8_S8_S8_EEEEZZNS1_27merge_sort_block_merge_implIS3_NS6_6detail15normal_iteratorINS6_10device_ptrIjEEEENSD_INSE_IS9_EEEEjNS1_19radix_merge_compareILb0ELb1EjNS0_19identity_decomposerEEEEE10hipError_tT0_T1_T2_jT3_P12ihipStream_tbPNSt15iterator_traitsISN_E10value_typeEPNST_ISO_E10value_typeEPSP_NS1_7vsmem_tEENKUlT_SN_SO_SP_E_clISG_PjSI_PS9_EESM_S12_SN_SO_SP_EUlS12_E_NS1_11comp_targetILNS1_3genE4ELNS1_11target_archE910ELNS1_3gpuE8ELNS1_3repE0EEENS1_48merge_mergepath_partition_config_static_selectorELNS0_4arch9wavefront6targetE0EEEvSO_.has_dyn_sized_stack, 0
	.set _ZN7rocprim17ROCPRIM_400000_NS6detail17trampoline_kernelINS0_14default_configENS1_38merge_sort_block_merge_config_selectorIjN6thrust23THRUST_200600_302600_NS5tupleIffNS6_9null_typeES8_S8_S8_S8_S8_S8_S8_EEEEZZNS1_27merge_sort_block_merge_implIS3_NS6_6detail15normal_iteratorINS6_10device_ptrIjEEEENSD_INSE_IS9_EEEEjNS1_19radix_merge_compareILb0ELb1EjNS0_19identity_decomposerEEEEE10hipError_tT0_T1_T2_jT3_P12ihipStream_tbPNSt15iterator_traitsISN_E10value_typeEPNST_ISO_E10value_typeEPSP_NS1_7vsmem_tEENKUlT_SN_SO_SP_E_clISG_PjSI_PS9_EESM_S12_SN_SO_SP_EUlS12_E_NS1_11comp_targetILNS1_3genE4ELNS1_11target_archE910ELNS1_3gpuE8ELNS1_3repE0EEENS1_48merge_mergepath_partition_config_static_selectorELNS0_4arch9wavefront6targetE0EEEvSO_.has_recursion, 0
	.set _ZN7rocprim17ROCPRIM_400000_NS6detail17trampoline_kernelINS0_14default_configENS1_38merge_sort_block_merge_config_selectorIjN6thrust23THRUST_200600_302600_NS5tupleIffNS6_9null_typeES8_S8_S8_S8_S8_S8_S8_EEEEZZNS1_27merge_sort_block_merge_implIS3_NS6_6detail15normal_iteratorINS6_10device_ptrIjEEEENSD_INSE_IS9_EEEEjNS1_19radix_merge_compareILb0ELb1EjNS0_19identity_decomposerEEEEE10hipError_tT0_T1_T2_jT3_P12ihipStream_tbPNSt15iterator_traitsISN_E10value_typeEPNST_ISO_E10value_typeEPSP_NS1_7vsmem_tEENKUlT_SN_SO_SP_E_clISG_PjSI_PS9_EESM_S12_SN_SO_SP_EUlS12_E_NS1_11comp_targetILNS1_3genE4ELNS1_11target_archE910ELNS1_3gpuE8ELNS1_3repE0EEENS1_48merge_mergepath_partition_config_static_selectorELNS0_4arch9wavefront6targetE0EEEvSO_.has_indirect_call, 0
	.section	.AMDGPU.csdata,"",@progbits
; Kernel info:
; codeLenInByte = 0
; TotalNumSgprs: 0
; NumVgprs: 0
; ScratchSize: 0
; MemoryBound: 0
; FloatMode: 240
; IeeeMode: 1
; LDSByteSize: 0 bytes/workgroup (compile time only)
; SGPRBlocks: 0
; VGPRBlocks: 0
; NumSGPRsForWavesPerEU: 1
; NumVGPRsForWavesPerEU: 1
; NamedBarCnt: 0
; Occupancy: 16
; WaveLimiterHint : 0
; COMPUTE_PGM_RSRC2:SCRATCH_EN: 0
; COMPUTE_PGM_RSRC2:USER_SGPR: 2
; COMPUTE_PGM_RSRC2:TRAP_HANDLER: 0
; COMPUTE_PGM_RSRC2:TGID_X_EN: 1
; COMPUTE_PGM_RSRC2:TGID_Y_EN: 0
; COMPUTE_PGM_RSRC2:TGID_Z_EN: 0
; COMPUTE_PGM_RSRC2:TIDIG_COMP_CNT: 0
	.section	.text._ZN7rocprim17ROCPRIM_400000_NS6detail17trampoline_kernelINS0_14default_configENS1_38merge_sort_block_merge_config_selectorIjN6thrust23THRUST_200600_302600_NS5tupleIffNS6_9null_typeES8_S8_S8_S8_S8_S8_S8_EEEEZZNS1_27merge_sort_block_merge_implIS3_NS6_6detail15normal_iteratorINS6_10device_ptrIjEEEENSD_INSE_IS9_EEEEjNS1_19radix_merge_compareILb0ELb1EjNS0_19identity_decomposerEEEEE10hipError_tT0_T1_T2_jT3_P12ihipStream_tbPNSt15iterator_traitsISN_E10value_typeEPNST_ISO_E10value_typeEPSP_NS1_7vsmem_tEENKUlT_SN_SO_SP_E_clISG_PjSI_PS9_EESM_S12_SN_SO_SP_EUlS12_E_NS1_11comp_targetILNS1_3genE3ELNS1_11target_archE908ELNS1_3gpuE7ELNS1_3repE0EEENS1_48merge_mergepath_partition_config_static_selectorELNS0_4arch9wavefront6targetE0EEEvSO_,"axG",@progbits,_ZN7rocprim17ROCPRIM_400000_NS6detail17trampoline_kernelINS0_14default_configENS1_38merge_sort_block_merge_config_selectorIjN6thrust23THRUST_200600_302600_NS5tupleIffNS6_9null_typeES8_S8_S8_S8_S8_S8_S8_EEEEZZNS1_27merge_sort_block_merge_implIS3_NS6_6detail15normal_iteratorINS6_10device_ptrIjEEEENSD_INSE_IS9_EEEEjNS1_19radix_merge_compareILb0ELb1EjNS0_19identity_decomposerEEEEE10hipError_tT0_T1_T2_jT3_P12ihipStream_tbPNSt15iterator_traitsISN_E10value_typeEPNST_ISO_E10value_typeEPSP_NS1_7vsmem_tEENKUlT_SN_SO_SP_E_clISG_PjSI_PS9_EESM_S12_SN_SO_SP_EUlS12_E_NS1_11comp_targetILNS1_3genE3ELNS1_11target_archE908ELNS1_3gpuE7ELNS1_3repE0EEENS1_48merge_mergepath_partition_config_static_selectorELNS0_4arch9wavefront6targetE0EEEvSO_,comdat
	.protected	_ZN7rocprim17ROCPRIM_400000_NS6detail17trampoline_kernelINS0_14default_configENS1_38merge_sort_block_merge_config_selectorIjN6thrust23THRUST_200600_302600_NS5tupleIffNS6_9null_typeES8_S8_S8_S8_S8_S8_S8_EEEEZZNS1_27merge_sort_block_merge_implIS3_NS6_6detail15normal_iteratorINS6_10device_ptrIjEEEENSD_INSE_IS9_EEEEjNS1_19radix_merge_compareILb0ELb1EjNS0_19identity_decomposerEEEEE10hipError_tT0_T1_T2_jT3_P12ihipStream_tbPNSt15iterator_traitsISN_E10value_typeEPNST_ISO_E10value_typeEPSP_NS1_7vsmem_tEENKUlT_SN_SO_SP_E_clISG_PjSI_PS9_EESM_S12_SN_SO_SP_EUlS12_E_NS1_11comp_targetILNS1_3genE3ELNS1_11target_archE908ELNS1_3gpuE7ELNS1_3repE0EEENS1_48merge_mergepath_partition_config_static_selectorELNS0_4arch9wavefront6targetE0EEEvSO_ ; -- Begin function _ZN7rocprim17ROCPRIM_400000_NS6detail17trampoline_kernelINS0_14default_configENS1_38merge_sort_block_merge_config_selectorIjN6thrust23THRUST_200600_302600_NS5tupleIffNS6_9null_typeES8_S8_S8_S8_S8_S8_S8_EEEEZZNS1_27merge_sort_block_merge_implIS3_NS6_6detail15normal_iteratorINS6_10device_ptrIjEEEENSD_INSE_IS9_EEEEjNS1_19radix_merge_compareILb0ELb1EjNS0_19identity_decomposerEEEEE10hipError_tT0_T1_T2_jT3_P12ihipStream_tbPNSt15iterator_traitsISN_E10value_typeEPNST_ISO_E10value_typeEPSP_NS1_7vsmem_tEENKUlT_SN_SO_SP_E_clISG_PjSI_PS9_EESM_S12_SN_SO_SP_EUlS12_E_NS1_11comp_targetILNS1_3genE3ELNS1_11target_archE908ELNS1_3gpuE7ELNS1_3repE0EEENS1_48merge_mergepath_partition_config_static_selectorELNS0_4arch9wavefront6targetE0EEEvSO_
	.globl	_ZN7rocprim17ROCPRIM_400000_NS6detail17trampoline_kernelINS0_14default_configENS1_38merge_sort_block_merge_config_selectorIjN6thrust23THRUST_200600_302600_NS5tupleIffNS6_9null_typeES8_S8_S8_S8_S8_S8_S8_EEEEZZNS1_27merge_sort_block_merge_implIS3_NS6_6detail15normal_iteratorINS6_10device_ptrIjEEEENSD_INSE_IS9_EEEEjNS1_19radix_merge_compareILb0ELb1EjNS0_19identity_decomposerEEEEE10hipError_tT0_T1_T2_jT3_P12ihipStream_tbPNSt15iterator_traitsISN_E10value_typeEPNST_ISO_E10value_typeEPSP_NS1_7vsmem_tEENKUlT_SN_SO_SP_E_clISG_PjSI_PS9_EESM_S12_SN_SO_SP_EUlS12_E_NS1_11comp_targetILNS1_3genE3ELNS1_11target_archE908ELNS1_3gpuE7ELNS1_3repE0EEENS1_48merge_mergepath_partition_config_static_selectorELNS0_4arch9wavefront6targetE0EEEvSO_
	.p2align	8
	.type	_ZN7rocprim17ROCPRIM_400000_NS6detail17trampoline_kernelINS0_14default_configENS1_38merge_sort_block_merge_config_selectorIjN6thrust23THRUST_200600_302600_NS5tupleIffNS6_9null_typeES8_S8_S8_S8_S8_S8_S8_EEEEZZNS1_27merge_sort_block_merge_implIS3_NS6_6detail15normal_iteratorINS6_10device_ptrIjEEEENSD_INSE_IS9_EEEEjNS1_19radix_merge_compareILb0ELb1EjNS0_19identity_decomposerEEEEE10hipError_tT0_T1_T2_jT3_P12ihipStream_tbPNSt15iterator_traitsISN_E10value_typeEPNST_ISO_E10value_typeEPSP_NS1_7vsmem_tEENKUlT_SN_SO_SP_E_clISG_PjSI_PS9_EESM_S12_SN_SO_SP_EUlS12_E_NS1_11comp_targetILNS1_3genE3ELNS1_11target_archE908ELNS1_3gpuE7ELNS1_3repE0EEENS1_48merge_mergepath_partition_config_static_selectorELNS0_4arch9wavefront6targetE0EEEvSO_,@function
_ZN7rocprim17ROCPRIM_400000_NS6detail17trampoline_kernelINS0_14default_configENS1_38merge_sort_block_merge_config_selectorIjN6thrust23THRUST_200600_302600_NS5tupleIffNS6_9null_typeES8_S8_S8_S8_S8_S8_S8_EEEEZZNS1_27merge_sort_block_merge_implIS3_NS6_6detail15normal_iteratorINS6_10device_ptrIjEEEENSD_INSE_IS9_EEEEjNS1_19radix_merge_compareILb0ELb1EjNS0_19identity_decomposerEEEEE10hipError_tT0_T1_T2_jT3_P12ihipStream_tbPNSt15iterator_traitsISN_E10value_typeEPNST_ISO_E10value_typeEPSP_NS1_7vsmem_tEENKUlT_SN_SO_SP_E_clISG_PjSI_PS9_EESM_S12_SN_SO_SP_EUlS12_E_NS1_11comp_targetILNS1_3genE3ELNS1_11target_archE908ELNS1_3gpuE7ELNS1_3repE0EEENS1_48merge_mergepath_partition_config_static_selectorELNS0_4arch9wavefront6targetE0EEEvSO_: ; @_ZN7rocprim17ROCPRIM_400000_NS6detail17trampoline_kernelINS0_14default_configENS1_38merge_sort_block_merge_config_selectorIjN6thrust23THRUST_200600_302600_NS5tupleIffNS6_9null_typeES8_S8_S8_S8_S8_S8_S8_EEEEZZNS1_27merge_sort_block_merge_implIS3_NS6_6detail15normal_iteratorINS6_10device_ptrIjEEEENSD_INSE_IS9_EEEEjNS1_19radix_merge_compareILb0ELb1EjNS0_19identity_decomposerEEEEE10hipError_tT0_T1_T2_jT3_P12ihipStream_tbPNSt15iterator_traitsISN_E10value_typeEPNST_ISO_E10value_typeEPSP_NS1_7vsmem_tEENKUlT_SN_SO_SP_E_clISG_PjSI_PS9_EESM_S12_SN_SO_SP_EUlS12_E_NS1_11comp_targetILNS1_3genE3ELNS1_11target_archE908ELNS1_3gpuE7ELNS1_3repE0EEENS1_48merge_mergepath_partition_config_static_selectorELNS0_4arch9wavefront6targetE0EEEvSO_
; %bb.0:
	.section	.rodata,"a",@progbits
	.p2align	6, 0x0
	.amdhsa_kernel _ZN7rocprim17ROCPRIM_400000_NS6detail17trampoline_kernelINS0_14default_configENS1_38merge_sort_block_merge_config_selectorIjN6thrust23THRUST_200600_302600_NS5tupleIffNS6_9null_typeES8_S8_S8_S8_S8_S8_S8_EEEEZZNS1_27merge_sort_block_merge_implIS3_NS6_6detail15normal_iteratorINS6_10device_ptrIjEEEENSD_INSE_IS9_EEEEjNS1_19radix_merge_compareILb0ELb1EjNS0_19identity_decomposerEEEEE10hipError_tT0_T1_T2_jT3_P12ihipStream_tbPNSt15iterator_traitsISN_E10value_typeEPNST_ISO_E10value_typeEPSP_NS1_7vsmem_tEENKUlT_SN_SO_SP_E_clISG_PjSI_PS9_EESM_S12_SN_SO_SP_EUlS12_E_NS1_11comp_targetILNS1_3genE3ELNS1_11target_archE908ELNS1_3gpuE7ELNS1_3repE0EEENS1_48merge_mergepath_partition_config_static_selectorELNS0_4arch9wavefront6targetE0EEEvSO_
		.amdhsa_group_segment_fixed_size 0
		.amdhsa_private_segment_fixed_size 0
		.amdhsa_kernarg_size 40
		.amdhsa_user_sgpr_count 2
		.amdhsa_user_sgpr_dispatch_ptr 0
		.amdhsa_user_sgpr_queue_ptr 0
		.amdhsa_user_sgpr_kernarg_segment_ptr 1
		.amdhsa_user_sgpr_dispatch_id 0
		.amdhsa_user_sgpr_kernarg_preload_length 0
		.amdhsa_user_sgpr_kernarg_preload_offset 0
		.amdhsa_user_sgpr_private_segment_size 0
		.amdhsa_wavefront_size32 1
		.amdhsa_uses_dynamic_stack 0
		.amdhsa_enable_private_segment 0
		.amdhsa_system_sgpr_workgroup_id_x 1
		.amdhsa_system_sgpr_workgroup_id_y 0
		.amdhsa_system_sgpr_workgroup_id_z 0
		.amdhsa_system_sgpr_workgroup_info 0
		.amdhsa_system_vgpr_workitem_id 0
		.amdhsa_next_free_vgpr 1
		.amdhsa_next_free_sgpr 1
		.amdhsa_named_barrier_count 0
		.amdhsa_reserve_vcc 0
		.amdhsa_float_round_mode_32 0
		.amdhsa_float_round_mode_16_64 0
		.amdhsa_float_denorm_mode_32 3
		.amdhsa_float_denorm_mode_16_64 3
		.amdhsa_fp16_overflow 0
		.amdhsa_memory_ordered 1
		.amdhsa_forward_progress 1
		.amdhsa_inst_pref_size 0
		.amdhsa_round_robin_scheduling 0
		.amdhsa_exception_fp_ieee_invalid_op 0
		.amdhsa_exception_fp_denorm_src 0
		.amdhsa_exception_fp_ieee_div_zero 0
		.amdhsa_exception_fp_ieee_overflow 0
		.amdhsa_exception_fp_ieee_underflow 0
		.amdhsa_exception_fp_ieee_inexact 0
		.amdhsa_exception_int_div_zero 0
	.end_amdhsa_kernel
	.section	.text._ZN7rocprim17ROCPRIM_400000_NS6detail17trampoline_kernelINS0_14default_configENS1_38merge_sort_block_merge_config_selectorIjN6thrust23THRUST_200600_302600_NS5tupleIffNS6_9null_typeES8_S8_S8_S8_S8_S8_S8_EEEEZZNS1_27merge_sort_block_merge_implIS3_NS6_6detail15normal_iteratorINS6_10device_ptrIjEEEENSD_INSE_IS9_EEEEjNS1_19radix_merge_compareILb0ELb1EjNS0_19identity_decomposerEEEEE10hipError_tT0_T1_T2_jT3_P12ihipStream_tbPNSt15iterator_traitsISN_E10value_typeEPNST_ISO_E10value_typeEPSP_NS1_7vsmem_tEENKUlT_SN_SO_SP_E_clISG_PjSI_PS9_EESM_S12_SN_SO_SP_EUlS12_E_NS1_11comp_targetILNS1_3genE3ELNS1_11target_archE908ELNS1_3gpuE7ELNS1_3repE0EEENS1_48merge_mergepath_partition_config_static_selectorELNS0_4arch9wavefront6targetE0EEEvSO_,"axG",@progbits,_ZN7rocprim17ROCPRIM_400000_NS6detail17trampoline_kernelINS0_14default_configENS1_38merge_sort_block_merge_config_selectorIjN6thrust23THRUST_200600_302600_NS5tupleIffNS6_9null_typeES8_S8_S8_S8_S8_S8_S8_EEEEZZNS1_27merge_sort_block_merge_implIS3_NS6_6detail15normal_iteratorINS6_10device_ptrIjEEEENSD_INSE_IS9_EEEEjNS1_19radix_merge_compareILb0ELb1EjNS0_19identity_decomposerEEEEE10hipError_tT0_T1_T2_jT3_P12ihipStream_tbPNSt15iterator_traitsISN_E10value_typeEPNST_ISO_E10value_typeEPSP_NS1_7vsmem_tEENKUlT_SN_SO_SP_E_clISG_PjSI_PS9_EESM_S12_SN_SO_SP_EUlS12_E_NS1_11comp_targetILNS1_3genE3ELNS1_11target_archE908ELNS1_3gpuE7ELNS1_3repE0EEENS1_48merge_mergepath_partition_config_static_selectorELNS0_4arch9wavefront6targetE0EEEvSO_,comdat
.Lfunc_end119:
	.size	_ZN7rocprim17ROCPRIM_400000_NS6detail17trampoline_kernelINS0_14default_configENS1_38merge_sort_block_merge_config_selectorIjN6thrust23THRUST_200600_302600_NS5tupleIffNS6_9null_typeES8_S8_S8_S8_S8_S8_S8_EEEEZZNS1_27merge_sort_block_merge_implIS3_NS6_6detail15normal_iteratorINS6_10device_ptrIjEEEENSD_INSE_IS9_EEEEjNS1_19radix_merge_compareILb0ELb1EjNS0_19identity_decomposerEEEEE10hipError_tT0_T1_T2_jT3_P12ihipStream_tbPNSt15iterator_traitsISN_E10value_typeEPNST_ISO_E10value_typeEPSP_NS1_7vsmem_tEENKUlT_SN_SO_SP_E_clISG_PjSI_PS9_EESM_S12_SN_SO_SP_EUlS12_E_NS1_11comp_targetILNS1_3genE3ELNS1_11target_archE908ELNS1_3gpuE7ELNS1_3repE0EEENS1_48merge_mergepath_partition_config_static_selectorELNS0_4arch9wavefront6targetE0EEEvSO_, .Lfunc_end119-_ZN7rocprim17ROCPRIM_400000_NS6detail17trampoline_kernelINS0_14default_configENS1_38merge_sort_block_merge_config_selectorIjN6thrust23THRUST_200600_302600_NS5tupleIffNS6_9null_typeES8_S8_S8_S8_S8_S8_S8_EEEEZZNS1_27merge_sort_block_merge_implIS3_NS6_6detail15normal_iteratorINS6_10device_ptrIjEEEENSD_INSE_IS9_EEEEjNS1_19radix_merge_compareILb0ELb1EjNS0_19identity_decomposerEEEEE10hipError_tT0_T1_T2_jT3_P12ihipStream_tbPNSt15iterator_traitsISN_E10value_typeEPNST_ISO_E10value_typeEPSP_NS1_7vsmem_tEENKUlT_SN_SO_SP_E_clISG_PjSI_PS9_EESM_S12_SN_SO_SP_EUlS12_E_NS1_11comp_targetILNS1_3genE3ELNS1_11target_archE908ELNS1_3gpuE7ELNS1_3repE0EEENS1_48merge_mergepath_partition_config_static_selectorELNS0_4arch9wavefront6targetE0EEEvSO_
                                        ; -- End function
	.set _ZN7rocprim17ROCPRIM_400000_NS6detail17trampoline_kernelINS0_14default_configENS1_38merge_sort_block_merge_config_selectorIjN6thrust23THRUST_200600_302600_NS5tupleIffNS6_9null_typeES8_S8_S8_S8_S8_S8_S8_EEEEZZNS1_27merge_sort_block_merge_implIS3_NS6_6detail15normal_iteratorINS6_10device_ptrIjEEEENSD_INSE_IS9_EEEEjNS1_19radix_merge_compareILb0ELb1EjNS0_19identity_decomposerEEEEE10hipError_tT0_T1_T2_jT3_P12ihipStream_tbPNSt15iterator_traitsISN_E10value_typeEPNST_ISO_E10value_typeEPSP_NS1_7vsmem_tEENKUlT_SN_SO_SP_E_clISG_PjSI_PS9_EESM_S12_SN_SO_SP_EUlS12_E_NS1_11comp_targetILNS1_3genE3ELNS1_11target_archE908ELNS1_3gpuE7ELNS1_3repE0EEENS1_48merge_mergepath_partition_config_static_selectorELNS0_4arch9wavefront6targetE0EEEvSO_.num_vgpr, 0
	.set _ZN7rocprim17ROCPRIM_400000_NS6detail17trampoline_kernelINS0_14default_configENS1_38merge_sort_block_merge_config_selectorIjN6thrust23THRUST_200600_302600_NS5tupleIffNS6_9null_typeES8_S8_S8_S8_S8_S8_S8_EEEEZZNS1_27merge_sort_block_merge_implIS3_NS6_6detail15normal_iteratorINS6_10device_ptrIjEEEENSD_INSE_IS9_EEEEjNS1_19radix_merge_compareILb0ELb1EjNS0_19identity_decomposerEEEEE10hipError_tT0_T1_T2_jT3_P12ihipStream_tbPNSt15iterator_traitsISN_E10value_typeEPNST_ISO_E10value_typeEPSP_NS1_7vsmem_tEENKUlT_SN_SO_SP_E_clISG_PjSI_PS9_EESM_S12_SN_SO_SP_EUlS12_E_NS1_11comp_targetILNS1_3genE3ELNS1_11target_archE908ELNS1_3gpuE7ELNS1_3repE0EEENS1_48merge_mergepath_partition_config_static_selectorELNS0_4arch9wavefront6targetE0EEEvSO_.num_agpr, 0
	.set _ZN7rocprim17ROCPRIM_400000_NS6detail17trampoline_kernelINS0_14default_configENS1_38merge_sort_block_merge_config_selectorIjN6thrust23THRUST_200600_302600_NS5tupleIffNS6_9null_typeES8_S8_S8_S8_S8_S8_S8_EEEEZZNS1_27merge_sort_block_merge_implIS3_NS6_6detail15normal_iteratorINS6_10device_ptrIjEEEENSD_INSE_IS9_EEEEjNS1_19radix_merge_compareILb0ELb1EjNS0_19identity_decomposerEEEEE10hipError_tT0_T1_T2_jT3_P12ihipStream_tbPNSt15iterator_traitsISN_E10value_typeEPNST_ISO_E10value_typeEPSP_NS1_7vsmem_tEENKUlT_SN_SO_SP_E_clISG_PjSI_PS9_EESM_S12_SN_SO_SP_EUlS12_E_NS1_11comp_targetILNS1_3genE3ELNS1_11target_archE908ELNS1_3gpuE7ELNS1_3repE0EEENS1_48merge_mergepath_partition_config_static_selectorELNS0_4arch9wavefront6targetE0EEEvSO_.numbered_sgpr, 0
	.set _ZN7rocprim17ROCPRIM_400000_NS6detail17trampoline_kernelINS0_14default_configENS1_38merge_sort_block_merge_config_selectorIjN6thrust23THRUST_200600_302600_NS5tupleIffNS6_9null_typeES8_S8_S8_S8_S8_S8_S8_EEEEZZNS1_27merge_sort_block_merge_implIS3_NS6_6detail15normal_iteratorINS6_10device_ptrIjEEEENSD_INSE_IS9_EEEEjNS1_19radix_merge_compareILb0ELb1EjNS0_19identity_decomposerEEEEE10hipError_tT0_T1_T2_jT3_P12ihipStream_tbPNSt15iterator_traitsISN_E10value_typeEPNST_ISO_E10value_typeEPSP_NS1_7vsmem_tEENKUlT_SN_SO_SP_E_clISG_PjSI_PS9_EESM_S12_SN_SO_SP_EUlS12_E_NS1_11comp_targetILNS1_3genE3ELNS1_11target_archE908ELNS1_3gpuE7ELNS1_3repE0EEENS1_48merge_mergepath_partition_config_static_selectorELNS0_4arch9wavefront6targetE0EEEvSO_.num_named_barrier, 0
	.set _ZN7rocprim17ROCPRIM_400000_NS6detail17trampoline_kernelINS0_14default_configENS1_38merge_sort_block_merge_config_selectorIjN6thrust23THRUST_200600_302600_NS5tupleIffNS6_9null_typeES8_S8_S8_S8_S8_S8_S8_EEEEZZNS1_27merge_sort_block_merge_implIS3_NS6_6detail15normal_iteratorINS6_10device_ptrIjEEEENSD_INSE_IS9_EEEEjNS1_19radix_merge_compareILb0ELb1EjNS0_19identity_decomposerEEEEE10hipError_tT0_T1_T2_jT3_P12ihipStream_tbPNSt15iterator_traitsISN_E10value_typeEPNST_ISO_E10value_typeEPSP_NS1_7vsmem_tEENKUlT_SN_SO_SP_E_clISG_PjSI_PS9_EESM_S12_SN_SO_SP_EUlS12_E_NS1_11comp_targetILNS1_3genE3ELNS1_11target_archE908ELNS1_3gpuE7ELNS1_3repE0EEENS1_48merge_mergepath_partition_config_static_selectorELNS0_4arch9wavefront6targetE0EEEvSO_.private_seg_size, 0
	.set _ZN7rocprim17ROCPRIM_400000_NS6detail17trampoline_kernelINS0_14default_configENS1_38merge_sort_block_merge_config_selectorIjN6thrust23THRUST_200600_302600_NS5tupleIffNS6_9null_typeES8_S8_S8_S8_S8_S8_S8_EEEEZZNS1_27merge_sort_block_merge_implIS3_NS6_6detail15normal_iteratorINS6_10device_ptrIjEEEENSD_INSE_IS9_EEEEjNS1_19radix_merge_compareILb0ELb1EjNS0_19identity_decomposerEEEEE10hipError_tT0_T1_T2_jT3_P12ihipStream_tbPNSt15iterator_traitsISN_E10value_typeEPNST_ISO_E10value_typeEPSP_NS1_7vsmem_tEENKUlT_SN_SO_SP_E_clISG_PjSI_PS9_EESM_S12_SN_SO_SP_EUlS12_E_NS1_11comp_targetILNS1_3genE3ELNS1_11target_archE908ELNS1_3gpuE7ELNS1_3repE0EEENS1_48merge_mergepath_partition_config_static_selectorELNS0_4arch9wavefront6targetE0EEEvSO_.uses_vcc, 0
	.set _ZN7rocprim17ROCPRIM_400000_NS6detail17trampoline_kernelINS0_14default_configENS1_38merge_sort_block_merge_config_selectorIjN6thrust23THRUST_200600_302600_NS5tupleIffNS6_9null_typeES8_S8_S8_S8_S8_S8_S8_EEEEZZNS1_27merge_sort_block_merge_implIS3_NS6_6detail15normal_iteratorINS6_10device_ptrIjEEEENSD_INSE_IS9_EEEEjNS1_19radix_merge_compareILb0ELb1EjNS0_19identity_decomposerEEEEE10hipError_tT0_T1_T2_jT3_P12ihipStream_tbPNSt15iterator_traitsISN_E10value_typeEPNST_ISO_E10value_typeEPSP_NS1_7vsmem_tEENKUlT_SN_SO_SP_E_clISG_PjSI_PS9_EESM_S12_SN_SO_SP_EUlS12_E_NS1_11comp_targetILNS1_3genE3ELNS1_11target_archE908ELNS1_3gpuE7ELNS1_3repE0EEENS1_48merge_mergepath_partition_config_static_selectorELNS0_4arch9wavefront6targetE0EEEvSO_.uses_flat_scratch, 0
	.set _ZN7rocprim17ROCPRIM_400000_NS6detail17trampoline_kernelINS0_14default_configENS1_38merge_sort_block_merge_config_selectorIjN6thrust23THRUST_200600_302600_NS5tupleIffNS6_9null_typeES8_S8_S8_S8_S8_S8_S8_EEEEZZNS1_27merge_sort_block_merge_implIS3_NS6_6detail15normal_iteratorINS6_10device_ptrIjEEEENSD_INSE_IS9_EEEEjNS1_19radix_merge_compareILb0ELb1EjNS0_19identity_decomposerEEEEE10hipError_tT0_T1_T2_jT3_P12ihipStream_tbPNSt15iterator_traitsISN_E10value_typeEPNST_ISO_E10value_typeEPSP_NS1_7vsmem_tEENKUlT_SN_SO_SP_E_clISG_PjSI_PS9_EESM_S12_SN_SO_SP_EUlS12_E_NS1_11comp_targetILNS1_3genE3ELNS1_11target_archE908ELNS1_3gpuE7ELNS1_3repE0EEENS1_48merge_mergepath_partition_config_static_selectorELNS0_4arch9wavefront6targetE0EEEvSO_.has_dyn_sized_stack, 0
	.set _ZN7rocprim17ROCPRIM_400000_NS6detail17trampoline_kernelINS0_14default_configENS1_38merge_sort_block_merge_config_selectorIjN6thrust23THRUST_200600_302600_NS5tupleIffNS6_9null_typeES8_S8_S8_S8_S8_S8_S8_EEEEZZNS1_27merge_sort_block_merge_implIS3_NS6_6detail15normal_iteratorINS6_10device_ptrIjEEEENSD_INSE_IS9_EEEEjNS1_19radix_merge_compareILb0ELb1EjNS0_19identity_decomposerEEEEE10hipError_tT0_T1_T2_jT3_P12ihipStream_tbPNSt15iterator_traitsISN_E10value_typeEPNST_ISO_E10value_typeEPSP_NS1_7vsmem_tEENKUlT_SN_SO_SP_E_clISG_PjSI_PS9_EESM_S12_SN_SO_SP_EUlS12_E_NS1_11comp_targetILNS1_3genE3ELNS1_11target_archE908ELNS1_3gpuE7ELNS1_3repE0EEENS1_48merge_mergepath_partition_config_static_selectorELNS0_4arch9wavefront6targetE0EEEvSO_.has_recursion, 0
	.set _ZN7rocprim17ROCPRIM_400000_NS6detail17trampoline_kernelINS0_14default_configENS1_38merge_sort_block_merge_config_selectorIjN6thrust23THRUST_200600_302600_NS5tupleIffNS6_9null_typeES8_S8_S8_S8_S8_S8_S8_EEEEZZNS1_27merge_sort_block_merge_implIS3_NS6_6detail15normal_iteratorINS6_10device_ptrIjEEEENSD_INSE_IS9_EEEEjNS1_19radix_merge_compareILb0ELb1EjNS0_19identity_decomposerEEEEE10hipError_tT0_T1_T2_jT3_P12ihipStream_tbPNSt15iterator_traitsISN_E10value_typeEPNST_ISO_E10value_typeEPSP_NS1_7vsmem_tEENKUlT_SN_SO_SP_E_clISG_PjSI_PS9_EESM_S12_SN_SO_SP_EUlS12_E_NS1_11comp_targetILNS1_3genE3ELNS1_11target_archE908ELNS1_3gpuE7ELNS1_3repE0EEENS1_48merge_mergepath_partition_config_static_selectorELNS0_4arch9wavefront6targetE0EEEvSO_.has_indirect_call, 0
	.section	.AMDGPU.csdata,"",@progbits
; Kernel info:
; codeLenInByte = 0
; TotalNumSgprs: 0
; NumVgprs: 0
; ScratchSize: 0
; MemoryBound: 0
; FloatMode: 240
; IeeeMode: 1
; LDSByteSize: 0 bytes/workgroup (compile time only)
; SGPRBlocks: 0
; VGPRBlocks: 0
; NumSGPRsForWavesPerEU: 1
; NumVGPRsForWavesPerEU: 1
; NamedBarCnt: 0
; Occupancy: 16
; WaveLimiterHint : 0
; COMPUTE_PGM_RSRC2:SCRATCH_EN: 0
; COMPUTE_PGM_RSRC2:USER_SGPR: 2
; COMPUTE_PGM_RSRC2:TRAP_HANDLER: 0
; COMPUTE_PGM_RSRC2:TGID_X_EN: 1
; COMPUTE_PGM_RSRC2:TGID_Y_EN: 0
; COMPUTE_PGM_RSRC2:TGID_Z_EN: 0
; COMPUTE_PGM_RSRC2:TIDIG_COMP_CNT: 0
	.section	.text._ZN7rocprim17ROCPRIM_400000_NS6detail17trampoline_kernelINS0_14default_configENS1_38merge_sort_block_merge_config_selectorIjN6thrust23THRUST_200600_302600_NS5tupleIffNS6_9null_typeES8_S8_S8_S8_S8_S8_S8_EEEEZZNS1_27merge_sort_block_merge_implIS3_NS6_6detail15normal_iteratorINS6_10device_ptrIjEEEENSD_INSE_IS9_EEEEjNS1_19radix_merge_compareILb0ELb1EjNS0_19identity_decomposerEEEEE10hipError_tT0_T1_T2_jT3_P12ihipStream_tbPNSt15iterator_traitsISN_E10value_typeEPNST_ISO_E10value_typeEPSP_NS1_7vsmem_tEENKUlT_SN_SO_SP_E_clISG_PjSI_PS9_EESM_S12_SN_SO_SP_EUlS12_E_NS1_11comp_targetILNS1_3genE2ELNS1_11target_archE906ELNS1_3gpuE6ELNS1_3repE0EEENS1_48merge_mergepath_partition_config_static_selectorELNS0_4arch9wavefront6targetE0EEEvSO_,"axG",@progbits,_ZN7rocprim17ROCPRIM_400000_NS6detail17trampoline_kernelINS0_14default_configENS1_38merge_sort_block_merge_config_selectorIjN6thrust23THRUST_200600_302600_NS5tupleIffNS6_9null_typeES8_S8_S8_S8_S8_S8_S8_EEEEZZNS1_27merge_sort_block_merge_implIS3_NS6_6detail15normal_iteratorINS6_10device_ptrIjEEEENSD_INSE_IS9_EEEEjNS1_19radix_merge_compareILb0ELb1EjNS0_19identity_decomposerEEEEE10hipError_tT0_T1_T2_jT3_P12ihipStream_tbPNSt15iterator_traitsISN_E10value_typeEPNST_ISO_E10value_typeEPSP_NS1_7vsmem_tEENKUlT_SN_SO_SP_E_clISG_PjSI_PS9_EESM_S12_SN_SO_SP_EUlS12_E_NS1_11comp_targetILNS1_3genE2ELNS1_11target_archE906ELNS1_3gpuE6ELNS1_3repE0EEENS1_48merge_mergepath_partition_config_static_selectorELNS0_4arch9wavefront6targetE0EEEvSO_,comdat
	.protected	_ZN7rocprim17ROCPRIM_400000_NS6detail17trampoline_kernelINS0_14default_configENS1_38merge_sort_block_merge_config_selectorIjN6thrust23THRUST_200600_302600_NS5tupleIffNS6_9null_typeES8_S8_S8_S8_S8_S8_S8_EEEEZZNS1_27merge_sort_block_merge_implIS3_NS6_6detail15normal_iteratorINS6_10device_ptrIjEEEENSD_INSE_IS9_EEEEjNS1_19radix_merge_compareILb0ELb1EjNS0_19identity_decomposerEEEEE10hipError_tT0_T1_T2_jT3_P12ihipStream_tbPNSt15iterator_traitsISN_E10value_typeEPNST_ISO_E10value_typeEPSP_NS1_7vsmem_tEENKUlT_SN_SO_SP_E_clISG_PjSI_PS9_EESM_S12_SN_SO_SP_EUlS12_E_NS1_11comp_targetILNS1_3genE2ELNS1_11target_archE906ELNS1_3gpuE6ELNS1_3repE0EEENS1_48merge_mergepath_partition_config_static_selectorELNS0_4arch9wavefront6targetE0EEEvSO_ ; -- Begin function _ZN7rocprim17ROCPRIM_400000_NS6detail17trampoline_kernelINS0_14default_configENS1_38merge_sort_block_merge_config_selectorIjN6thrust23THRUST_200600_302600_NS5tupleIffNS6_9null_typeES8_S8_S8_S8_S8_S8_S8_EEEEZZNS1_27merge_sort_block_merge_implIS3_NS6_6detail15normal_iteratorINS6_10device_ptrIjEEEENSD_INSE_IS9_EEEEjNS1_19radix_merge_compareILb0ELb1EjNS0_19identity_decomposerEEEEE10hipError_tT0_T1_T2_jT3_P12ihipStream_tbPNSt15iterator_traitsISN_E10value_typeEPNST_ISO_E10value_typeEPSP_NS1_7vsmem_tEENKUlT_SN_SO_SP_E_clISG_PjSI_PS9_EESM_S12_SN_SO_SP_EUlS12_E_NS1_11comp_targetILNS1_3genE2ELNS1_11target_archE906ELNS1_3gpuE6ELNS1_3repE0EEENS1_48merge_mergepath_partition_config_static_selectorELNS0_4arch9wavefront6targetE0EEEvSO_
	.globl	_ZN7rocprim17ROCPRIM_400000_NS6detail17trampoline_kernelINS0_14default_configENS1_38merge_sort_block_merge_config_selectorIjN6thrust23THRUST_200600_302600_NS5tupleIffNS6_9null_typeES8_S8_S8_S8_S8_S8_S8_EEEEZZNS1_27merge_sort_block_merge_implIS3_NS6_6detail15normal_iteratorINS6_10device_ptrIjEEEENSD_INSE_IS9_EEEEjNS1_19radix_merge_compareILb0ELb1EjNS0_19identity_decomposerEEEEE10hipError_tT0_T1_T2_jT3_P12ihipStream_tbPNSt15iterator_traitsISN_E10value_typeEPNST_ISO_E10value_typeEPSP_NS1_7vsmem_tEENKUlT_SN_SO_SP_E_clISG_PjSI_PS9_EESM_S12_SN_SO_SP_EUlS12_E_NS1_11comp_targetILNS1_3genE2ELNS1_11target_archE906ELNS1_3gpuE6ELNS1_3repE0EEENS1_48merge_mergepath_partition_config_static_selectorELNS0_4arch9wavefront6targetE0EEEvSO_
	.p2align	8
	.type	_ZN7rocprim17ROCPRIM_400000_NS6detail17trampoline_kernelINS0_14default_configENS1_38merge_sort_block_merge_config_selectorIjN6thrust23THRUST_200600_302600_NS5tupleIffNS6_9null_typeES8_S8_S8_S8_S8_S8_S8_EEEEZZNS1_27merge_sort_block_merge_implIS3_NS6_6detail15normal_iteratorINS6_10device_ptrIjEEEENSD_INSE_IS9_EEEEjNS1_19radix_merge_compareILb0ELb1EjNS0_19identity_decomposerEEEEE10hipError_tT0_T1_T2_jT3_P12ihipStream_tbPNSt15iterator_traitsISN_E10value_typeEPNST_ISO_E10value_typeEPSP_NS1_7vsmem_tEENKUlT_SN_SO_SP_E_clISG_PjSI_PS9_EESM_S12_SN_SO_SP_EUlS12_E_NS1_11comp_targetILNS1_3genE2ELNS1_11target_archE906ELNS1_3gpuE6ELNS1_3repE0EEENS1_48merge_mergepath_partition_config_static_selectorELNS0_4arch9wavefront6targetE0EEEvSO_,@function
_ZN7rocprim17ROCPRIM_400000_NS6detail17trampoline_kernelINS0_14default_configENS1_38merge_sort_block_merge_config_selectorIjN6thrust23THRUST_200600_302600_NS5tupleIffNS6_9null_typeES8_S8_S8_S8_S8_S8_S8_EEEEZZNS1_27merge_sort_block_merge_implIS3_NS6_6detail15normal_iteratorINS6_10device_ptrIjEEEENSD_INSE_IS9_EEEEjNS1_19radix_merge_compareILb0ELb1EjNS0_19identity_decomposerEEEEE10hipError_tT0_T1_T2_jT3_P12ihipStream_tbPNSt15iterator_traitsISN_E10value_typeEPNST_ISO_E10value_typeEPSP_NS1_7vsmem_tEENKUlT_SN_SO_SP_E_clISG_PjSI_PS9_EESM_S12_SN_SO_SP_EUlS12_E_NS1_11comp_targetILNS1_3genE2ELNS1_11target_archE906ELNS1_3gpuE6ELNS1_3repE0EEENS1_48merge_mergepath_partition_config_static_selectorELNS0_4arch9wavefront6targetE0EEEvSO_: ; @_ZN7rocprim17ROCPRIM_400000_NS6detail17trampoline_kernelINS0_14default_configENS1_38merge_sort_block_merge_config_selectorIjN6thrust23THRUST_200600_302600_NS5tupleIffNS6_9null_typeES8_S8_S8_S8_S8_S8_S8_EEEEZZNS1_27merge_sort_block_merge_implIS3_NS6_6detail15normal_iteratorINS6_10device_ptrIjEEEENSD_INSE_IS9_EEEEjNS1_19radix_merge_compareILb0ELb1EjNS0_19identity_decomposerEEEEE10hipError_tT0_T1_T2_jT3_P12ihipStream_tbPNSt15iterator_traitsISN_E10value_typeEPNST_ISO_E10value_typeEPSP_NS1_7vsmem_tEENKUlT_SN_SO_SP_E_clISG_PjSI_PS9_EESM_S12_SN_SO_SP_EUlS12_E_NS1_11comp_targetILNS1_3genE2ELNS1_11target_archE906ELNS1_3gpuE6ELNS1_3repE0EEENS1_48merge_mergepath_partition_config_static_selectorELNS0_4arch9wavefront6targetE0EEEvSO_
; %bb.0:
	.section	.rodata,"a",@progbits
	.p2align	6, 0x0
	.amdhsa_kernel _ZN7rocprim17ROCPRIM_400000_NS6detail17trampoline_kernelINS0_14default_configENS1_38merge_sort_block_merge_config_selectorIjN6thrust23THRUST_200600_302600_NS5tupleIffNS6_9null_typeES8_S8_S8_S8_S8_S8_S8_EEEEZZNS1_27merge_sort_block_merge_implIS3_NS6_6detail15normal_iteratorINS6_10device_ptrIjEEEENSD_INSE_IS9_EEEEjNS1_19radix_merge_compareILb0ELb1EjNS0_19identity_decomposerEEEEE10hipError_tT0_T1_T2_jT3_P12ihipStream_tbPNSt15iterator_traitsISN_E10value_typeEPNST_ISO_E10value_typeEPSP_NS1_7vsmem_tEENKUlT_SN_SO_SP_E_clISG_PjSI_PS9_EESM_S12_SN_SO_SP_EUlS12_E_NS1_11comp_targetILNS1_3genE2ELNS1_11target_archE906ELNS1_3gpuE6ELNS1_3repE0EEENS1_48merge_mergepath_partition_config_static_selectorELNS0_4arch9wavefront6targetE0EEEvSO_
		.amdhsa_group_segment_fixed_size 0
		.amdhsa_private_segment_fixed_size 0
		.amdhsa_kernarg_size 40
		.amdhsa_user_sgpr_count 2
		.amdhsa_user_sgpr_dispatch_ptr 0
		.amdhsa_user_sgpr_queue_ptr 0
		.amdhsa_user_sgpr_kernarg_segment_ptr 1
		.amdhsa_user_sgpr_dispatch_id 0
		.amdhsa_user_sgpr_kernarg_preload_length 0
		.amdhsa_user_sgpr_kernarg_preload_offset 0
		.amdhsa_user_sgpr_private_segment_size 0
		.amdhsa_wavefront_size32 1
		.amdhsa_uses_dynamic_stack 0
		.amdhsa_enable_private_segment 0
		.amdhsa_system_sgpr_workgroup_id_x 1
		.amdhsa_system_sgpr_workgroup_id_y 0
		.amdhsa_system_sgpr_workgroup_id_z 0
		.amdhsa_system_sgpr_workgroup_info 0
		.amdhsa_system_vgpr_workitem_id 0
		.amdhsa_next_free_vgpr 1
		.amdhsa_next_free_sgpr 1
		.amdhsa_named_barrier_count 0
		.amdhsa_reserve_vcc 0
		.amdhsa_float_round_mode_32 0
		.amdhsa_float_round_mode_16_64 0
		.amdhsa_float_denorm_mode_32 3
		.amdhsa_float_denorm_mode_16_64 3
		.amdhsa_fp16_overflow 0
		.amdhsa_memory_ordered 1
		.amdhsa_forward_progress 1
		.amdhsa_inst_pref_size 0
		.amdhsa_round_robin_scheduling 0
		.amdhsa_exception_fp_ieee_invalid_op 0
		.amdhsa_exception_fp_denorm_src 0
		.amdhsa_exception_fp_ieee_div_zero 0
		.amdhsa_exception_fp_ieee_overflow 0
		.amdhsa_exception_fp_ieee_underflow 0
		.amdhsa_exception_fp_ieee_inexact 0
		.amdhsa_exception_int_div_zero 0
	.end_amdhsa_kernel
	.section	.text._ZN7rocprim17ROCPRIM_400000_NS6detail17trampoline_kernelINS0_14default_configENS1_38merge_sort_block_merge_config_selectorIjN6thrust23THRUST_200600_302600_NS5tupleIffNS6_9null_typeES8_S8_S8_S8_S8_S8_S8_EEEEZZNS1_27merge_sort_block_merge_implIS3_NS6_6detail15normal_iteratorINS6_10device_ptrIjEEEENSD_INSE_IS9_EEEEjNS1_19radix_merge_compareILb0ELb1EjNS0_19identity_decomposerEEEEE10hipError_tT0_T1_T2_jT3_P12ihipStream_tbPNSt15iterator_traitsISN_E10value_typeEPNST_ISO_E10value_typeEPSP_NS1_7vsmem_tEENKUlT_SN_SO_SP_E_clISG_PjSI_PS9_EESM_S12_SN_SO_SP_EUlS12_E_NS1_11comp_targetILNS1_3genE2ELNS1_11target_archE906ELNS1_3gpuE6ELNS1_3repE0EEENS1_48merge_mergepath_partition_config_static_selectorELNS0_4arch9wavefront6targetE0EEEvSO_,"axG",@progbits,_ZN7rocprim17ROCPRIM_400000_NS6detail17trampoline_kernelINS0_14default_configENS1_38merge_sort_block_merge_config_selectorIjN6thrust23THRUST_200600_302600_NS5tupleIffNS6_9null_typeES8_S8_S8_S8_S8_S8_S8_EEEEZZNS1_27merge_sort_block_merge_implIS3_NS6_6detail15normal_iteratorINS6_10device_ptrIjEEEENSD_INSE_IS9_EEEEjNS1_19radix_merge_compareILb0ELb1EjNS0_19identity_decomposerEEEEE10hipError_tT0_T1_T2_jT3_P12ihipStream_tbPNSt15iterator_traitsISN_E10value_typeEPNST_ISO_E10value_typeEPSP_NS1_7vsmem_tEENKUlT_SN_SO_SP_E_clISG_PjSI_PS9_EESM_S12_SN_SO_SP_EUlS12_E_NS1_11comp_targetILNS1_3genE2ELNS1_11target_archE906ELNS1_3gpuE6ELNS1_3repE0EEENS1_48merge_mergepath_partition_config_static_selectorELNS0_4arch9wavefront6targetE0EEEvSO_,comdat
.Lfunc_end120:
	.size	_ZN7rocprim17ROCPRIM_400000_NS6detail17trampoline_kernelINS0_14default_configENS1_38merge_sort_block_merge_config_selectorIjN6thrust23THRUST_200600_302600_NS5tupleIffNS6_9null_typeES8_S8_S8_S8_S8_S8_S8_EEEEZZNS1_27merge_sort_block_merge_implIS3_NS6_6detail15normal_iteratorINS6_10device_ptrIjEEEENSD_INSE_IS9_EEEEjNS1_19radix_merge_compareILb0ELb1EjNS0_19identity_decomposerEEEEE10hipError_tT0_T1_T2_jT3_P12ihipStream_tbPNSt15iterator_traitsISN_E10value_typeEPNST_ISO_E10value_typeEPSP_NS1_7vsmem_tEENKUlT_SN_SO_SP_E_clISG_PjSI_PS9_EESM_S12_SN_SO_SP_EUlS12_E_NS1_11comp_targetILNS1_3genE2ELNS1_11target_archE906ELNS1_3gpuE6ELNS1_3repE0EEENS1_48merge_mergepath_partition_config_static_selectorELNS0_4arch9wavefront6targetE0EEEvSO_, .Lfunc_end120-_ZN7rocprim17ROCPRIM_400000_NS6detail17trampoline_kernelINS0_14default_configENS1_38merge_sort_block_merge_config_selectorIjN6thrust23THRUST_200600_302600_NS5tupleIffNS6_9null_typeES8_S8_S8_S8_S8_S8_S8_EEEEZZNS1_27merge_sort_block_merge_implIS3_NS6_6detail15normal_iteratorINS6_10device_ptrIjEEEENSD_INSE_IS9_EEEEjNS1_19radix_merge_compareILb0ELb1EjNS0_19identity_decomposerEEEEE10hipError_tT0_T1_T2_jT3_P12ihipStream_tbPNSt15iterator_traitsISN_E10value_typeEPNST_ISO_E10value_typeEPSP_NS1_7vsmem_tEENKUlT_SN_SO_SP_E_clISG_PjSI_PS9_EESM_S12_SN_SO_SP_EUlS12_E_NS1_11comp_targetILNS1_3genE2ELNS1_11target_archE906ELNS1_3gpuE6ELNS1_3repE0EEENS1_48merge_mergepath_partition_config_static_selectorELNS0_4arch9wavefront6targetE0EEEvSO_
                                        ; -- End function
	.set _ZN7rocprim17ROCPRIM_400000_NS6detail17trampoline_kernelINS0_14default_configENS1_38merge_sort_block_merge_config_selectorIjN6thrust23THRUST_200600_302600_NS5tupleIffNS6_9null_typeES8_S8_S8_S8_S8_S8_S8_EEEEZZNS1_27merge_sort_block_merge_implIS3_NS6_6detail15normal_iteratorINS6_10device_ptrIjEEEENSD_INSE_IS9_EEEEjNS1_19radix_merge_compareILb0ELb1EjNS0_19identity_decomposerEEEEE10hipError_tT0_T1_T2_jT3_P12ihipStream_tbPNSt15iterator_traitsISN_E10value_typeEPNST_ISO_E10value_typeEPSP_NS1_7vsmem_tEENKUlT_SN_SO_SP_E_clISG_PjSI_PS9_EESM_S12_SN_SO_SP_EUlS12_E_NS1_11comp_targetILNS1_3genE2ELNS1_11target_archE906ELNS1_3gpuE6ELNS1_3repE0EEENS1_48merge_mergepath_partition_config_static_selectorELNS0_4arch9wavefront6targetE0EEEvSO_.num_vgpr, 0
	.set _ZN7rocprim17ROCPRIM_400000_NS6detail17trampoline_kernelINS0_14default_configENS1_38merge_sort_block_merge_config_selectorIjN6thrust23THRUST_200600_302600_NS5tupleIffNS6_9null_typeES8_S8_S8_S8_S8_S8_S8_EEEEZZNS1_27merge_sort_block_merge_implIS3_NS6_6detail15normal_iteratorINS6_10device_ptrIjEEEENSD_INSE_IS9_EEEEjNS1_19radix_merge_compareILb0ELb1EjNS0_19identity_decomposerEEEEE10hipError_tT0_T1_T2_jT3_P12ihipStream_tbPNSt15iterator_traitsISN_E10value_typeEPNST_ISO_E10value_typeEPSP_NS1_7vsmem_tEENKUlT_SN_SO_SP_E_clISG_PjSI_PS9_EESM_S12_SN_SO_SP_EUlS12_E_NS1_11comp_targetILNS1_3genE2ELNS1_11target_archE906ELNS1_3gpuE6ELNS1_3repE0EEENS1_48merge_mergepath_partition_config_static_selectorELNS0_4arch9wavefront6targetE0EEEvSO_.num_agpr, 0
	.set _ZN7rocprim17ROCPRIM_400000_NS6detail17trampoline_kernelINS0_14default_configENS1_38merge_sort_block_merge_config_selectorIjN6thrust23THRUST_200600_302600_NS5tupleIffNS6_9null_typeES8_S8_S8_S8_S8_S8_S8_EEEEZZNS1_27merge_sort_block_merge_implIS3_NS6_6detail15normal_iteratorINS6_10device_ptrIjEEEENSD_INSE_IS9_EEEEjNS1_19radix_merge_compareILb0ELb1EjNS0_19identity_decomposerEEEEE10hipError_tT0_T1_T2_jT3_P12ihipStream_tbPNSt15iterator_traitsISN_E10value_typeEPNST_ISO_E10value_typeEPSP_NS1_7vsmem_tEENKUlT_SN_SO_SP_E_clISG_PjSI_PS9_EESM_S12_SN_SO_SP_EUlS12_E_NS1_11comp_targetILNS1_3genE2ELNS1_11target_archE906ELNS1_3gpuE6ELNS1_3repE0EEENS1_48merge_mergepath_partition_config_static_selectorELNS0_4arch9wavefront6targetE0EEEvSO_.numbered_sgpr, 0
	.set _ZN7rocprim17ROCPRIM_400000_NS6detail17trampoline_kernelINS0_14default_configENS1_38merge_sort_block_merge_config_selectorIjN6thrust23THRUST_200600_302600_NS5tupleIffNS6_9null_typeES8_S8_S8_S8_S8_S8_S8_EEEEZZNS1_27merge_sort_block_merge_implIS3_NS6_6detail15normal_iteratorINS6_10device_ptrIjEEEENSD_INSE_IS9_EEEEjNS1_19radix_merge_compareILb0ELb1EjNS0_19identity_decomposerEEEEE10hipError_tT0_T1_T2_jT3_P12ihipStream_tbPNSt15iterator_traitsISN_E10value_typeEPNST_ISO_E10value_typeEPSP_NS1_7vsmem_tEENKUlT_SN_SO_SP_E_clISG_PjSI_PS9_EESM_S12_SN_SO_SP_EUlS12_E_NS1_11comp_targetILNS1_3genE2ELNS1_11target_archE906ELNS1_3gpuE6ELNS1_3repE0EEENS1_48merge_mergepath_partition_config_static_selectorELNS0_4arch9wavefront6targetE0EEEvSO_.num_named_barrier, 0
	.set _ZN7rocprim17ROCPRIM_400000_NS6detail17trampoline_kernelINS0_14default_configENS1_38merge_sort_block_merge_config_selectorIjN6thrust23THRUST_200600_302600_NS5tupleIffNS6_9null_typeES8_S8_S8_S8_S8_S8_S8_EEEEZZNS1_27merge_sort_block_merge_implIS3_NS6_6detail15normal_iteratorINS6_10device_ptrIjEEEENSD_INSE_IS9_EEEEjNS1_19radix_merge_compareILb0ELb1EjNS0_19identity_decomposerEEEEE10hipError_tT0_T1_T2_jT3_P12ihipStream_tbPNSt15iterator_traitsISN_E10value_typeEPNST_ISO_E10value_typeEPSP_NS1_7vsmem_tEENKUlT_SN_SO_SP_E_clISG_PjSI_PS9_EESM_S12_SN_SO_SP_EUlS12_E_NS1_11comp_targetILNS1_3genE2ELNS1_11target_archE906ELNS1_3gpuE6ELNS1_3repE0EEENS1_48merge_mergepath_partition_config_static_selectorELNS0_4arch9wavefront6targetE0EEEvSO_.private_seg_size, 0
	.set _ZN7rocprim17ROCPRIM_400000_NS6detail17trampoline_kernelINS0_14default_configENS1_38merge_sort_block_merge_config_selectorIjN6thrust23THRUST_200600_302600_NS5tupleIffNS6_9null_typeES8_S8_S8_S8_S8_S8_S8_EEEEZZNS1_27merge_sort_block_merge_implIS3_NS6_6detail15normal_iteratorINS6_10device_ptrIjEEEENSD_INSE_IS9_EEEEjNS1_19radix_merge_compareILb0ELb1EjNS0_19identity_decomposerEEEEE10hipError_tT0_T1_T2_jT3_P12ihipStream_tbPNSt15iterator_traitsISN_E10value_typeEPNST_ISO_E10value_typeEPSP_NS1_7vsmem_tEENKUlT_SN_SO_SP_E_clISG_PjSI_PS9_EESM_S12_SN_SO_SP_EUlS12_E_NS1_11comp_targetILNS1_3genE2ELNS1_11target_archE906ELNS1_3gpuE6ELNS1_3repE0EEENS1_48merge_mergepath_partition_config_static_selectorELNS0_4arch9wavefront6targetE0EEEvSO_.uses_vcc, 0
	.set _ZN7rocprim17ROCPRIM_400000_NS6detail17trampoline_kernelINS0_14default_configENS1_38merge_sort_block_merge_config_selectorIjN6thrust23THRUST_200600_302600_NS5tupleIffNS6_9null_typeES8_S8_S8_S8_S8_S8_S8_EEEEZZNS1_27merge_sort_block_merge_implIS3_NS6_6detail15normal_iteratorINS6_10device_ptrIjEEEENSD_INSE_IS9_EEEEjNS1_19radix_merge_compareILb0ELb1EjNS0_19identity_decomposerEEEEE10hipError_tT0_T1_T2_jT3_P12ihipStream_tbPNSt15iterator_traitsISN_E10value_typeEPNST_ISO_E10value_typeEPSP_NS1_7vsmem_tEENKUlT_SN_SO_SP_E_clISG_PjSI_PS9_EESM_S12_SN_SO_SP_EUlS12_E_NS1_11comp_targetILNS1_3genE2ELNS1_11target_archE906ELNS1_3gpuE6ELNS1_3repE0EEENS1_48merge_mergepath_partition_config_static_selectorELNS0_4arch9wavefront6targetE0EEEvSO_.uses_flat_scratch, 0
	.set _ZN7rocprim17ROCPRIM_400000_NS6detail17trampoline_kernelINS0_14default_configENS1_38merge_sort_block_merge_config_selectorIjN6thrust23THRUST_200600_302600_NS5tupleIffNS6_9null_typeES8_S8_S8_S8_S8_S8_S8_EEEEZZNS1_27merge_sort_block_merge_implIS3_NS6_6detail15normal_iteratorINS6_10device_ptrIjEEEENSD_INSE_IS9_EEEEjNS1_19radix_merge_compareILb0ELb1EjNS0_19identity_decomposerEEEEE10hipError_tT0_T1_T2_jT3_P12ihipStream_tbPNSt15iterator_traitsISN_E10value_typeEPNST_ISO_E10value_typeEPSP_NS1_7vsmem_tEENKUlT_SN_SO_SP_E_clISG_PjSI_PS9_EESM_S12_SN_SO_SP_EUlS12_E_NS1_11comp_targetILNS1_3genE2ELNS1_11target_archE906ELNS1_3gpuE6ELNS1_3repE0EEENS1_48merge_mergepath_partition_config_static_selectorELNS0_4arch9wavefront6targetE0EEEvSO_.has_dyn_sized_stack, 0
	.set _ZN7rocprim17ROCPRIM_400000_NS6detail17trampoline_kernelINS0_14default_configENS1_38merge_sort_block_merge_config_selectorIjN6thrust23THRUST_200600_302600_NS5tupleIffNS6_9null_typeES8_S8_S8_S8_S8_S8_S8_EEEEZZNS1_27merge_sort_block_merge_implIS3_NS6_6detail15normal_iteratorINS6_10device_ptrIjEEEENSD_INSE_IS9_EEEEjNS1_19radix_merge_compareILb0ELb1EjNS0_19identity_decomposerEEEEE10hipError_tT0_T1_T2_jT3_P12ihipStream_tbPNSt15iterator_traitsISN_E10value_typeEPNST_ISO_E10value_typeEPSP_NS1_7vsmem_tEENKUlT_SN_SO_SP_E_clISG_PjSI_PS9_EESM_S12_SN_SO_SP_EUlS12_E_NS1_11comp_targetILNS1_3genE2ELNS1_11target_archE906ELNS1_3gpuE6ELNS1_3repE0EEENS1_48merge_mergepath_partition_config_static_selectorELNS0_4arch9wavefront6targetE0EEEvSO_.has_recursion, 0
	.set _ZN7rocprim17ROCPRIM_400000_NS6detail17trampoline_kernelINS0_14default_configENS1_38merge_sort_block_merge_config_selectorIjN6thrust23THRUST_200600_302600_NS5tupleIffNS6_9null_typeES8_S8_S8_S8_S8_S8_S8_EEEEZZNS1_27merge_sort_block_merge_implIS3_NS6_6detail15normal_iteratorINS6_10device_ptrIjEEEENSD_INSE_IS9_EEEEjNS1_19radix_merge_compareILb0ELb1EjNS0_19identity_decomposerEEEEE10hipError_tT0_T1_T2_jT3_P12ihipStream_tbPNSt15iterator_traitsISN_E10value_typeEPNST_ISO_E10value_typeEPSP_NS1_7vsmem_tEENKUlT_SN_SO_SP_E_clISG_PjSI_PS9_EESM_S12_SN_SO_SP_EUlS12_E_NS1_11comp_targetILNS1_3genE2ELNS1_11target_archE906ELNS1_3gpuE6ELNS1_3repE0EEENS1_48merge_mergepath_partition_config_static_selectorELNS0_4arch9wavefront6targetE0EEEvSO_.has_indirect_call, 0
	.section	.AMDGPU.csdata,"",@progbits
; Kernel info:
; codeLenInByte = 0
; TotalNumSgprs: 0
; NumVgprs: 0
; ScratchSize: 0
; MemoryBound: 0
; FloatMode: 240
; IeeeMode: 1
; LDSByteSize: 0 bytes/workgroup (compile time only)
; SGPRBlocks: 0
; VGPRBlocks: 0
; NumSGPRsForWavesPerEU: 1
; NumVGPRsForWavesPerEU: 1
; NamedBarCnt: 0
; Occupancy: 16
; WaveLimiterHint : 0
; COMPUTE_PGM_RSRC2:SCRATCH_EN: 0
; COMPUTE_PGM_RSRC2:USER_SGPR: 2
; COMPUTE_PGM_RSRC2:TRAP_HANDLER: 0
; COMPUTE_PGM_RSRC2:TGID_X_EN: 1
; COMPUTE_PGM_RSRC2:TGID_Y_EN: 0
; COMPUTE_PGM_RSRC2:TGID_Z_EN: 0
; COMPUTE_PGM_RSRC2:TIDIG_COMP_CNT: 0
	.section	.text._ZN7rocprim17ROCPRIM_400000_NS6detail17trampoline_kernelINS0_14default_configENS1_38merge_sort_block_merge_config_selectorIjN6thrust23THRUST_200600_302600_NS5tupleIffNS6_9null_typeES8_S8_S8_S8_S8_S8_S8_EEEEZZNS1_27merge_sort_block_merge_implIS3_NS6_6detail15normal_iteratorINS6_10device_ptrIjEEEENSD_INSE_IS9_EEEEjNS1_19radix_merge_compareILb0ELb1EjNS0_19identity_decomposerEEEEE10hipError_tT0_T1_T2_jT3_P12ihipStream_tbPNSt15iterator_traitsISN_E10value_typeEPNST_ISO_E10value_typeEPSP_NS1_7vsmem_tEENKUlT_SN_SO_SP_E_clISG_PjSI_PS9_EESM_S12_SN_SO_SP_EUlS12_E_NS1_11comp_targetILNS1_3genE9ELNS1_11target_archE1100ELNS1_3gpuE3ELNS1_3repE0EEENS1_48merge_mergepath_partition_config_static_selectorELNS0_4arch9wavefront6targetE0EEEvSO_,"axG",@progbits,_ZN7rocprim17ROCPRIM_400000_NS6detail17trampoline_kernelINS0_14default_configENS1_38merge_sort_block_merge_config_selectorIjN6thrust23THRUST_200600_302600_NS5tupleIffNS6_9null_typeES8_S8_S8_S8_S8_S8_S8_EEEEZZNS1_27merge_sort_block_merge_implIS3_NS6_6detail15normal_iteratorINS6_10device_ptrIjEEEENSD_INSE_IS9_EEEEjNS1_19radix_merge_compareILb0ELb1EjNS0_19identity_decomposerEEEEE10hipError_tT0_T1_T2_jT3_P12ihipStream_tbPNSt15iterator_traitsISN_E10value_typeEPNST_ISO_E10value_typeEPSP_NS1_7vsmem_tEENKUlT_SN_SO_SP_E_clISG_PjSI_PS9_EESM_S12_SN_SO_SP_EUlS12_E_NS1_11comp_targetILNS1_3genE9ELNS1_11target_archE1100ELNS1_3gpuE3ELNS1_3repE0EEENS1_48merge_mergepath_partition_config_static_selectorELNS0_4arch9wavefront6targetE0EEEvSO_,comdat
	.protected	_ZN7rocprim17ROCPRIM_400000_NS6detail17trampoline_kernelINS0_14default_configENS1_38merge_sort_block_merge_config_selectorIjN6thrust23THRUST_200600_302600_NS5tupleIffNS6_9null_typeES8_S8_S8_S8_S8_S8_S8_EEEEZZNS1_27merge_sort_block_merge_implIS3_NS6_6detail15normal_iteratorINS6_10device_ptrIjEEEENSD_INSE_IS9_EEEEjNS1_19radix_merge_compareILb0ELb1EjNS0_19identity_decomposerEEEEE10hipError_tT0_T1_T2_jT3_P12ihipStream_tbPNSt15iterator_traitsISN_E10value_typeEPNST_ISO_E10value_typeEPSP_NS1_7vsmem_tEENKUlT_SN_SO_SP_E_clISG_PjSI_PS9_EESM_S12_SN_SO_SP_EUlS12_E_NS1_11comp_targetILNS1_3genE9ELNS1_11target_archE1100ELNS1_3gpuE3ELNS1_3repE0EEENS1_48merge_mergepath_partition_config_static_selectorELNS0_4arch9wavefront6targetE0EEEvSO_ ; -- Begin function _ZN7rocprim17ROCPRIM_400000_NS6detail17trampoline_kernelINS0_14default_configENS1_38merge_sort_block_merge_config_selectorIjN6thrust23THRUST_200600_302600_NS5tupleIffNS6_9null_typeES8_S8_S8_S8_S8_S8_S8_EEEEZZNS1_27merge_sort_block_merge_implIS3_NS6_6detail15normal_iteratorINS6_10device_ptrIjEEEENSD_INSE_IS9_EEEEjNS1_19radix_merge_compareILb0ELb1EjNS0_19identity_decomposerEEEEE10hipError_tT0_T1_T2_jT3_P12ihipStream_tbPNSt15iterator_traitsISN_E10value_typeEPNST_ISO_E10value_typeEPSP_NS1_7vsmem_tEENKUlT_SN_SO_SP_E_clISG_PjSI_PS9_EESM_S12_SN_SO_SP_EUlS12_E_NS1_11comp_targetILNS1_3genE9ELNS1_11target_archE1100ELNS1_3gpuE3ELNS1_3repE0EEENS1_48merge_mergepath_partition_config_static_selectorELNS0_4arch9wavefront6targetE0EEEvSO_
	.globl	_ZN7rocprim17ROCPRIM_400000_NS6detail17trampoline_kernelINS0_14default_configENS1_38merge_sort_block_merge_config_selectorIjN6thrust23THRUST_200600_302600_NS5tupleIffNS6_9null_typeES8_S8_S8_S8_S8_S8_S8_EEEEZZNS1_27merge_sort_block_merge_implIS3_NS6_6detail15normal_iteratorINS6_10device_ptrIjEEEENSD_INSE_IS9_EEEEjNS1_19radix_merge_compareILb0ELb1EjNS0_19identity_decomposerEEEEE10hipError_tT0_T1_T2_jT3_P12ihipStream_tbPNSt15iterator_traitsISN_E10value_typeEPNST_ISO_E10value_typeEPSP_NS1_7vsmem_tEENKUlT_SN_SO_SP_E_clISG_PjSI_PS9_EESM_S12_SN_SO_SP_EUlS12_E_NS1_11comp_targetILNS1_3genE9ELNS1_11target_archE1100ELNS1_3gpuE3ELNS1_3repE0EEENS1_48merge_mergepath_partition_config_static_selectorELNS0_4arch9wavefront6targetE0EEEvSO_
	.p2align	8
	.type	_ZN7rocprim17ROCPRIM_400000_NS6detail17trampoline_kernelINS0_14default_configENS1_38merge_sort_block_merge_config_selectorIjN6thrust23THRUST_200600_302600_NS5tupleIffNS6_9null_typeES8_S8_S8_S8_S8_S8_S8_EEEEZZNS1_27merge_sort_block_merge_implIS3_NS6_6detail15normal_iteratorINS6_10device_ptrIjEEEENSD_INSE_IS9_EEEEjNS1_19radix_merge_compareILb0ELb1EjNS0_19identity_decomposerEEEEE10hipError_tT0_T1_T2_jT3_P12ihipStream_tbPNSt15iterator_traitsISN_E10value_typeEPNST_ISO_E10value_typeEPSP_NS1_7vsmem_tEENKUlT_SN_SO_SP_E_clISG_PjSI_PS9_EESM_S12_SN_SO_SP_EUlS12_E_NS1_11comp_targetILNS1_3genE9ELNS1_11target_archE1100ELNS1_3gpuE3ELNS1_3repE0EEENS1_48merge_mergepath_partition_config_static_selectorELNS0_4arch9wavefront6targetE0EEEvSO_,@function
_ZN7rocprim17ROCPRIM_400000_NS6detail17trampoline_kernelINS0_14default_configENS1_38merge_sort_block_merge_config_selectorIjN6thrust23THRUST_200600_302600_NS5tupleIffNS6_9null_typeES8_S8_S8_S8_S8_S8_S8_EEEEZZNS1_27merge_sort_block_merge_implIS3_NS6_6detail15normal_iteratorINS6_10device_ptrIjEEEENSD_INSE_IS9_EEEEjNS1_19radix_merge_compareILb0ELb1EjNS0_19identity_decomposerEEEEE10hipError_tT0_T1_T2_jT3_P12ihipStream_tbPNSt15iterator_traitsISN_E10value_typeEPNST_ISO_E10value_typeEPSP_NS1_7vsmem_tEENKUlT_SN_SO_SP_E_clISG_PjSI_PS9_EESM_S12_SN_SO_SP_EUlS12_E_NS1_11comp_targetILNS1_3genE9ELNS1_11target_archE1100ELNS1_3gpuE3ELNS1_3repE0EEENS1_48merge_mergepath_partition_config_static_selectorELNS0_4arch9wavefront6targetE0EEEvSO_: ; @_ZN7rocprim17ROCPRIM_400000_NS6detail17trampoline_kernelINS0_14default_configENS1_38merge_sort_block_merge_config_selectorIjN6thrust23THRUST_200600_302600_NS5tupleIffNS6_9null_typeES8_S8_S8_S8_S8_S8_S8_EEEEZZNS1_27merge_sort_block_merge_implIS3_NS6_6detail15normal_iteratorINS6_10device_ptrIjEEEENSD_INSE_IS9_EEEEjNS1_19radix_merge_compareILb0ELb1EjNS0_19identity_decomposerEEEEE10hipError_tT0_T1_T2_jT3_P12ihipStream_tbPNSt15iterator_traitsISN_E10value_typeEPNST_ISO_E10value_typeEPSP_NS1_7vsmem_tEENKUlT_SN_SO_SP_E_clISG_PjSI_PS9_EESM_S12_SN_SO_SP_EUlS12_E_NS1_11comp_targetILNS1_3genE9ELNS1_11target_archE1100ELNS1_3gpuE3ELNS1_3repE0EEENS1_48merge_mergepath_partition_config_static_selectorELNS0_4arch9wavefront6targetE0EEEvSO_
; %bb.0:
	.section	.rodata,"a",@progbits
	.p2align	6, 0x0
	.amdhsa_kernel _ZN7rocprim17ROCPRIM_400000_NS6detail17trampoline_kernelINS0_14default_configENS1_38merge_sort_block_merge_config_selectorIjN6thrust23THRUST_200600_302600_NS5tupleIffNS6_9null_typeES8_S8_S8_S8_S8_S8_S8_EEEEZZNS1_27merge_sort_block_merge_implIS3_NS6_6detail15normal_iteratorINS6_10device_ptrIjEEEENSD_INSE_IS9_EEEEjNS1_19radix_merge_compareILb0ELb1EjNS0_19identity_decomposerEEEEE10hipError_tT0_T1_T2_jT3_P12ihipStream_tbPNSt15iterator_traitsISN_E10value_typeEPNST_ISO_E10value_typeEPSP_NS1_7vsmem_tEENKUlT_SN_SO_SP_E_clISG_PjSI_PS9_EESM_S12_SN_SO_SP_EUlS12_E_NS1_11comp_targetILNS1_3genE9ELNS1_11target_archE1100ELNS1_3gpuE3ELNS1_3repE0EEENS1_48merge_mergepath_partition_config_static_selectorELNS0_4arch9wavefront6targetE0EEEvSO_
		.amdhsa_group_segment_fixed_size 0
		.amdhsa_private_segment_fixed_size 0
		.amdhsa_kernarg_size 40
		.amdhsa_user_sgpr_count 2
		.amdhsa_user_sgpr_dispatch_ptr 0
		.amdhsa_user_sgpr_queue_ptr 0
		.amdhsa_user_sgpr_kernarg_segment_ptr 1
		.amdhsa_user_sgpr_dispatch_id 0
		.amdhsa_user_sgpr_kernarg_preload_length 0
		.amdhsa_user_sgpr_kernarg_preload_offset 0
		.amdhsa_user_sgpr_private_segment_size 0
		.amdhsa_wavefront_size32 1
		.amdhsa_uses_dynamic_stack 0
		.amdhsa_enable_private_segment 0
		.amdhsa_system_sgpr_workgroup_id_x 1
		.amdhsa_system_sgpr_workgroup_id_y 0
		.amdhsa_system_sgpr_workgroup_id_z 0
		.amdhsa_system_sgpr_workgroup_info 0
		.amdhsa_system_vgpr_workitem_id 0
		.amdhsa_next_free_vgpr 1
		.amdhsa_next_free_sgpr 1
		.amdhsa_named_barrier_count 0
		.amdhsa_reserve_vcc 0
		.amdhsa_float_round_mode_32 0
		.amdhsa_float_round_mode_16_64 0
		.amdhsa_float_denorm_mode_32 3
		.amdhsa_float_denorm_mode_16_64 3
		.amdhsa_fp16_overflow 0
		.amdhsa_memory_ordered 1
		.amdhsa_forward_progress 1
		.amdhsa_inst_pref_size 0
		.amdhsa_round_robin_scheduling 0
		.amdhsa_exception_fp_ieee_invalid_op 0
		.amdhsa_exception_fp_denorm_src 0
		.amdhsa_exception_fp_ieee_div_zero 0
		.amdhsa_exception_fp_ieee_overflow 0
		.amdhsa_exception_fp_ieee_underflow 0
		.amdhsa_exception_fp_ieee_inexact 0
		.amdhsa_exception_int_div_zero 0
	.end_amdhsa_kernel
	.section	.text._ZN7rocprim17ROCPRIM_400000_NS6detail17trampoline_kernelINS0_14default_configENS1_38merge_sort_block_merge_config_selectorIjN6thrust23THRUST_200600_302600_NS5tupleIffNS6_9null_typeES8_S8_S8_S8_S8_S8_S8_EEEEZZNS1_27merge_sort_block_merge_implIS3_NS6_6detail15normal_iteratorINS6_10device_ptrIjEEEENSD_INSE_IS9_EEEEjNS1_19radix_merge_compareILb0ELb1EjNS0_19identity_decomposerEEEEE10hipError_tT0_T1_T2_jT3_P12ihipStream_tbPNSt15iterator_traitsISN_E10value_typeEPNST_ISO_E10value_typeEPSP_NS1_7vsmem_tEENKUlT_SN_SO_SP_E_clISG_PjSI_PS9_EESM_S12_SN_SO_SP_EUlS12_E_NS1_11comp_targetILNS1_3genE9ELNS1_11target_archE1100ELNS1_3gpuE3ELNS1_3repE0EEENS1_48merge_mergepath_partition_config_static_selectorELNS0_4arch9wavefront6targetE0EEEvSO_,"axG",@progbits,_ZN7rocprim17ROCPRIM_400000_NS6detail17trampoline_kernelINS0_14default_configENS1_38merge_sort_block_merge_config_selectorIjN6thrust23THRUST_200600_302600_NS5tupleIffNS6_9null_typeES8_S8_S8_S8_S8_S8_S8_EEEEZZNS1_27merge_sort_block_merge_implIS3_NS6_6detail15normal_iteratorINS6_10device_ptrIjEEEENSD_INSE_IS9_EEEEjNS1_19radix_merge_compareILb0ELb1EjNS0_19identity_decomposerEEEEE10hipError_tT0_T1_T2_jT3_P12ihipStream_tbPNSt15iterator_traitsISN_E10value_typeEPNST_ISO_E10value_typeEPSP_NS1_7vsmem_tEENKUlT_SN_SO_SP_E_clISG_PjSI_PS9_EESM_S12_SN_SO_SP_EUlS12_E_NS1_11comp_targetILNS1_3genE9ELNS1_11target_archE1100ELNS1_3gpuE3ELNS1_3repE0EEENS1_48merge_mergepath_partition_config_static_selectorELNS0_4arch9wavefront6targetE0EEEvSO_,comdat
.Lfunc_end121:
	.size	_ZN7rocprim17ROCPRIM_400000_NS6detail17trampoline_kernelINS0_14default_configENS1_38merge_sort_block_merge_config_selectorIjN6thrust23THRUST_200600_302600_NS5tupleIffNS6_9null_typeES8_S8_S8_S8_S8_S8_S8_EEEEZZNS1_27merge_sort_block_merge_implIS3_NS6_6detail15normal_iteratorINS6_10device_ptrIjEEEENSD_INSE_IS9_EEEEjNS1_19radix_merge_compareILb0ELb1EjNS0_19identity_decomposerEEEEE10hipError_tT0_T1_T2_jT3_P12ihipStream_tbPNSt15iterator_traitsISN_E10value_typeEPNST_ISO_E10value_typeEPSP_NS1_7vsmem_tEENKUlT_SN_SO_SP_E_clISG_PjSI_PS9_EESM_S12_SN_SO_SP_EUlS12_E_NS1_11comp_targetILNS1_3genE9ELNS1_11target_archE1100ELNS1_3gpuE3ELNS1_3repE0EEENS1_48merge_mergepath_partition_config_static_selectorELNS0_4arch9wavefront6targetE0EEEvSO_, .Lfunc_end121-_ZN7rocprim17ROCPRIM_400000_NS6detail17trampoline_kernelINS0_14default_configENS1_38merge_sort_block_merge_config_selectorIjN6thrust23THRUST_200600_302600_NS5tupleIffNS6_9null_typeES8_S8_S8_S8_S8_S8_S8_EEEEZZNS1_27merge_sort_block_merge_implIS3_NS6_6detail15normal_iteratorINS6_10device_ptrIjEEEENSD_INSE_IS9_EEEEjNS1_19radix_merge_compareILb0ELb1EjNS0_19identity_decomposerEEEEE10hipError_tT0_T1_T2_jT3_P12ihipStream_tbPNSt15iterator_traitsISN_E10value_typeEPNST_ISO_E10value_typeEPSP_NS1_7vsmem_tEENKUlT_SN_SO_SP_E_clISG_PjSI_PS9_EESM_S12_SN_SO_SP_EUlS12_E_NS1_11comp_targetILNS1_3genE9ELNS1_11target_archE1100ELNS1_3gpuE3ELNS1_3repE0EEENS1_48merge_mergepath_partition_config_static_selectorELNS0_4arch9wavefront6targetE0EEEvSO_
                                        ; -- End function
	.set _ZN7rocprim17ROCPRIM_400000_NS6detail17trampoline_kernelINS0_14default_configENS1_38merge_sort_block_merge_config_selectorIjN6thrust23THRUST_200600_302600_NS5tupleIffNS6_9null_typeES8_S8_S8_S8_S8_S8_S8_EEEEZZNS1_27merge_sort_block_merge_implIS3_NS6_6detail15normal_iteratorINS6_10device_ptrIjEEEENSD_INSE_IS9_EEEEjNS1_19radix_merge_compareILb0ELb1EjNS0_19identity_decomposerEEEEE10hipError_tT0_T1_T2_jT3_P12ihipStream_tbPNSt15iterator_traitsISN_E10value_typeEPNST_ISO_E10value_typeEPSP_NS1_7vsmem_tEENKUlT_SN_SO_SP_E_clISG_PjSI_PS9_EESM_S12_SN_SO_SP_EUlS12_E_NS1_11comp_targetILNS1_3genE9ELNS1_11target_archE1100ELNS1_3gpuE3ELNS1_3repE0EEENS1_48merge_mergepath_partition_config_static_selectorELNS0_4arch9wavefront6targetE0EEEvSO_.num_vgpr, 0
	.set _ZN7rocprim17ROCPRIM_400000_NS6detail17trampoline_kernelINS0_14default_configENS1_38merge_sort_block_merge_config_selectorIjN6thrust23THRUST_200600_302600_NS5tupleIffNS6_9null_typeES8_S8_S8_S8_S8_S8_S8_EEEEZZNS1_27merge_sort_block_merge_implIS3_NS6_6detail15normal_iteratorINS6_10device_ptrIjEEEENSD_INSE_IS9_EEEEjNS1_19radix_merge_compareILb0ELb1EjNS0_19identity_decomposerEEEEE10hipError_tT0_T1_T2_jT3_P12ihipStream_tbPNSt15iterator_traitsISN_E10value_typeEPNST_ISO_E10value_typeEPSP_NS1_7vsmem_tEENKUlT_SN_SO_SP_E_clISG_PjSI_PS9_EESM_S12_SN_SO_SP_EUlS12_E_NS1_11comp_targetILNS1_3genE9ELNS1_11target_archE1100ELNS1_3gpuE3ELNS1_3repE0EEENS1_48merge_mergepath_partition_config_static_selectorELNS0_4arch9wavefront6targetE0EEEvSO_.num_agpr, 0
	.set _ZN7rocprim17ROCPRIM_400000_NS6detail17trampoline_kernelINS0_14default_configENS1_38merge_sort_block_merge_config_selectorIjN6thrust23THRUST_200600_302600_NS5tupleIffNS6_9null_typeES8_S8_S8_S8_S8_S8_S8_EEEEZZNS1_27merge_sort_block_merge_implIS3_NS6_6detail15normal_iteratorINS6_10device_ptrIjEEEENSD_INSE_IS9_EEEEjNS1_19radix_merge_compareILb0ELb1EjNS0_19identity_decomposerEEEEE10hipError_tT0_T1_T2_jT3_P12ihipStream_tbPNSt15iterator_traitsISN_E10value_typeEPNST_ISO_E10value_typeEPSP_NS1_7vsmem_tEENKUlT_SN_SO_SP_E_clISG_PjSI_PS9_EESM_S12_SN_SO_SP_EUlS12_E_NS1_11comp_targetILNS1_3genE9ELNS1_11target_archE1100ELNS1_3gpuE3ELNS1_3repE0EEENS1_48merge_mergepath_partition_config_static_selectorELNS0_4arch9wavefront6targetE0EEEvSO_.numbered_sgpr, 0
	.set _ZN7rocprim17ROCPRIM_400000_NS6detail17trampoline_kernelINS0_14default_configENS1_38merge_sort_block_merge_config_selectorIjN6thrust23THRUST_200600_302600_NS5tupleIffNS6_9null_typeES8_S8_S8_S8_S8_S8_S8_EEEEZZNS1_27merge_sort_block_merge_implIS3_NS6_6detail15normal_iteratorINS6_10device_ptrIjEEEENSD_INSE_IS9_EEEEjNS1_19radix_merge_compareILb0ELb1EjNS0_19identity_decomposerEEEEE10hipError_tT0_T1_T2_jT3_P12ihipStream_tbPNSt15iterator_traitsISN_E10value_typeEPNST_ISO_E10value_typeEPSP_NS1_7vsmem_tEENKUlT_SN_SO_SP_E_clISG_PjSI_PS9_EESM_S12_SN_SO_SP_EUlS12_E_NS1_11comp_targetILNS1_3genE9ELNS1_11target_archE1100ELNS1_3gpuE3ELNS1_3repE0EEENS1_48merge_mergepath_partition_config_static_selectorELNS0_4arch9wavefront6targetE0EEEvSO_.num_named_barrier, 0
	.set _ZN7rocprim17ROCPRIM_400000_NS6detail17trampoline_kernelINS0_14default_configENS1_38merge_sort_block_merge_config_selectorIjN6thrust23THRUST_200600_302600_NS5tupleIffNS6_9null_typeES8_S8_S8_S8_S8_S8_S8_EEEEZZNS1_27merge_sort_block_merge_implIS3_NS6_6detail15normal_iteratorINS6_10device_ptrIjEEEENSD_INSE_IS9_EEEEjNS1_19radix_merge_compareILb0ELb1EjNS0_19identity_decomposerEEEEE10hipError_tT0_T1_T2_jT3_P12ihipStream_tbPNSt15iterator_traitsISN_E10value_typeEPNST_ISO_E10value_typeEPSP_NS1_7vsmem_tEENKUlT_SN_SO_SP_E_clISG_PjSI_PS9_EESM_S12_SN_SO_SP_EUlS12_E_NS1_11comp_targetILNS1_3genE9ELNS1_11target_archE1100ELNS1_3gpuE3ELNS1_3repE0EEENS1_48merge_mergepath_partition_config_static_selectorELNS0_4arch9wavefront6targetE0EEEvSO_.private_seg_size, 0
	.set _ZN7rocprim17ROCPRIM_400000_NS6detail17trampoline_kernelINS0_14default_configENS1_38merge_sort_block_merge_config_selectorIjN6thrust23THRUST_200600_302600_NS5tupleIffNS6_9null_typeES8_S8_S8_S8_S8_S8_S8_EEEEZZNS1_27merge_sort_block_merge_implIS3_NS6_6detail15normal_iteratorINS6_10device_ptrIjEEEENSD_INSE_IS9_EEEEjNS1_19radix_merge_compareILb0ELb1EjNS0_19identity_decomposerEEEEE10hipError_tT0_T1_T2_jT3_P12ihipStream_tbPNSt15iterator_traitsISN_E10value_typeEPNST_ISO_E10value_typeEPSP_NS1_7vsmem_tEENKUlT_SN_SO_SP_E_clISG_PjSI_PS9_EESM_S12_SN_SO_SP_EUlS12_E_NS1_11comp_targetILNS1_3genE9ELNS1_11target_archE1100ELNS1_3gpuE3ELNS1_3repE0EEENS1_48merge_mergepath_partition_config_static_selectorELNS0_4arch9wavefront6targetE0EEEvSO_.uses_vcc, 0
	.set _ZN7rocprim17ROCPRIM_400000_NS6detail17trampoline_kernelINS0_14default_configENS1_38merge_sort_block_merge_config_selectorIjN6thrust23THRUST_200600_302600_NS5tupleIffNS6_9null_typeES8_S8_S8_S8_S8_S8_S8_EEEEZZNS1_27merge_sort_block_merge_implIS3_NS6_6detail15normal_iteratorINS6_10device_ptrIjEEEENSD_INSE_IS9_EEEEjNS1_19radix_merge_compareILb0ELb1EjNS0_19identity_decomposerEEEEE10hipError_tT0_T1_T2_jT3_P12ihipStream_tbPNSt15iterator_traitsISN_E10value_typeEPNST_ISO_E10value_typeEPSP_NS1_7vsmem_tEENKUlT_SN_SO_SP_E_clISG_PjSI_PS9_EESM_S12_SN_SO_SP_EUlS12_E_NS1_11comp_targetILNS1_3genE9ELNS1_11target_archE1100ELNS1_3gpuE3ELNS1_3repE0EEENS1_48merge_mergepath_partition_config_static_selectorELNS0_4arch9wavefront6targetE0EEEvSO_.uses_flat_scratch, 0
	.set _ZN7rocprim17ROCPRIM_400000_NS6detail17trampoline_kernelINS0_14default_configENS1_38merge_sort_block_merge_config_selectorIjN6thrust23THRUST_200600_302600_NS5tupleIffNS6_9null_typeES8_S8_S8_S8_S8_S8_S8_EEEEZZNS1_27merge_sort_block_merge_implIS3_NS6_6detail15normal_iteratorINS6_10device_ptrIjEEEENSD_INSE_IS9_EEEEjNS1_19radix_merge_compareILb0ELb1EjNS0_19identity_decomposerEEEEE10hipError_tT0_T1_T2_jT3_P12ihipStream_tbPNSt15iterator_traitsISN_E10value_typeEPNST_ISO_E10value_typeEPSP_NS1_7vsmem_tEENKUlT_SN_SO_SP_E_clISG_PjSI_PS9_EESM_S12_SN_SO_SP_EUlS12_E_NS1_11comp_targetILNS1_3genE9ELNS1_11target_archE1100ELNS1_3gpuE3ELNS1_3repE0EEENS1_48merge_mergepath_partition_config_static_selectorELNS0_4arch9wavefront6targetE0EEEvSO_.has_dyn_sized_stack, 0
	.set _ZN7rocprim17ROCPRIM_400000_NS6detail17trampoline_kernelINS0_14default_configENS1_38merge_sort_block_merge_config_selectorIjN6thrust23THRUST_200600_302600_NS5tupleIffNS6_9null_typeES8_S8_S8_S8_S8_S8_S8_EEEEZZNS1_27merge_sort_block_merge_implIS3_NS6_6detail15normal_iteratorINS6_10device_ptrIjEEEENSD_INSE_IS9_EEEEjNS1_19radix_merge_compareILb0ELb1EjNS0_19identity_decomposerEEEEE10hipError_tT0_T1_T2_jT3_P12ihipStream_tbPNSt15iterator_traitsISN_E10value_typeEPNST_ISO_E10value_typeEPSP_NS1_7vsmem_tEENKUlT_SN_SO_SP_E_clISG_PjSI_PS9_EESM_S12_SN_SO_SP_EUlS12_E_NS1_11comp_targetILNS1_3genE9ELNS1_11target_archE1100ELNS1_3gpuE3ELNS1_3repE0EEENS1_48merge_mergepath_partition_config_static_selectorELNS0_4arch9wavefront6targetE0EEEvSO_.has_recursion, 0
	.set _ZN7rocprim17ROCPRIM_400000_NS6detail17trampoline_kernelINS0_14default_configENS1_38merge_sort_block_merge_config_selectorIjN6thrust23THRUST_200600_302600_NS5tupleIffNS6_9null_typeES8_S8_S8_S8_S8_S8_S8_EEEEZZNS1_27merge_sort_block_merge_implIS3_NS6_6detail15normal_iteratorINS6_10device_ptrIjEEEENSD_INSE_IS9_EEEEjNS1_19radix_merge_compareILb0ELb1EjNS0_19identity_decomposerEEEEE10hipError_tT0_T1_T2_jT3_P12ihipStream_tbPNSt15iterator_traitsISN_E10value_typeEPNST_ISO_E10value_typeEPSP_NS1_7vsmem_tEENKUlT_SN_SO_SP_E_clISG_PjSI_PS9_EESM_S12_SN_SO_SP_EUlS12_E_NS1_11comp_targetILNS1_3genE9ELNS1_11target_archE1100ELNS1_3gpuE3ELNS1_3repE0EEENS1_48merge_mergepath_partition_config_static_selectorELNS0_4arch9wavefront6targetE0EEEvSO_.has_indirect_call, 0
	.section	.AMDGPU.csdata,"",@progbits
; Kernel info:
; codeLenInByte = 0
; TotalNumSgprs: 0
; NumVgprs: 0
; ScratchSize: 0
; MemoryBound: 0
; FloatMode: 240
; IeeeMode: 1
; LDSByteSize: 0 bytes/workgroup (compile time only)
; SGPRBlocks: 0
; VGPRBlocks: 0
; NumSGPRsForWavesPerEU: 1
; NumVGPRsForWavesPerEU: 1
; NamedBarCnt: 0
; Occupancy: 16
; WaveLimiterHint : 0
; COMPUTE_PGM_RSRC2:SCRATCH_EN: 0
; COMPUTE_PGM_RSRC2:USER_SGPR: 2
; COMPUTE_PGM_RSRC2:TRAP_HANDLER: 0
; COMPUTE_PGM_RSRC2:TGID_X_EN: 1
; COMPUTE_PGM_RSRC2:TGID_Y_EN: 0
; COMPUTE_PGM_RSRC2:TGID_Z_EN: 0
; COMPUTE_PGM_RSRC2:TIDIG_COMP_CNT: 0
	.section	.text._ZN7rocprim17ROCPRIM_400000_NS6detail17trampoline_kernelINS0_14default_configENS1_38merge_sort_block_merge_config_selectorIjN6thrust23THRUST_200600_302600_NS5tupleIffNS6_9null_typeES8_S8_S8_S8_S8_S8_S8_EEEEZZNS1_27merge_sort_block_merge_implIS3_NS6_6detail15normal_iteratorINS6_10device_ptrIjEEEENSD_INSE_IS9_EEEEjNS1_19radix_merge_compareILb0ELb1EjNS0_19identity_decomposerEEEEE10hipError_tT0_T1_T2_jT3_P12ihipStream_tbPNSt15iterator_traitsISN_E10value_typeEPNST_ISO_E10value_typeEPSP_NS1_7vsmem_tEENKUlT_SN_SO_SP_E_clISG_PjSI_PS9_EESM_S12_SN_SO_SP_EUlS12_E_NS1_11comp_targetILNS1_3genE8ELNS1_11target_archE1030ELNS1_3gpuE2ELNS1_3repE0EEENS1_48merge_mergepath_partition_config_static_selectorELNS0_4arch9wavefront6targetE0EEEvSO_,"axG",@progbits,_ZN7rocprim17ROCPRIM_400000_NS6detail17trampoline_kernelINS0_14default_configENS1_38merge_sort_block_merge_config_selectorIjN6thrust23THRUST_200600_302600_NS5tupleIffNS6_9null_typeES8_S8_S8_S8_S8_S8_S8_EEEEZZNS1_27merge_sort_block_merge_implIS3_NS6_6detail15normal_iteratorINS6_10device_ptrIjEEEENSD_INSE_IS9_EEEEjNS1_19radix_merge_compareILb0ELb1EjNS0_19identity_decomposerEEEEE10hipError_tT0_T1_T2_jT3_P12ihipStream_tbPNSt15iterator_traitsISN_E10value_typeEPNST_ISO_E10value_typeEPSP_NS1_7vsmem_tEENKUlT_SN_SO_SP_E_clISG_PjSI_PS9_EESM_S12_SN_SO_SP_EUlS12_E_NS1_11comp_targetILNS1_3genE8ELNS1_11target_archE1030ELNS1_3gpuE2ELNS1_3repE0EEENS1_48merge_mergepath_partition_config_static_selectorELNS0_4arch9wavefront6targetE0EEEvSO_,comdat
	.protected	_ZN7rocprim17ROCPRIM_400000_NS6detail17trampoline_kernelINS0_14default_configENS1_38merge_sort_block_merge_config_selectorIjN6thrust23THRUST_200600_302600_NS5tupleIffNS6_9null_typeES8_S8_S8_S8_S8_S8_S8_EEEEZZNS1_27merge_sort_block_merge_implIS3_NS6_6detail15normal_iteratorINS6_10device_ptrIjEEEENSD_INSE_IS9_EEEEjNS1_19radix_merge_compareILb0ELb1EjNS0_19identity_decomposerEEEEE10hipError_tT0_T1_T2_jT3_P12ihipStream_tbPNSt15iterator_traitsISN_E10value_typeEPNST_ISO_E10value_typeEPSP_NS1_7vsmem_tEENKUlT_SN_SO_SP_E_clISG_PjSI_PS9_EESM_S12_SN_SO_SP_EUlS12_E_NS1_11comp_targetILNS1_3genE8ELNS1_11target_archE1030ELNS1_3gpuE2ELNS1_3repE0EEENS1_48merge_mergepath_partition_config_static_selectorELNS0_4arch9wavefront6targetE0EEEvSO_ ; -- Begin function _ZN7rocprim17ROCPRIM_400000_NS6detail17trampoline_kernelINS0_14default_configENS1_38merge_sort_block_merge_config_selectorIjN6thrust23THRUST_200600_302600_NS5tupleIffNS6_9null_typeES8_S8_S8_S8_S8_S8_S8_EEEEZZNS1_27merge_sort_block_merge_implIS3_NS6_6detail15normal_iteratorINS6_10device_ptrIjEEEENSD_INSE_IS9_EEEEjNS1_19radix_merge_compareILb0ELb1EjNS0_19identity_decomposerEEEEE10hipError_tT0_T1_T2_jT3_P12ihipStream_tbPNSt15iterator_traitsISN_E10value_typeEPNST_ISO_E10value_typeEPSP_NS1_7vsmem_tEENKUlT_SN_SO_SP_E_clISG_PjSI_PS9_EESM_S12_SN_SO_SP_EUlS12_E_NS1_11comp_targetILNS1_3genE8ELNS1_11target_archE1030ELNS1_3gpuE2ELNS1_3repE0EEENS1_48merge_mergepath_partition_config_static_selectorELNS0_4arch9wavefront6targetE0EEEvSO_
	.globl	_ZN7rocprim17ROCPRIM_400000_NS6detail17trampoline_kernelINS0_14default_configENS1_38merge_sort_block_merge_config_selectorIjN6thrust23THRUST_200600_302600_NS5tupleIffNS6_9null_typeES8_S8_S8_S8_S8_S8_S8_EEEEZZNS1_27merge_sort_block_merge_implIS3_NS6_6detail15normal_iteratorINS6_10device_ptrIjEEEENSD_INSE_IS9_EEEEjNS1_19radix_merge_compareILb0ELb1EjNS0_19identity_decomposerEEEEE10hipError_tT0_T1_T2_jT3_P12ihipStream_tbPNSt15iterator_traitsISN_E10value_typeEPNST_ISO_E10value_typeEPSP_NS1_7vsmem_tEENKUlT_SN_SO_SP_E_clISG_PjSI_PS9_EESM_S12_SN_SO_SP_EUlS12_E_NS1_11comp_targetILNS1_3genE8ELNS1_11target_archE1030ELNS1_3gpuE2ELNS1_3repE0EEENS1_48merge_mergepath_partition_config_static_selectorELNS0_4arch9wavefront6targetE0EEEvSO_
	.p2align	8
	.type	_ZN7rocprim17ROCPRIM_400000_NS6detail17trampoline_kernelINS0_14default_configENS1_38merge_sort_block_merge_config_selectorIjN6thrust23THRUST_200600_302600_NS5tupleIffNS6_9null_typeES8_S8_S8_S8_S8_S8_S8_EEEEZZNS1_27merge_sort_block_merge_implIS3_NS6_6detail15normal_iteratorINS6_10device_ptrIjEEEENSD_INSE_IS9_EEEEjNS1_19radix_merge_compareILb0ELb1EjNS0_19identity_decomposerEEEEE10hipError_tT0_T1_T2_jT3_P12ihipStream_tbPNSt15iterator_traitsISN_E10value_typeEPNST_ISO_E10value_typeEPSP_NS1_7vsmem_tEENKUlT_SN_SO_SP_E_clISG_PjSI_PS9_EESM_S12_SN_SO_SP_EUlS12_E_NS1_11comp_targetILNS1_3genE8ELNS1_11target_archE1030ELNS1_3gpuE2ELNS1_3repE0EEENS1_48merge_mergepath_partition_config_static_selectorELNS0_4arch9wavefront6targetE0EEEvSO_,@function
_ZN7rocprim17ROCPRIM_400000_NS6detail17trampoline_kernelINS0_14default_configENS1_38merge_sort_block_merge_config_selectorIjN6thrust23THRUST_200600_302600_NS5tupleIffNS6_9null_typeES8_S8_S8_S8_S8_S8_S8_EEEEZZNS1_27merge_sort_block_merge_implIS3_NS6_6detail15normal_iteratorINS6_10device_ptrIjEEEENSD_INSE_IS9_EEEEjNS1_19radix_merge_compareILb0ELb1EjNS0_19identity_decomposerEEEEE10hipError_tT0_T1_T2_jT3_P12ihipStream_tbPNSt15iterator_traitsISN_E10value_typeEPNST_ISO_E10value_typeEPSP_NS1_7vsmem_tEENKUlT_SN_SO_SP_E_clISG_PjSI_PS9_EESM_S12_SN_SO_SP_EUlS12_E_NS1_11comp_targetILNS1_3genE8ELNS1_11target_archE1030ELNS1_3gpuE2ELNS1_3repE0EEENS1_48merge_mergepath_partition_config_static_selectorELNS0_4arch9wavefront6targetE0EEEvSO_: ; @_ZN7rocprim17ROCPRIM_400000_NS6detail17trampoline_kernelINS0_14default_configENS1_38merge_sort_block_merge_config_selectorIjN6thrust23THRUST_200600_302600_NS5tupleIffNS6_9null_typeES8_S8_S8_S8_S8_S8_S8_EEEEZZNS1_27merge_sort_block_merge_implIS3_NS6_6detail15normal_iteratorINS6_10device_ptrIjEEEENSD_INSE_IS9_EEEEjNS1_19radix_merge_compareILb0ELb1EjNS0_19identity_decomposerEEEEE10hipError_tT0_T1_T2_jT3_P12ihipStream_tbPNSt15iterator_traitsISN_E10value_typeEPNST_ISO_E10value_typeEPSP_NS1_7vsmem_tEENKUlT_SN_SO_SP_E_clISG_PjSI_PS9_EESM_S12_SN_SO_SP_EUlS12_E_NS1_11comp_targetILNS1_3genE8ELNS1_11target_archE1030ELNS1_3gpuE2ELNS1_3repE0EEENS1_48merge_mergepath_partition_config_static_selectorELNS0_4arch9wavefront6targetE0EEEvSO_
; %bb.0:
	.section	.rodata,"a",@progbits
	.p2align	6, 0x0
	.amdhsa_kernel _ZN7rocprim17ROCPRIM_400000_NS6detail17trampoline_kernelINS0_14default_configENS1_38merge_sort_block_merge_config_selectorIjN6thrust23THRUST_200600_302600_NS5tupleIffNS6_9null_typeES8_S8_S8_S8_S8_S8_S8_EEEEZZNS1_27merge_sort_block_merge_implIS3_NS6_6detail15normal_iteratorINS6_10device_ptrIjEEEENSD_INSE_IS9_EEEEjNS1_19radix_merge_compareILb0ELb1EjNS0_19identity_decomposerEEEEE10hipError_tT0_T1_T2_jT3_P12ihipStream_tbPNSt15iterator_traitsISN_E10value_typeEPNST_ISO_E10value_typeEPSP_NS1_7vsmem_tEENKUlT_SN_SO_SP_E_clISG_PjSI_PS9_EESM_S12_SN_SO_SP_EUlS12_E_NS1_11comp_targetILNS1_3genE8ELNS1_11target_archE1030ELNS1_3gpuE2ELNS1_3repE0EEENS1_48merge_mergepath_partition_config_static_selectorELNS0_4arch9wavefront6targetE0EEEvSO_
		.amdhsa_group_segment_fixed_size 0
		.amdhsa_private_segment_fixed_size 0
		.amdhsa_kernarg_size 40
		.amdhsa_user_sgpr_count 2
		.amdhsa_user_sgpr_dispatch_ptr 0
		.amdhsa_user_sgpr_queue_ptr 0
		.amdhsa_user_sgpr_kernarg_segment_ptr 1
		.amdhsa_user_sgpr_dispatch_id 0
		.amdhsa_user_sgpr_kernarg_preload_length 0
		.amdhsa_user_sgpr_kernarg_preload_offset 0
		.amdhsa_user_sgpr_private_segment_size 0
		.amdhsa_wavefront_size32 1
		.amdhsa_uses_dynamic_stack 0
		.amdhsa_enable_private_segment 0
		.amdhsa_system_sgpr_workgroup_id_x 1
		.amdhsa_system_sgpr_workgroup_id_y 0
		.amdhsa_system_sgpr_workgroup_id_z 0
		.amdhsa_system_sgpr_workgroup_info 0
		.amdhsa_system_vgpr_workitem_id 0
		.amdhsa_next_free_vgpr 1
		.amdhsa_next_free_sgpr 1
		.amdhsa_named_barrier_count 0
		.amdhsa_reserve_vcc 0
		.amdhsa_float_round_mode_32 0
		.amdhsa_float_round_mode_16_64 0
		.amdhsa_float_denorm_mode_32 3
		.amdhsa_float_denorm_mode_16_64 3
		.amdhsa_fp16_overflow 0
		.amdhsa_memory_ordered 1
		.amdhsa_forward_progress 1
		.amdhsa_inst_pref_size 0
		.amdhsa_round_robin_scheduling 0
		.amdhsa_exception_fp_ieee_invalid_op 0
		.amdhsa_exception_fp_denorm_src 0
		.amdhsa_exception_fp_ieee_div_zero 0
		.amdhsa_exception_fp_ieee_overflow 0
		.amdhsa_exception_fp_ieee_underflow 0
		.amdhsa_exception_fp_ieee_inexact 0
		.amdhsa_exception_int_div_zero 0
	.end_amdhsa_kernel
	.section	.text._ZN7rocprim17ROCPRIM_400000_NS6detail17trampoline_kernelINS0_14default_configENS1_38merge_sort_block_merge_config_selectorIjN6thrust23THRUST_200600_302600_NS5tupleIffNS6_9null_typeES8_S8_S8_S8_S8_S8_S8_EEEEZZNS1_27merge_sort_block_merge_implIS3_NS6_6detail15normal_iteratorINS6_10device_ptrIjEEEENSD_INSE_IS9_EEEEjNS1_19radix_merge_compareILb0ELb1EjNS0_19identity_decomposerEEEEE10hipError_tT0_T1_T2_jT3_P12ihipStream_tbPNSt15iterator_traitsISN_E10value_typeEPNST_ISO_E10value_typeEPSP_NS1_7vsmem_tEENKUlT_SN_SO_SP_E_clISG_PjSI_PS9_EESM_S12_SN_SO_SP_EUlS12_E_NS1_11comp_targetILNS1_3genE8ELNS1_11target_archE1030ELNS1_3gpuE2ELNS1_3repE0EEENS1_48merge_mergepath_partition_config_static_selectorELNS0_4arch9wavefront6targetE0EEEvSO_,"axG",@progbits,_ZN7rocprim17ROCPRIM_400000_NS6detail17trampoline_kernelINS0_14default_configENS1_38merge_sort_block_merge_config_selectorIjN6thrust23THRUST_200600_302600_NS5tupleIffNS6_9null_typeES8_S8_S8_S8_S8_S8_S8_EEEEZZNS1_27merge_sort_block_merge_implIS3_NS6_6detail15normal_iteratorINS6_10device_ptrIjEEEENSD_INSE_IS9_EEEEjNS1_19radix_merge_compareILb0ELb1EjNS0_19identity_decomposerEEEEE10hipError_tT0_T1_T2_jT3_P12ihipStream_tbPNSt15iterator_traitsISN_E10value_typeEPNST_ISO_E10value_typeEPSP_NS1_7vsmem_tEENKUlT_SN_SO_SP_E_clISG_PjSI_PS9_EESM_S12_SN_SO_SP_EUlS12_E_NS1_11comp_targetILNS1_3genE8ELNS1_11target_archE1030ELNS1_3gpuE2ELNS1_3repE0EEENS1_48merge_mergepath_partition_config_static_selectorELNS0_4arch9wavefront6targetE0EEEvSO_,comdat
.Lfunc_end122:
	.size	_ZN7rocprim17ROCPRIM_400000_NS6detail17trampoline_kernelINS0_14default_configENS1_38merge_sort_block_merge_config_selectorIjN6thrust23THRUST_200600_302600_NS5tupleIffNS6_9null_typeES8_S8_S8_S8_S8_S8_S8_EEEEZZNS1_27merge_sort_block_merge_implIS3_NS6_6detail15normal_iteratorINS6_10device_ptrIjEEEENSD_INSE_IS9_EEEEjNS1_19radix_merge_compareILb0ELb1EjNS0_19identity_decomposerEEEEE10hipError_tT0_T1_T2_jT3_P12ihipStream_tbPNSt15iterator_traitsISN_E10value_typeEPNST_ISO_E10value_typeEPSP_NS1_7vsmem_tEENKUlT_SN_SO_SP_E_clISG_PjSI_PS9_EESM_S12_SN_SO_SP_EUlS12_E_NS1_11comp_targetILNS1_3genE8ELNS1_11target_archE1030ELNS1_3gpuE2ELNS1_3repE0EEENS1_48merge_mergepath_partition_config_static_selectorELNS0_4arch9wavefront6targetE0EEEvSO_, .Lfunc_end122-_ZN7rocprim17ROCPRIM_400000_NS6detail17trampoline_kernelINS0_14default_configENS1_38merge_sort_block_merge_config_selectorIjN6thrust23THRUST_200600_302600_NS5tupleIffNS6_9null_typeES8_S8_S8_S8_S8_S8_S8_EEEEZZNS1_27merge_sort_block_merge_implIS3_NS6_6detail15normal_iteratorINS6_10device_ptrIjEEEENSD_INSE_IS9_EEEEjNS1_19radix_merge_compareILb0ELb1EjNS0_19identity_decomposerEEEEE10hipError_tT0_T1_T2_jT3_P12ihipStream_tbPNSt15iterator_traitsISN_E10value_typeEPNST_ISO_E10value_typeEPSP_NS1_7vsmem_tEENKUlT_SN_SO_SP_E_clISG_PjSI_PS9_EESM_S12_SN_SO_SP_EUlS12_E_NS1_11comp_targetILNS1_3genE8ELNS1_11target_archE1030ELNS1_3gpuE2ELNS1_3repE0EEENS1_48merge_mergepath_partition_config_static_selectorELNS0_4arch9wavefront6targetE0EEEvSO_
                                        ; -- End function
	.set _ZN7rocprim17ROCPRIM_400000_NS6detail17trampoline_kernelINS0_14default_configENS1_38merge_sort_block_merge_config_selectorIjN6thrust23THRUST_200600_302600_NS5tupleIffNS6_9null_typeES8_S8_S8_S8_S8_S8_S8_EEEEZZNS1_27merge_sort_block_merge_implIS3_NS6_6detail15normal_iteratorINS6_10device_ptrIjEEEENSD_INSE_IS9_EEEEjNS1_19radix_merge_compareILb0ELb1EjNS0_19identity_decomposerEEEEE10hipError_tT0_T1_T2_jT3_P12ihipStream_tbPNSt15iterator_traitsISN_E10value_typeEPNST_ISO_E10value_typeEPSP_NS1_7vsmem_tEENKUlT_SN_SO_SP_E_clISG_PjSI_PS9_EESM_S12_SN_SO_SP_EUlS12_E_NS1_11comp_targetILNS1_3genE8ELNS1_11target_archE1030ELNS1_3gpuE2ELNS1_3repE0EEENS1_48merge_mergepath_partition_config_static_selectorELNS0_4arch9wavefront6targetE0EEEvSO_.num_vgpr, 0
	.set _ZN7rocprim17ROCPRIM_400000_NS6detail17trampoline_kernelINS0_14default_configENS1_38merge_sort_block_merge_config_selectorIjN6thrust23THRUST_200600_302600_NS5tupleIffNS6_9null_typeES8_S8_S8_S8_S8_S8_S8_EEEEZZNS1_27merge_sort_block_merge_implIS3_NS6_6detail15normal_iteratorINS6_10device_ptrIjEEEENSD_INSE_IS9_EEEEjNS1_19radix_merge_compareILb0ELb1EjNS0_19identity_decomposerEEEEE10hipError_tT0_T1_T2_jT3_P12ihipStream_tbPNSt15iterator_traitsISN_E10value_typeEPNST_ISO_E10value_typeEPSP_NS1_7vsmem_tEENKUlT_SN_SO_SP_E_clISG_PjSI_PS9_EESM_S12_SN_SO_SP_EUlS12_E_NS1_11comp_targetILNS1_3genE8ELNS1_11target_archE1030ELNS1_3gpuE2ELNS1_3repE0EEENS1_48merge_mergepath_partition_config_static_selectorELNS0_4arch9wavefront6targetE0EEEvSO_.num_agpr, 0
	.set _ZN7rocprim17ROCPRIM_400000_NS6detail17trampoline_kernelINS0_14default_configENS1_38merge_sort_block_merge_config_selectorIjN6thrust23THRUST_200600_302600_NS5tupleIffNS6_9null_typeES8_S8_S8_S8_S8_S8_S8_EEEEZZNS1_27merge_sort_block_merge_implIS3_NS6_6detail15normal_iteratorINS6_10device_ptrIjEEEENSD_INSE_IS9_EEEEjNS1_19radix_merge_compareILb0ELb1EjNS0_19identity_decomposerEEEEE10hipError_tT0_T1_T2_jT3_P12ihipStream_tbPNSt15iterator_traitsISN_E10value_typeEPNST_ISO_E10value_typeEPSP_NS1_7vsmem_tEENKUlT_SN_SO_SP_E_clISG_PjSI_PS9_EESM_S12_SN_SO_SP_EUlS12_E_NS1_11comp_targetILNS1_3genE8ELNS1_11target_archE1030ELNS1_3gpuE2ELNS1_3repE0EEENS1_48merge_mergepath_partition_config_static_selectorELNS0_4arch9wavefront6targetE0EEEvSO_.numbered_sgpr, 0
	.set _ZN7rocprim17ROCPRIM_400000_NS6detail17trampoline_kernelINS0_14default_configENS1_38merge_sort_block_merge_config_selectorIjN6thrust23THRUST_200600_302600_NS5tupleIffNS6_9null_typeES8_S8_S8_S8_S8_S8_S8_EEEEZZNS1_27merge_sort_block_merge_implIS3_NS6_6detail15normal_iteratorINS6_10device_ptrIjEEEENSD_INSE_IS9_EEEEjNS1_19radix_merge_compareILb0ELb1EjNS0_19identity_decomposerEEEEE10hipError_tT0_T1_T2_jT3_P12ihipStream_tbPNSt15iterator_traitsISN_E10value_typeEPNST_ISO_E10value_typeEPSP_NS1_7vsmem_tEENKUlT_SN_SO_SP_E_clISG_PjSI_PS9_EESM_S12_SN_SO_SP_EUlS12_E_NS1_11comp_targetILNS1_3genE8ELNS1_11target_archE1030ELNS1_3gpuE2ELNS1_3repE0EEENS1_48merge_mergepath_partition_config_static_selectorELNS0_4arch9wavefront6targetE0EEEvSO_.num_named_barrier, 0
	.set _ZN7rocprim17ROCPRIM_400000_NS6detail17trampoline_kernelINS0_14default_configENS1_38merge_sort_block_merge_config_selectorIjN6thrust23THRUST_200600_302600_NS5tupleIffNS6_9null_typeES8_S8_S8_S8_S8_S8_S8_EEEEZZNS1_27merge_sort_block_merge_implIS3_NS6_6detail15normal_iteratorINS6_10device_ptrIjEEEENSD_INSE_IS9_EEEEjNS1_19radix_merge_compareILb0ELb1EjNS0_19identity_decomposerEEEEE10hipError_tT0_T1_T2_jT3_P12ihipStream_tbPNSt15iterator_traitsISN_E10value_typeEPNST_ISO_E10value_typeEPSP_NS1_7vsmem_tEENKUlT_SN_SO_SP_E_clISG_PjSI_PS9_EESM_S12_SN_SO_SP_EUlS12_E_NS1_11comp_targetILNS1_3genE8ELNS1_11target_archE1030ELNS1_3gpuE2ELNS1_3repE0EEENS1_48merge_mergepath_partition_config_static_selectorELNS0_4arch9wavefront6targetE0EEEvSO_.private_seg_size, 0
	.set _ZN7rocprim17ROCPRIM_400000_NS6detail17trampoline_kernelINS0_14default_configENS1_38merge_sort_block_merge_config_selectorIjN6thrust23THRUST_200600_302600_NS5tupleIffNS6_9null_typeES8_S8_S8_S8_S8_S8_S8_EEEEZZNS1_27merge_sort_block_merge_implIS3_NS6_6detail15normal_iteratorINS6_10device_ptrIjEEEENSD_INSE_IS9_EEEEjNS1_19radix_merge_compareILb0ELb1EjNS0_19identity_decomposerEEEEE10hipError_tT0_T1_T2_jT3_P12ihipStream_tbPNSt15iterator_traitsISN_E10value_typeEPNST_ISO_E10value_typeEPSP_NS1_7vsmem_tEENKUlT_SN_SO_SP_E_clISG_PjSI_PS9_EESM_S12_SN_SO_SP_EUlS12_E_NS1_11comp_targetILNS1_3genE8ELNS1_11target_archE1030ELNS1_3gpuE2ELNS1_3repE0EEENS1_48merge_mergepath_partition_config_static_selectorELNS0_4arch9wavefront6targetE0EEEvSO_.uses_vcc, 0
	.set _ZN7rocprim17ROCPRIM_400000_NS6detail17trampoline_kernelINS0_14default_configENS1_38merge_sort_block_merge_config_selectorIjN6thrust23THRUST_200600_302600_NS5tupleIffNS6_9null_typeES8_S8_S8_S8_S8_S8_S8_EEEEZZNS1_27merge_sort_block_merge_implIS3_NS6_6detail15normal_iteratorINS6_10device_ptrIjEEEENSD_INSE_IS9_EEEEjNS1_19radix_merge_compareILb0ELb1EjNS0_19identity_decomposerEEEEE10hipError_tT0_T1_T2_jT3_P12ihipStream_tbPNSt15iterator_traitsISN_E10value_typeEPNST_ISO_E10value_typeEPSP_NS1_7vsmem_tEENKUlT_SN_SO_SP_E_clISG_PjSI_PS9_EESM_S12_SN_SO_SP_EUlS12_E_NS1_11comp_targetILNS1_3genE8ELNS1_11target_archE1030ELNS1_3gpuE2ELNS1_3repE0EEENS1_48merge_mergepath_partition_config_static_selectorELNS0_4arch9wavefront6targetE0EEEvSO_.uses_flat_scratch, 0
	.set _ZN7rocprim17ROCPRIM_400000_NS6detail17trampoline_kernelINS0_14default_configENS1_38merge_sort_block_merge_config_selectorIjN6thrust23THRUST_200600_302600_NS5tupleIffNS6_9null_typeES8_S8_S8_S8_S8_S8_S8_EEEEZZNS1_27merge_sort_block_merge_implIS3_NS6_6detail15normal_iteratorINS6_10device_ptrIjEEEENSD_INSE_IS9_EEEEjNS1_19radix_merge_compareILb0ELb1EjNS0_19identity_decomposerEEEEE10hipError_tT0_T1_T2_jT3_P12ihipStream_tbPNSt15iterator_traitsISN_E10value_typeEPNST_ISO_E10value_typeEPSP_NS1_7vsmem_tEENKUlT_SN_SO_SP_E_clISG_PjSI_PS9_EESM_S12_SN_SO_SP_EUlS12_E_NS1_11comp_targetILNS1_3genE8ELNS1_11target_archE1030ELNS1_3gpuE2ELNS1_3repE0EEENS1_48merge_mergepath_partition_config_static_selectorELNS0_4arch9wavefront6targetE0EEEvSO_.has_dyn_sized_stack, 0
	.set _ZN7rocprim17ROCPRIM_400000_NS6detail17trampoline_kernelINS0_14default_configENS1_38merge_sort_block_merge_config_selectorIjN6thrust23THRUST_200600_302600_NS5tupleIffNS6_9null_typeES8_S8_S8_S8_S8_S8_S8_EEEEZZNS1_27merge_sort_block_merge_implIS3_NS6_6detail15normal_iteratorINS6_10device_ptrIjEEEENSD_INSE_IS9_EEEEjNS1_19radix_merge_compareILb0ELb1EjNS0_19identity_decomposerEEEEE10hipError_tT0_T1_T2_jT3_P12ihipStream_tbPNSt15iterator_traitsISN_E10value_typeEPNST_ISO_E10value_typeEPSP_NS1_7vsmem_tEENKUlT_SN_SO_SP_E_clISG_PjSI_PS9_EESM_S12_SN_SO_SP_EUlS12_E_NS1_11comp_targetILNS1_3genE8ELNS1_11target_archE1030ELNS1_3gpuE2ELNS1_3repE0EEENS1_48merge_mergepath_partition_config_static_selectorELNS0_4arch9wavefront6targetE0EEEvSO_.has_recursion, 0
	.set _ZN7rocprim17ROCPRIM_400000_NS6detail17trampoline_kernelINS0_14default_configENS1_38merge_sort_block_merge_config_selectorIjN6thrust23THRUST_200600_302600_NS5tupleIffNS6_9null_typeES8_S8_S8_S8_S8_S8_S8_EEEEZZNS1_27merge_sort_block_merge_implIS3_NS6_6detail15normal_iteratorINS6_10device_ptrIjEEEENSD_INSE_IS9_EEEEjNS1_19radix_merge_compareILb0ELb1EjNS0_19identity_decomposerEEEEE10hipError_tT0_T1_T2_jT3_P12ihipStream_tbPNSt15iterator_traitsISN_E10value_typeEPNST_ISO_E10value_typeEPSP_NS1_7vsmem_tEENKUlT_SN_SO_SP_E_clISG_PjSI_PS9_EESM_S12_SN_SO_SP_EUlS12_E_NS1_11comp_targetILNS1_3genE8ELNS1_11target_archE1030ELNS1_3gpuE2ELNS1_3repE0EEENS1_48merge_mergepath_partition_config_static_selectorELNS0_4arch9wavefront6targetE0EEEvSO_.has_indirect_call, 0
	.section	.AMDGPU.csdata,"",@progbits
; Kernel info:
; codeLenInByte = 0
; TotalNumSgprs: 0
; NumVgprs: 0
; ScratchSize: 0
; MemoryBound: 0
; FloatMode: 240
; IeeeMode: 1
; LDSByteSize: 0 bytes/workgroup (compile time only)
; SGPRBlocks: 0
; VGPRBlocks: 0
; NumSGPRsForWavesPerEU: 1
; NumVGPRsForWavesPerEU: 1
; NamedBarCnt: 0
; Occupancy: 16
; WaveLimiterHint : 0
; COMPUTE_PGM_RSRC2:SCRATCH_EN: 0
; COMPUTE_PGM_RSRC2:USER_SGPR: 2
; COMPUTE_PGM_RSRC2:TRAP_HANDLER: 0
; COMPUTE_PGM_RSRC2:TGID_X_EN: 1
; COMPUTE_PGM_RSRC2:TGID_Y_EN: 0
; COMPUTE_PGM_RSRC2:TGID_Z_EN: 0
; COMPUTE_PGM_RSRC2:TIDIG_COMP_CNT: 0
	.section	.text._ZN7rocprim17ROCPRIM_400000_NS6detail17trampoline_kernelINS0_14default_configENS1_38merge_sort_block_merge_config_selectorIjN6thrust23THRUST_200600_302600_NS5tupleIffNS6_9null_typeES8_S8_S8_S8_S8_S8_S8_EEEEZZNS1_27merge_sort_block_merge_implIS3_NS6_6detail15normal_iteratorINS6_10device_ptrIjEEEENSD_INSE_IS9_EEEEjNS1_19radix_merge_compareILb0ELb1EjNS0_19identity_decomposerEEEEE10hipError_tT0_T1_T2_jT3_P12ihipStream_tbPNSt15iterator_traitsISN_E10value_typeEPNST_ISO_E10value_typeEPSP_NS1_7vsmem_tEENKUlT_SN_SO_SP_E_clISG_PjSI_PS9_EESM_S12_SN_SO_SP_EUlS12_E0_NS1_11comp_targetILNS1_3genE0ELNS1_11target_archE4294967295ELNS1_3gpuE0ELNS1_3repE0EEENS1_38merge_mergepath_config_static_selectorELNS0_4arch9wavefront6targetE0EEEvSO_,"axG",@progbits,_ZN7rocprim17ROCPRIM_400000_NS6detail17trampoline_kernelINS0_14default_configENS1_38merge_sort_block_merge_config_selectorIjN6thrust23THRUST_200600_302600_NS5tupleIffNS6_9null_typeES8_S8_S8_S8_S8_S8_S8_EEEEZZNS1_27merge_sort_block_merge_implIS3_NS6_6detail15normal_iteratorINS6_10device_ptrIjEEEENSD_INSE_IS9_EEEEjNS1_19radix_merge_compareILb0ELb1EjNS0_19identity_decomposerEEEEE10hipError_tT0_T1_T2_jT3_P12ihipStream_tbPNSt15iterator_traitsISN_E10value_typeEPNST_ISO_E10value_typeEPSP_NS1_7vsmem_tEENKUlT_SN_SO_SP_E_clISG_PjSI_PS9_EESM_S12_SN_SO_SP_EUlS12_E0_NS1_11comp_targetILNS1_3genE0ELNS1_11target_archE4294967295ELNS1_3gpuE0ELNS1_3repE0EEENS1_38merge_mergepath_config_static_selectorELNS0_4arch9wavefront6targetE0EEEvSO_,comdat
	.protected	_ZN7rocprim17ROCPRIM_400000_NS6detail17trampoline_kernelINS0_14default_configENS1_38merge_sort_block_merge_config_selectorIjN6thrust23THRUST_200600_302600_NS5tupleIffNS6_9null_typeES8_S8_S8_S8_S8_S8_S8_EEEEZZNS1_27merge_sort_block_merge_implIS3_NS6_6detail15normal_iteratorINS6_10device_ptrIjEEEENSD_INSE_IS9_EEEEjNS1_19radix_merge_compareILb0ELb1EjNS0_19identity_decomposerEEEEE10hipError_tT0_T1_T2_jT3_P12ihipStream_tbPNSt15iterator_traitsISN_E10value_typeEPNST_ISO_E10value_typeEPSP_NS1_7vsmem_tEENKUlT_SN_SO_SP_E_clISG_PjSI_PS9_EESM_S12_SN_SO_SP_EUlS12_E0_NS1_11comp_targetILNS1_3genE0ELNS1_11target_archE4294967295ELNS1_3gpuE0ELNS1_3repE0EEENS1_38merge_mergepath_config_static_selectorELNS0_4arch9wavefront6targetE0EEEvSO_ ; -- Begin function _ZN7rocprim17ROCPRIM_400000_NS6detail17trampoline_kernelINS0_14default_configENS1_38merge_sort_block_merge_config_selectorIjN6thrust23THRUST_200600_302600_NS5tupleIffNS6_9null_typeES8_S8_S8_S8_S8_S8_S8_EEEEZZNS1_27merge_sort_block_merge_implIS3_NS6_6detail15normal_iteratorINS6_10device_ptrIjEEEENSD_INSE_IS9_EEEEjNS1_19radix_merge_compareILb0ELb1EjNS0_19identity_decomposerEEEEE10hipError_tT0_T1_T2_jT3_P12ihipStream_tbPNSt15iterator_traitsISN_E10value_typeEPNST_ISO_E10value_typeEPSP_NS1_7vsmem_tEENKUlT_SN_SO_SP_E_clISG_PjSI_PS9_EESM_S12_SN_SO_SP_EUlS12_E0_NS1_11comp_targetILNS1_3genE0ELNS1_11target_archE4294967295ELNS1_3gpuE0ELNS1_3repE0EEENS1_38merge_mergepath_config_static_selectorELNS0_4arch9wavefront6targetE0EEEvSO_
	.globl	_ZN7rocprim17ROCPRIM_400000_NS6detail17trampoline_kernelINS0_14default_configENS1_38merge_sort_block_merge_config_selectorIjN6thrust23THRUST_200600_302600_NS5tupleIffNS6_9null_typeES8_S8_S8_S8_S8_S8_S8_EEEEZZNS1_27merge_sort_block_merge_implIS3_NS6_6detail15normal_iteratorINS6_10device_ptrIjEEEENSD_INSE_IS9_EEEEjNS1_19radix_merge_compareILb0ELb1EjNS0_19identity_decomposerEEEEE10hipError_tT0_T1_T2_jT3_P12ihipStream_tbPNSt15iterator_traitsISN_E10value_typeEPNST_ISO_E10value_typeEPSP_NS1_7vsmem_tEENKUlT_SN_SO_SP_E_clISG_PjSI_PS9_EESM_S12_SN_SO_SP_EUlS12_E0_NS1_11comp_targetILNS1_3genE0ELNS1_11target_archE4294967295ELNS1_3gpuE0ELNS1_3repE0EEENS1_38merge_mergepath_config_static_selectorELNS0_4arch9wavefront6targetE0EEEvSO_
	.p2align	8
	.type	_ZN7rocprim17ROCPRIM_400000_NS6detail17trampoline_kernelINS0_14default_configENS1_38merge_sort_block_merge_config_selectorIjN6thrust23THRUST_200600_302600_NS5tupleIffNS6_9null_typeES8_S8_S8_S8_S8_S8_S8_EEEEZZNS1_27merge_sort_block_merge_implIS3_NS6_6detail15normal_iteratorINS6_10device_ptrIjEEEENSD_INSE_IS9_EEEEjNS1_19radix_merge_compareILb0ELb1EjNS0_19identity_decomposerEEEEE10hipError_tT0_T1_T2_jT3_P12ihipStream_tbPNSt15iterator_traitsISN_E10value_typeEPNST_ISO_E10value_typeEPSP_NS1_7vsmem_tEENKUlT_SN_SO_SP_E_clISG_PjSI_PS9_EESM_S12_SN_SO_SP_EUlS12_E0_NS1_11comp_targetILNS1_3genE0ELNS1_11target_archE4294967295ELNS1_3gpuE0ELNS1_3repE0EEENS1_38merge_mergepath_config_static_selectorELNS0_4arch9wavefront6targetE0EEEvSO_,@function
_ZN7rocprim17ROCPRIM_400000_NS6detail17trampoline_kernelINS0_14default_configENS1_38merge_sort_block_merge_config_selectorIjN6thrust23THRUST_200600_302600_NS5tupleIffNS6_9null_typeES8_S8_S8_S8_S8_S8_S8_EEEEZZNS1_27merge_sort_block_merge_implIS3_NS6_6detail15normal_iteratorINS6_10device_ptrIjEEEENSD_INSE_IS9_EEEEjNS1_19radix_merge_compareILb0ELb1EjNS0_19identity_decomposerEEEEE10hipError_tT0_T1_T2_jT3_P12ihipStream_tbPNSt15iterator_traitsISN_E10value_typeEPNST_ISO_E10value_typeEPSP_NS1_7vsmem_tEENKUlT_SN_SO_SP_E_clISG_PjSI_PS9_EESM_S12_SN_SO_SP_EUlS12_E0_NS1_11comp_targetILNS1_3genE0ELNS1_11target_archE4294967295ELNS1_3gpuE0ELNS1_3repE0EEENS1_38merge_mergepath_config_static_selectorELNS0_4arch9wavefront6targetE0EEEvSO_: ; @_ZN7rocprim17ROCPRIM_400000_NS6detail17trampoline_kernelINS0_14default_configENS1_38merge_sort_block_merge_config_selectorIjN6thrust23THRUST_200600_302600_NS5tupleIffNS6_9null_typeES8_S8_S8_S8_S8_S8_S8_EEEEZZNS1_27merge_sort_block_merge_implIS3_NS6_6detail15normal_iteratorINS6_10device_ptrIjEEEENSD_INSE_IS9_EEEEjNS1_19radix_merge_compareILb0ELb1EjNS0_19identity_decomposerEEEEE10hipError_tT0_T1_T2_jT3_P12ihipStream_tbPNSt15iterator_traitsISN_E10value_typeEPNST_ISO_E10value_typeEPSP_NS1_7vsmem_tEENKUlT_SN_SO_SP_E_clISG_PjSI_PS9_EESM_S12_SN_SO_SP_EUlS12_E0_NS1_11comp_targetILNS1_3genE0ELNS1_11target_archE4294967295ELNS1_3gpuE0ELNS1_3repE0EEENS1_38merge_mergepath_config_static_selectorELNS0_4arch9wavefront6targetE0EEEvSO_
; %bb.0:
	s_bfe_u32 s2, ttmp6, 0x40010
	s_and_b32 s4, ttmp7, 0xffff
	s_add_co_i32 s5, s2, 1
	s_clause 0x1
	s_load_b64 s[2:3], s[0:1], 0x30
	s_load_b64 s[18:19], s[0:1], 0x40
	s_bfe_u32 s7, ttmp6, 0x4000c
	s_mul_i32 s5, s4, s5
	s_bfe_u32 s6, ttmp6, 0x40004
	s_add_co_i32 s7, s7, 1
	s_bfe_u32 s8, ttmp6, 0x40014
	s_add_co_i32 s6, s6, s5
	s_and_b32 s5, ttmp6, 15
	s_mul_i32 s7, ttmp9, s7
	s_lshr_b32 s9, ttmp7, 16
	s_add_co_i32 s8, s8, 1
	s_add_co_i32 s5, s5, s7
	s_mul_i32 s7, s9, s8
	s_bfe_u32 s8, ttmp6, 0x40008
	s_getreg_b32 s10, hwreg(HW_REG_IB_STS2, 6, 4)
	s_add_co_i32 s8, s8, s7
	s_cmp_eq_u32 s10, 0
	s_mov_b32 s15, 0
	s_cselect_b32 s7, s9, s8
	s_cselect_b32 s4, s4, s6
	s_wait_kmcnt 0x0
	s_mul_i32 s7, s19, s7
	s_cselect_b32 s13, ttmp9, s5
	s_add_co_i32 s4, s7, s4
	s_delay_alu instid0(SALU_CYCLE_1) | instskip(NEXT) | instid1(SALU_CYCLE_1)
	s_mul_i32 s4, s4, s18
	s_add_co_i32 s20, s4, s13
	s_delay_alu instid0(SALU_CYCLE_1)
	s_cmp_ge_u32 s20, s2
	s_cbranch_scc1 .LBB123_38
; %bb.1:
	v_mov_b32_e32 v5, 0
	s_add_nc_u64 s[24:25], s[0:1], 64
	s_mov_b32 s21, s15
                                        ; implicit-def: $vgpr4
	global_load_b32 v1, v5, s[24:25] offset:14
	s_clause 0x1
	s_load_b256 s[4:11], s[0:1], 0x10
	s_load_b64 s[16:17], s[0:1], 0x38
	s_wait_kmcnt 0x0
	s_lshr_b32 s23, s10, 10
	s_delay_alu instid0(SALU_CYCLE_1)
	s_cmp_lg_u32 s20, s23
	s_cselect_b32 s22, -1, 0
	s_lshl_b64 s[26:27], s[20:21], 2
	s_lshr_b32 s2, s11, 9
	s_add_nc_u64 s[16:17], s[16:17], s[26:27]
	s_and_b32 s2, s2, 0x7ffffe
	s_load_b64 s[26:27], s[16:17], 0x0
	s_sub_co_i32 s2, 0, s2
	s_lshl_b32 s12, s20, 10
	s_and_b32 s14, s20, s2
	s_or_b32 s2, s20, s2
	s_wait_xcnt 0x0
	s_lshl_b32 s16, s14, 11
	s_lshl_b32 s14, s14, 10
	s_add_co_i32 s16, s16, s11
	s_sub_co_i32 s19, s12, s14
	s_sub_co_i32 s14, s16, s14
	s_add_co_i32 s16, s16, s19
	s_min_u32 s19, s10, s14
	s_add_co_i32 s11, s14, s11
	s_mov_b32 s17, s15
	s_wait_kmcnt 0x0
	s_sub_co_i32 s14, s16, s26
	s_sub_co_i32 s21, s16, s27
	s_min_u32 s16, s10, s14
	s_addk_co_i32 s21, 0x400
	s_cmp_eq_u32 s2, -1
	s_mov_b32 s14, s26
	s_cselect_b32 s2, s11, s21
	s_cselect_b32 s19, s19, s27
	s_lshl_b64 s[28:29], s[14:15], 2
	s_lshl_b64 s[30:31], s[16:17], 2
	s_min_u32 s11, s2, s10
	s_sub_co_i32 s2, s19, s26
	s_cmp_lt_u32 s13, s18
	s_mov_b32 s19, s15
	s_cselect_b32 s18, 12, 18
	s_mov_b32 s21, -1
	s_add_nc_u64 s[18:19], s[24:25], s[18:19]
	s_cmp_eq_u32 s20, s23
	s_load_u16 s13, s[18:19], 0x0
	s_wait_loadcnt 0x0
	v_lshrrev_b32_e32 v2, 16, v1
	v_and_b32_e32 v1, 0xffff, v1
	s_wait_xcnt 0x0
	s_load_b64 s[18:19], s[0:1], 0x8
	s_delay_alu instid0(VALU_DEP_1) | instskip(SKIP_1) | instid1(VALU_DEP_1)
	v_mul_lo_u32 v1, v1, v2
	s_wait_kmcnt 0x0
	v_mul_lo_u32 v9, v1, s13
	v_lshlrev_b32_e32 v2, 2, v0
	s_mov_b32 s13, s15
                                        ; implicit-def: $vgpr1
	s_add_nc_u64 s[0:1], s[18:19], s[28:29]
	s_add_nc_u64 s[18:19], s[18:19], s[30:31]
	s_delay_alu instid0(VALU_DEP_2)
	v_add_nc_u32_e32 v8, v9, v0
	s_cbranch_scc0 .LBB123_7
; %bb.2:
	s_and_not1_b32 vcc_lo, exec_lo, s21
	s_sub_co_i32 s11, s11, s16
	s_cbranch_vccz .LBB123_8
.LBB123_3:
	v_mov_b32_e32 v3, 0
	s_and_saveexec_b32 s20, s13
	s_cbranch_execz .LBB123_5
.LBB123_4:
	v_sub_co_u32 v6, vcc_lo, v4, s2
	v_mov_b32_e32 v7, 0
	s_delay_alu instid0(VALU_DEP_1) | instskip(NEXT) | instid1(VALU_DEP_1)
	v_mov_b32_e32 v5, v7
	v_lshl_add_u64 v[10:11], v[4:5], 2, s[0:1]
	s_delay_alu instid0(VALU_DEP_4) | instskip(NEXT) | instid1(VALU_DEP_1)
	v_lshl_add_u64 v[4:5], v[6:7], 2, s[18:19]
	v_dual_cndmask_b32 v5, v5, v11 :: v_dual_cndmask_b32 v4, v4, v10
	global_load_b32 v3, v[4:5], off
.LBB123_5:
	s_wait_xcnt 0x0
	s_or_b32 exec_lo, exec_lo, s20
	v_lshlrev_b32_e32 v4, 3, v0
	s_lshl_b64 s[0:1], s[14:15], 3
	s_lshl_b64 s[14:15], s[16:17], 3
	s_add_nc_u64 s[0:1], s[6:7], s[0:1]
	s_and_not1_b32 vcc_lo, exec_lo, s22
	s_add_nc_u64 s[6:7], s[6:7], s[14:15]
	s_wait_loadcnt 0x0
	ds_store_2addr_stride64_b32 v2, v1, v3 offset1:8
	s_cbranch_vccnz .LBB123_11
; %bb.6:
	v_sub_co_u32 v6, vcc_lo, v0, s2
	v_mov_b32_e32 v7, 0
	s_add_co_i32 s13, s11, s2
	s_delay_alu instid0(SALU_CYCLE_1) | instskip(SKIP_1) | instid1(VALU_DEP_2)
	v_mov_b32_e32 v12, s13
	s_mov_b32 s13, -1
	v_mov_b32_e32 v5, v7
	v_lshl_add_u64 v[6:7], v[6:7], 3, s[6:7]
	s_delay_alu instid0(VALU_DEP_2) | instskip(NEXT) | instid1(VALU_DEP_1)
	v_add_nc_u64_e32 v[10:11], s[0:1], v[4:5]
	v_dual_cndmask_b32 v7, v7, v11 :: v_dual_cndmask_b32 v6, v6, v10
	v_add_nc_u32_e32 v10, v9, v0
	global_load_b64 v[6:7], v[6:7], off
	s_cbranch_execz .LBB123_12
	s_branch .LBB123_15
.LBB123_7:
	v_sub_co_u32 v4, vcc_lo, v0, s2
	v_mov_b32_e32 v3, v5
	s_mov_b32 s13, -1
	s_delay_alu instid0(VALU_DEP_2) | instskip(NEXT) | instid1(VALU_DEP_2)
	v_lshl_add_u64 v[4:5], v[4:5], 2, s[18:19]
	v_add_nc_u64_e32 v[6:7], s[0:1], v[2:3]
	s_delay_alu instid0(VALU_DEP_1)
	v_dual_cndmask_b32 v5, v5, v7 :: v_dual_cndmask_b32 v4, v4, v6
	global_load_b32 v1, v[4:5], off
	s_wait_xcnt 0x0
	v_add_nc_u32_e32 v4, v9, v0
	s_sub_co_i32 s11, s11, s16
	s_cbranch_execnz .LBB123_3
.LBB123_8:
	s_wait_loadcnt 0x0
	v_mov_b32_e32 v1, 0
	s_add_co_i32 s13, s11, s2
	s_mov_b32 s20, exec_lo
	v_cmpx_gt_u32_e64 s13, v0
	s_cbranch_execz .LBB123_10
; %bb.9:
	v_sub_co_u32 v6, vcc_lo, v0, s2
	v_mov_b32_e32 v3, 0
	s_delay_alu instid0(VALU_DEP_1) | instskip(SKIP_1) | instid1(VALU_DEP_1)
	v_add_nc_u64_e32 v[4:5], s[0:1], v[2:3]
	v_mov_b32_e32 v7, v3
	v_lshl_add_u64 v[6:7], v[6:7], 2, s[18:19]
	s_delay_alu instid0(VALU_DEP_1)
	v_dual_cndmask_b32 v5, v7, v5 :: v_dual_cndmask_b32 v4, v6, v4
	global_load_b32 v1, v[4:5], off
.LBB123_10:
	s_wait_xcnt 0x0
	s_or_b32 exec_lo, exec_lo, s20
	v_add_nc_u32_e32 v4, v9, v0
	s_delay_alu instid0(VALU_DEP_1)
	v_cmp_gt_u32_e64 s13, s13, v4
	v_mov_b32_e32 v3, 0
	s_and_saveexec_b32 s20, s13
	s_cbranch_execnz .LBB123_4
	s_branch .LBB123_5
.LBB123_11:
	s_mov_b32 s13, 0
                                        ; implicit-def: $vgpr10
                                        ; implicit-def: $vgpr6_vgpr7
                                        ; implicit-def: $vgpr12
.LBB123_12:
	s_wait_loadcnt 0x0
	v_mov_b64_e32 v[6:7], 0
	s_add_co_i32 s14, s11, s2
	s_mov_b32 s13, exec_lo
	v_cmpx_gt_u32_e64 s14, v0
	s_cbranch_execz .LBB123_14
; %bb.13:
	v_sub_co_u32 v10, vcc_lo, v0, s2
	v_mov_b32_e32 v5, 0
	s_delay_alu instid0(VALU_DEP_1) | instskip(SKIP_1) | instid1(VALU_DEP_1)
	v_add_nc_u64_e32 v[6:7], s[0:1], v[4:5]
	v_mov_b32_e32 v11, v5
	v_lshl_add_u64 v[10:11], v[10:11], 3, s[6:7]
	s_delay_alu instid0(VALU_DEP_1)
	v_dual_cndmask_b32 v7, v11, v7 :: v_dual_cndmask_b32 v6, v10, v6
	global_load_b64 v[6:7], v[6:7], off
.LBB123_14:
	s_wait_xcnt 0x0
	s_or_b32 exec_lo, exec_lo, s13
	v_cmp_gt_u32_e64 s13, s14, v8
	v_dual_mov_b32 v12, s14 :: v_dual_mov_b32 v10, v8
.LBB123_15:
	v_dual_mov_b32 v8, 0 :: v_dual_mov_b32 v9, 0
	s_wait_xcnt 0x0
	s_delay_alu instid0(VALU_DEP_3)
	s_and_saveexec_b32 s14, s13
	s_cbranch_execz .LBB123_17
; %bb.16:
	v_sub_co_u32 v8, vcc_lo, v10, s2
	v_mov_b32_e32 v9, 0
	s_delay_alu instid0(VALU_DEP_1) | instskip(NEXT) | instid1(VALU_DEP_3)
	v_mov_b32_e32 v11, v9
	v_lshl_add_u64 v[8:9], v[8:9], 3, s[6:7]
	s_delay_alu instid0(VALU_DEP_2) | instskip(NEXT) | instid1(VALU_DEP_1)
	v_lshl_add_u64 v[14:15], v[10:11], 3, s[0:1]
	v_dual_cndmask_b32 v9, v9, v15 :: v_dual_cndmask_b32 v8, v8, v14
	global_load_b64 v[8:9], v[8:9], off
.LBB123_17:
	s_wait_xcnt 0x0
	s_or_b32 exec_lo, exec_lo, s14
	v_lshlrev_b32_e32 v5, 1, v0
	s_mov_b32 s0, exec_lo
	s_wait_loadcnt_dscnt 0x0
	s_barrier_signal -1
	s_barrier_wait -1
	v_min_u32_e32 v11, v12, v5
	s_delay_alu instid0(VALU_DEP_1) | instskip(SKIP_1) | instid1(VALU_DEP_1)
	v_sub_nc_u32_e64 v10, v11, s11 clamp
	v_min_u32_e32 v13, s2, v11
	v_cmpx_lt_u32_e64 v10, v13
	s_cbranch_execz .LBB123_21
; %bb.18:
	v_lshlrev_b32_e32 v14, 2, v11
	s_mov_b32 s1, 0
	s_delay_alu instid0(VALU_DEP_1)
	v_lshl_add_u32 v14, s2, 2, v14
.LBB123_19:                             ; =>This Inner Loop Header: Depth=1
	v_add_nc_u32_e32 v15, v13, v10
	s_delay_alu instid0(VALU_DEP_1) | instskip(NEXT) | instid1(VALU_DEP_1)
	v_lshrrev_b32_e32 v15, 1, v15
	v_not_b32_e32 v16, v15
	v_lshlrev_b32_e32 v17, 2, v15
	s_delay_alu instid0(VALU_DEP_2)
	v_lshl_add_u32 v16, v16, 2, v14
	ds_load_b32 v17, v17
	ds_load_b32 v16, v16
	s_wait_dscnt 0x1
	v_and_b32_e32 v17, s3, v17
	s_wait_dscnt 0x0
	v_dual_add_nc_u32 v18, 1, v15 :: v_dual_bitop2_b32 v16, s3, v16 bitop3:0x40
	s_delay_alu instid0(VALU_DEP_1) | instskip(NEXT) | instid1(VALU_DEP_2)
	v_cmp_gt_u32_e32 vcc_lo, v17, v16
	v_dual_cndmask_b32 v13, v13, v15 :: v_dual_cndmask_b32 v10, v18, v10
	s_delay_alu instid0(VALU_DEP_1) | instskip(SKIP_1) | instid1(SALU_CYCLE_1)
	v_cmp_ge_u32_e32 vcc_lo, v10, v13
	s_or_b32 s1, vcc_lo, s1
	s_and_not1_b32 exec_lo, exec_lo, s1
	s_cbranch_execnz .LBB123_19
; %bb.20:
	s_or_b32 exec_lo, exec_lo, s1
.LBB123_21:
	s_delay_alu instid0(SALU_CYCLE_1) | instskip(SKIP_2) | instid1(VALU_DEP_2)
	s_or_b32 exec_lo, exec_lo, s0
	v_dual_mov_b32 v14, 0 :: v_dual_sub_nc_u32 v11, v11, v10
	v_cmp_ge_u32_e32 vcc_lo, s2, v10
	v_dual_mov_b32 v13, 0 :: v_dual_add_nc_u32 v11, s2, v11
	s_delay_alu instid0(VALU_DEP_1) | instskip(SKIP_1) | instid1(SALU_CYCLE_1)
	v_cmp_le_u32_e64 s0, v11, v12
	s_or_b32 s0, vcc_lo, s0
	s_and_saveexec_b32 s6, s0
	s_cbranch_execz .LBB123_27
; %bb.22:
	v_cmp_gt_u32_e32 vcc_lo, s2, v10
                                        ; implicit-def: $vgpr1
	s_and_saveexec_b32 s0, vcc_lo
; %bb.23:
	v_lshlrev_b32_e32 v1, 2, v10
	ds_load_b32 v1, v1
; %bb.24:
	s_or_b32 exec_lo, exec_lo, s0
	v_cmp_ge_u32_e64 s0, v11, v12
	s_mov_b32 s7, exec_lo
                                        ; implicit-def: $vgpr3
	v_cmpx_lt_u32_e64 v11, v12
; %bb.25:
	v_lshlrev_b32_e32 v3, 2, v11
	ds_load_b32 v3, v3
; %bb.26:
	s_or_b32 exec_lo, exec_lo, s7
	s_wait_dscnt 0x0
	v_and_b32_e32 v13, s3, v3
	v_and_b32_e32 v14, s3, v1
	s_delay_alu instid0(VALU_DEP_1) | instskip(SKIP_1) | instid1(SALU_CYCLE_1)
	v_cmp_le_u32_e64 s1, v14, v13
	s_and_b32 s1, vcc_lo, s1
	s_or_b32 vcc_lo, s0, s1
	v_cndmask_b32_e32 v13, v11, v10, vcc_lo
	v_cndmask_b32_e64 v14, v12, s2, vcc_lo
	s_delay_alu instid0(VALU_DEP_2) | instskip(NEXT) | instid1(VALU_DEP_1)
	v_add_nc_u32_e32 v15, 1, v13
	v_add_min_u32_e64 v14, v14, -1, v15
	s_delay_alu instid0(VALU_DEP_1) | instskip(SKIP_4) | instid1(VALU_DEP_2)
	v_lshlrev_b32_e32 v14, 2, v14
	ds_load_b32 v14, v14
	s_wait_dscnt 0x0
	v_dual_cndmask_b32 v16, v14, v3 :: v_dual_cndmask_b32 v17, v1, v14
	v_dual_cndmask_b32 v10, v10, v15 :: v_dual_cndmask_b32 v1, v3, v1
	v_dual_cndmask_b32 v11, v15, v11, vcc_lo :: v_dual_bitop2_b32 v14, s3, v16 bitop3:0x40
	s_delay_alu instid0(VALU_DEP_3) | instskip(NEXT) | instid1(VALU_DEP_3)
	v_and_b32_e32 v18, s3, v17
	v_cmp_gt_u32_e64 s0, s2, v10
	s_delay_alu instid0(VALU_DEP_3) | instskip(NEXT) | instid1(VALU_DEP_3)
	v_cmp_ge_u32_e64 s2, v11, v12
	v_cmp_le_u32_e64 s1, v18, v14
	s_and_b32 s0, s0, s1
	s_delay_alu instid0(SALU_CYCLE_1)
	s_or_b32 vcc_lo, s2, s0
	v_dual_cndmask_b32 v14, v11, v10 :: v_dual_cndmask_b32 v3, v16, v17
.LBB123_27:
	s_or_b32 exec_lo, exec_lo, s6
	v_lshl_add_u32 v15, v0, 2, v2
	s_barrier_signal -1
	s_barrier_wait -1
	ds_store_2addr_stride64_b64 v15, v[6:7], v[8:9] offset1:8
	v_dual_lshlrev_b32 v6, 3, v13 :: v_dual_lshlrev_b32 v8, 3, v14
	v_dual_lshrrev_b32 v10, 4, v0 :: v_dual_lshrrev_b32 v11, 5, v0
	s_wait_dscnt 0x0
	s_barrier_signal -1
	s_barrier_wait -1
	ds_load_b64 v[6:7], v6
	ds_load_b64 v[8:9], v8
	v_lshl_add_u32 v14, v10, 2, v15
	v_or_b32_e32 v12, 0x200, v0
	s_mov_b32 s13, 0
	s_wait_dscnt 0x0
	s_barrier_signal -1
	s_barrier_wait -1
	s_barrier_signal -1
	s_barrier_wait -1
	v_add_nc_u32_e32 v5, v10, v5
	ds_store_2addr_b32 v14, v1, v3 offset1:1
	v_dual_lshrrev_b32 v1, 5, v12 :: v_dual_mov_b32 v3, 0
	v_add_nc_u32_e32 v10, v11, v0
	s_lshl_b64 s[0:1], s[12:13], 2
	v_lshl_add_u32 v11, v11, 2, v2
	s_add_nc_u64 s[0:1], s[4:5], s[0:1]
	v_lshl_add_u32 v13, v1, 2, v2
	v_add_nc_u64_e32 v[2:3], s[0:1], v[2:3]
	v_lshl_add_u32 v5, v5, 2, v14
	v_lshl_add_u32 v1, v1, 3, v15
	s_and_b32 vcc_lo, exec_lo, s22
	s_mov_b32 s0, -1
	s_wait_dscnt 0x0
	s_cbranch_vccz .LBB123_29
; %bb.28:
	s_barrier_signal -1
	s_barrier_wait -1
	ds_load_b32 v14, v11
	ds_load_b32 v15, v13 offset:2048
	v_lshl_add_u32 v16, v10, 2, v11
	s_lshl_b64 s[0:1], s[12:13], 3
	s_wait_dscnt 0x1
	global_store_b32 v[2:3], v14, off
	s_wait_dscnt 0x0
	global_store_b32 v[2:3], v15, off offset:2048
	s_wait_storecnt 0x0
	s_barrier_signal -1
	s_barrier_wait -1
	ds_store_2addr_b64 v5, v[6:7], v[8:9] offset1:1
	s_wait_dscnt 0x0
	s_barrier_signal -1
	s_barrier_wait -1
	s_wait_xcnt 0x0
	ds_load_b64 v[14:15], v16
	ds_load_b64 v[16:17], v1 offset:4096
	s_add_nc_u64 s[2:3], s[8:9], s[0:1]
	s_mov_b32 s0, s13
	s_wait_dscnt 0x1
	global_store_b64 v0, v[14:15], s[2:3] scale_offset
	s_wait_dscnt 0x0
	global_store_b64 v0, v[16:17], s[2:3] offset:4096 scale_offset
.LBB123_29:
	s_and_not1_b32 vcc_lo, exec_lo, s0
	s_cbranch_vccnz .LBB123_38
; %bb.30:
	s_barrier_signal -1
	s_barrier_wait -1
	s_wait_storecnt 0x0
	ds_load_b32 v13, v13 offset:2048
	s_sub_co_i32 s0, s10, s12
	s_delay_alu instid0(SALU_CYCLE_1)
	v_cmp_gt_u32_e32 vcc_lo, s0, v0
	s_wait_xcnt 0x0
	s_and_saveexec_b32 s1, vcc_lo
	s_cbranch_execz .LBB123_32
; %bb.31:
	ds_load_b32 v0, v11
	s_wait_dscnt 0x0
	global_store_b32 v[2:3], v0, off
.LBB123_32:
	s_wait_xcnt 0x0
	s_or_b32 exec_lo, exec_lo, s1
	v_cmp_gt_u32_e64 s0, s0, v12
	s_and_saveexec_b32 s1, s0
	s_cbranch_execz .LBB123_34
; %bb.33:
	s_wait_dscnt 0x0
	global_store_b32 v[2:3], v13, off offset:2048
.LBB123_34:
	s_wait_xcnt 0x0
	s_or_b32 exec_lo, exec_lo, s1
	s_wait_storecnt_dscnt 0x0
	s_barrier_signal -1
	s_barrier_wait -1
	ds_store_2addr_b64 v5, v[6:7], v[8:9] offset1:1
	s_wait_dscnt 0x0
	s_barrier_signal -1
	s_barrier_wait -1
	ds_load_b64 v[0:1], v1 offset:4096
	v_mov_b32_e32 v5, 0
	s_lshl_b64 s[2:3], s[12:13], 3
	s_delay_alu instid0(SALU_CYCLE_1)
	s_add_nc_u64 s[2:3], s[8:9], s[2:3]
	s_delay_alu instid0(VALU_DEP_1) | instid1(SALU_CYCLE_1)
	v_add_nc_u64_e32 v[2:3], s[2:3], v[4:5]
	s_and_saveexec_b32 s1, vcc_lo
	s_cbranch_execz .LBB123_36
; %bb.35:
	v_lshl_add_u32 v4, v10, 2, v11
	ds_load_b64 v[4:5], v4
	s_wait_dscnt 0x0
	global_store_b64 v[2:3], v[4:5], off
.LBB123_36:
	s_wait_xcnt 0x0
	s_or_b32 exec_lo, exec_lo, s1
	s_and_saveexec_b32 s1, s0
	s_cbranch_execz .LBB123_38
; %bb.37:
	s_wait_dscnt 0x0
	global_store_b64 v[2:3], v[0:1], off offset:4096
.LBB123_38:
	s_endpgm
	.section	.rodata,"a",@progbits
	.p2align	6, 0x0
	.amdhsa_kernel _ZN7rocprim17ROCPRIM_400000_NS6detail17trampoline_kernelINS0_14default_configENS1_38merge_sort_block_merge_config_selectorIjN6thrust23THRUST_200600_302600_NS5tupleIffNS6_9null_typeES8_S8_S8_S8_S8_S8_S8_EEEEZZNS1_27merge_sort_block_merge_implIS3_NS6_6detail15normal_iteratorINS6_10device_ptrIjEEEENSD_INSE_IS9_EEEEjNS1_19radix_merge_compareILb0ELb1EjNS0_19identity_decomposerEEEEE10hipError_tT0_T1_T2_jT3_P12ihipStream_tbPNSt15iterator_traitsISN_E10value_typeEPNST_ISO_E10value_typeEPSP_NS1_7vsmem_tEENKUlT_SN_SO_SP_E_clISG_PjSI_PS9_EESM_S12_SN_SO_SP_EUlS12_E0_NS1_11comp_targetILNS1_3genE0ELNS1_11target_archE4294967295ELNS1_3gpuE0ELNS1_3repE0EEENS1_38merge_mergepath_config_static_selectorELNS0_4arch9wavefront6targetE0EEEvSO_
		.amdhsa_group_segment_fixed_size 8448
		.amdhsa_private_segment_fixed_size 0
		.amdhsa_kernarg_size 320
		.amdhsa_user_sgpr_count 2
		.amdhsa_user_sgpr_dispatch_ptr 0
		.amdhsa_user_sgpr_queue_ptr 0
		.amdhsa_user_sgpr_kernarg_segment_ptr 1
		.amdhsa_user_sgpr_dispatch_id 0
		.amdhsa_user_sgpr_kernarg_preload_length 0
		.amdhsa_user_sgpr_kernarg_preload_offset 0
		.amdhsa_user_sgpr_private_segment_size 0
		.amdhsa_wavefront_size32 1
		.amdhsa_uses_dynamic_stack 0
		.amdhsa_enable_private_segment 0
		.amdhsa_system_sgpr_workgroup_id_x 1
		.amdhsa_system_sgpr_workgroup_id_y 1
		.amdhsa_system_sgpr_workgroup_id_z 1
		.amdhsa_system_sgpr_workgroup_info 0
		.amdhsa_system_vgpr_workitem_id 0
		.amdhsa_next_free_vgpr 19
		.amdhsa_next_free_sgpr 32
		.amdhsa_named_barrier_count 0
		.amdhsa_reserve_vcc 1
		.amdhsa_float_round_mode_32 0
		.amdhsa_float_round_mode_16_64 0
		.amdhsa_float_denorm_mode_32 3
		.amdhsa_float_denorm_mode_16_64 3
		.amdhsa_fp16_overflow 0
		.amdhsa_memory_ordered 1
		.amdhsa_forward_progress 1
		.amdhsa_inst_pref_size 18
		.amdhsa_round_robin_scheduling 0
		.amdhsa_exception_fp_ieee_invalid_op 0
		.amdhsa_exception_fp_denorm_src 0
		.amdhsa_exception_fp_ieee_div_zero 0
		.amdhsa_exception_fp_ieee_overflow 0
		.amdhsa_exception_fp_ieee_underflow 0
		.amdhsa_exception_fp_ieee_inexact 0
		.amdhsa_exception_int_div_zero 0
	.end_amdhsa_kernel
	.section	.text._ZN7rocprim17ROCPRIM_400000_NS6detail17trampoline_kernelINS0_14default_configENS1_38merge_sort_block_merge_config_selectorIjN6thrust23THRUST_200600_302600_NS5tupleIffNS6_9null_typeES8_S8_S8_S8_S8_S8_S8_EEEEZZNS1_27merge_sort_block_merge_implIS3_NS6_6detail15normal_iteratorINS6_10device_ptrIjEEEENSD_INSE_IS9_EEEEjNS1_19radix_merge_compareILb0ELb1EjNS0_19identity_decomposerEEEEE10hipError_tT0_T1_T2_jT3_P12ihipStream_tbPNSt15iterator_traitsISN_E10value_typeEPNST_ISO_E10value_typeEPSP_NS1_7vsmem_tEENKUlT_SN_SO_SP_E_clISG_PjSI_PS9_EESM_S12_SN_SO_SP_EUlS12_E0_NS1_11comp_targetILNS1_3genE0ELNS1_11target_archE4294967295ELNS1_3gpuE0ELNS1_3repE0EEENS1_38merge_mergepath_config_static_selectorELNS0_4arch9wavefront6targetE0EEEvSO_,"axG",@progbits,_ZN7rocprim17ROCPRIM_400000_NS6detail17trampoline_kernelINS0_14default_configENS1_38merge_sort_block_merge_config_selectorIjN6thrust23THRUST_200600_302600_NS5tupleIffNS6_9null_typeES8_S8_S8_S8_S8_S8_S8_EEEEZZNS1_27merge_sort_block_merge_implIS3_NS6_6detail15normal_iteratorINS6_10device_ptrIjEEEENSD_INSE_IS9_EEEEjNS1_19radix_merge_compareILb0ELb1EjNS0_19identity_decomposerEEEEE10hipError_tT0_T1_T2_jT3_P12ihipStream_tbPNSt15iterator_traitsISN_E10value_typeEPNST_ISO_E10value_typeEPSP_NS1_7vsmem_tEENKUlT_SN_SO_SP_E_clISG_PjSI_PS9_EESM_S12_SN_SO_SP_EUlS12_E0_NS1_11comp_targetILNS1_3genE0ELNS1_11target_archE4294967295ELNS1_3gpuE0ELNS1_3repE0EEENS1_38merge_mergepath_config_static_selectorELNS0_4arch9wavefront6targetE0EEEvSO_,comdat
.Lfunc_end123:
	.size	_ZN7rocprim17ROCPRIM_400000_NS6detail17trampoline_kernelINS0_14default_configENS1_38merge_sort_block_merge_config_selectorIjN6thrust23THRUST_200600_302600_NS5tupleIffNS6_9null_typeES8_S8_S8_S8_S8_S8_S8_EEEEZZNS1_27merge_sort_block_merge_implIS3_NS6_6detail15normal_iteratorINS6_10device_ptrIjEEEENSD_INSE_IS9_EEEEjNS1_19radix_merge_compareILb0ELb1EjNS0_19identity_decomposerEEEEE10hipError_tT0_T1_T2_jT3_P12ihipStream_tbPNSt15iterator_traitsISN_E10value_typeEPNST_ISO_E10value_typeEPSP_NS1_7vsmem_tEENKUlT_SN_SO_SP_E_clISG_PjSI_PS9_EESM_S12_SN_SO_SP_EUlS12_E0_NS1_11comp_targetILNS1_3genE0ELNS1_11target_archE4294967295ELNS1_3gpuE0ELNS1_3repE0EEENS1_38merge_mergepath_config_static_selectorELNS0_4arch9wavefront6targetE0EEEvSO_, .Lfunc_end123-_ZN7rocprim17ROCPRIM_400000_NS6detail17trampoline_kernelINS0_14default_configENS1_38merge_sort_block_merge_config_selectorIjN6thrust23THRUST_200600_302600_NS5tupleIffNS6_9null_typeES8_S8_S8_S8_S8_S8_S8_EEEEZZNS1_27merge_sort_block_merge_implIS3_NS6_6detail15normal_iteratorINS6_10device_ptrIjEEEENSD_INSE_IS9_EEEEjNS1_19radix_merge_compareILb0ELb1EjNS0_19identity_decomposerEEEEE10hipError_tT0_T1_T2_jT3_P12ihipStream_tbPNSt15iterator_traitsISN_E10value_typeEPNST_ISO_E10value_typeEPSP_NS1_7vsmem_tEENKUlT_SN_SO_SP_E_clISG_PjSI_PS9_EESM_S12_SN_SO_SP_EUlS12_E0_NS1_11comp_targetILNS1_3genE0ELNS1_11target_archE4294967295ELNS1_3gpuE0ELNS1_3repE0EEENS1_38merge_mergepath_config_static_selectorELNS0_4arch9wavefront6targetE0EEEvSO_
                                        ; -- End function
	.set _ZN7rocprim17ROCPRIM_400000_NS6detail17trampoline_kernelINS0_14default_configENS1_38merge_sort_block_merge_config_selectorIjN6thrust23THRUST_200600_302600_NS5tupleIffNS6_9null_typeES8_S8_S8_S8_S8_S8_S8_EEEEZZNS1_27merge_sort_block_merge_implIS3_NS6_6detail15normal_iteratorINS6_10device_ptrIjEEEENSD_INSE_IS9_EEEEjNS1_19radix_merge_compareILb0ELb1EjNS0_19identity_decomposerEEEEE10hipError_tT0_T1_T2_jT3_P12ihipStream_tbPNSt15iterator_traitsISN_E10value_typeEPNST_ISO_E10value_typeEPSP_NS1_7vsmem_tEENKUlT_SN_SO_SP_E_clISG_PjSI_PS9_EESM_S12_SN_SO_SP_EUlS12_E0_NS1_11comp_targetILNS1_3genE0ELNS1_11target_archE4294967295ELNS1_3gpuE0ELNS1_3repE0EEENS1_38merge_mergepath_config_static_selectorELNS0_4arch9wavefront6targetE0EEEvSO_.num_vgpr, 19
	.set _ZN7rocprim17ROCPRIM_400000_NS6detail17trampoline_kernelINS0_14default_configENS1_38merge_sort_block_merge_config_selectorIjN6thrust23THRUST_200600_302600_NS5tupleIffNS6_9null_typeES8_S8_S8_S8_S8_S8_S8_EEEEZZNS1_27merge_sort_block_merge_implIS3_NS6_6detail15normal_iteratorINS6_10device_ptrIjEEEENSD_INSE_IS9_EEEEjNS1_19radix_merge_compareILb0ELb1EjNS0_19identity_decomposerEEEEE10hipError_tT0_T1_T2_jT3_P12ihipStream_tbPNSt15iterator_traitsISN_E10value_typeEPNST_ISO_E10value_typeEPSP_NS1_7vsmem_tEENKUlT_SN_SO_SP_E_clISG_PjSI_PS9_EESM_S12_SN_SO_SP_EUlS12_E0_NS1_11comp_targetILNS1_3genE0ELNS1_11target_archE4294967295ELNS1_3gpuE0ELNS1_3repE0EEENS1_38merge_mergepath_config_static_selectorELNS0_4arch9wavefront6targetE0EEEvSO_.num_agpr, 0
	.set _ZN7rocprim17ROCPRIM_400000_NS6detail17trampoline_kernelINS0_14default_configENS1_38merge_sort_block_merge_config_selectorIjN6thrust23THRUST_200600_302600_NS5tupleIffNS6_9null_typeES8_S8_S8_S8_S8_S8_S8_EEEEZZNS1_27merge_sort_block_merge_implIS3_NS6_6detail15normal_iteratorINS6_10device_ptrIjEEEENSD_INSE_IS9_EEEEjNS1_19radix_merge_compareILb0ELb1EjNS0_19identity_decomposerEEEEE10hipError_tT0_T1_T2_jT3_P12ihipStream_tbPNSt15iterator_traitsISN_E10value_typeEPNST_ISO_E10value_typeEPSP_NS1_7vsmem_tEENKUlT_SN_SO_SP_E_clISG_PjSI_PS9_EESM_S12_SN_SO_SP_EUlS12_E0_NS1_11comp_targetILNS1_3genE0ELNS1_11target_archE4294967295ELNS1_3gpuE0ELNS1_3repE0EEENS1_38merge_mergepath_config_static_selectorELNS0_4arch9wavefront6targetE0EEEvSO_.numbered_sgpr, 32
	.set _ZN7rocprim17ROCPRIM_400000_NS6detail17trampoline_kernelINS0_14default_configENS1_38merge_sort_block_merge_config_selectorIjN6thrust23THRUST_200600_302600_NS5tupleIffNS6_9null_typeES8_S8_S8_S8_S8_S8_S8_EEEEZZNS1_27merge_sort_block_merge_implIS3_NS6_6detail15normal_iteratorINS6_10device_ptrIjEEEENSD_INSE_IS9_EEEEjNS1_19radix_merge_compareILb0ELb1EjNS0_19identity_decomposerEEEEE10hipError_tT0_T1_T2_jT3_P12ihipStream_tbPNSt15iterator_traitsISN_E10value_typeEPNST_ISO_E10value_typeEPSP_NS1_7vsmem_tEENKUlT_SN_SO_SP_E_clISG_PjSI_PS9_EESM_S12_SN_SO_SP_EUlS12_E0_NS1_11comp_targetILNS1_3genE0ELNS1_11target_archE4294967295ELNS1_3gpuE0ELNS1_3repE0EEENS1_38merge_mergepath_config_static_selectorELNS0_4arch9wavefront6targetE0EEEvSO_.num_named_barrier, 0
	.set _ZN7rocprim17ROCPRIM_400000_NS6detail17trampoline_kernelINS0_14default_configENS1_38merge_sort_block_merge_config_selectorIjN6thrust23THRUST_200600_302600_NS5tupleIffNS6_9null_typeES8_S8_S8_S8_S8_S8_S8_EEEEZZNS1_27merge_sort_block_merge_implIS3_NS6_6detail15normal_iteratorINS6_10device_ptrIjEEEENSD_INSE_IS9_EEEEjNS1_19radix_merge_compareILb0ELb1EjNS0_19identity_decomposerEEEEE10hipError_tT0_T1_T2_jT3_P12ihipStream_tbPNSt15iterator_traitsISN_E10value_typeEPNST_ISO_E10value_typeEPSP_NS1_7vsmem_tEENKUlT_SN_SO_SP_E_clISG_PjSI_PS9_EESM_S12_SN_SO_SP_EUlS12_E0_NS1_11comp_targetILNS1_3genE0ELNS1_11target_archE4294967295ELNS1_3gpuE0ELNS1_3repE0EEENS1_38merge_mergepath_config_static_selectorELNS0_4arch9wavefront6targetE0EEEvSO_.private_seg_size, 0
	.set _ZN7rocprim17ROCPRIM_400000_NS6detail17trampoline_kernelINS0_14default_configENS1_38merge_sort_block_merge_config_selectorIjN6thrust23THRUST_200600_302600_NS5tupleIffNS6_9null_typeES8_S8_S8_S8_S8_S8_S8_EEEEZZNS1_27merge_sort_block_merge_implIS3_NS6_6detail15normal_iteratorINS6_10device_ptrIjEEEENSD_INSE_IS9_EEEEjNS1_19radix_merge_compareILb0ELb1EjNS0_19identity_decomposerEEEEE10hipError_tT0_T1_T2_jT3_P12ihipStream_tbPNSt15iterator_traitsISN_E10value_typeEPNST_ISO_E10value_typeEPSP_NS1_7vsmem_tEENKUlT_SN_SO_SP_E_clISG_PjSI_PS9_EESM_S12_SN_SO_SP_EUlS12_E0_NS1_11comp_targetILNS1_3genE0ELNS1_11target_archE4294967295ELNS1_3gpuE0ELNS1_3repE0EEENS1_38merge_mergepath_config_static_selectorELNS0_4arch9wavefront6targetE0EEEvSO_.uses_vcc, 1
	.set _ZN7rocprim17ROCPRIM_400000_NS6detail17trampoline_kernelINS0_14default_configENS1_38merge_sort_block_merge_config_selectorIjN6thrust23THRUST_200600_302600_NS5tupleIffNS6_9null_typeES8_S8_S8_S8_S8_S8_S8_EEEEZZNS1_27merge_sort_block_merge_implIS3_NS6_6detail15normal_iteratorINS6_10device_ptrIjEEEENSD_INSE_IS9_EEEEjNS1_19radix_merge_compareILb0ELb1EjNS0_19identity_decomposerEEEEE10hipError_tT0_T1_T2_jT3_P12ihipStream_tbPNSt15iterator_traitsISN_E10value_typeEPNST_ISO_E10value_typeEPSP_NS1_7vsmem_tEENKUlT_SN_SO_SP_E_clISG_PjSI_PS9_EESM_S12_SN_SO_SP_EUlS12_E0_NS1_11comp_targetILNS1_3genE0ELNS1_11target_archE4294967295ELNS1_3gpuE0ELNS1_3repE0EEENS1_38merge_mergepath_config_static_selectorELNS0_4arch9wavefront6targetE0EEEvSO_.uses_flat_scratch, 0
	.set _ZN7rocprim17ROCPRIM_400000_NS6detail17trampoline_kernelINS0_14default_configENS1_38merge_sort_block_merge_config_selectorIjN6thrust23THRUST_200600_302600_NS5tupleIffNS6_9null_typeES8_S8_S8_S8_S8_S8_S8_EEEEZZNS1_27merge_sort_block_merge_implIS3_NS6_6detail15normal_iteratorINS6_10device_ptrIjEEEENSD_INSE_IS9_EEEEjNS1_19radix_merge_compareILb0ELb1EjNS0_19identity_decomposerEEEEE10hipError_tT0_T1_T2_jT3_P12ihipStream_tbPNSt15iterator_traitsISN_E10value_typeEPNST_ISO_E10value_typeEPSP_NS1_7vsmem_tEENKUlT_SN_SO_SP_E_clISG_PjSI_PS9_EESM_S12_SN_SO_SP_EUlS12_E0_NS1_11comp_targetILNS1_3genE0ELNS1_11target_archE4294967295ELNS1_3gpuE0ELNS1_3repE0EEENS1_38merge_mergepath_config_static_selectorELNS0_4arch9wavefront6targetE0EEEvSO_.has_dyn_sized_stack, 0
	.set _ZN7rocprim17ROCPRIM_400000_NS6detail17trampoline_kernelINS0_14default_configENS1_38merge_sort_block_merge_config_selectorIjN6thrust23THRUST_200600_302600_NS5tupleIffNS6_9null_typeES8_S8_S8_S8_S8_S8_S8_EEEEZZNS1_27merge_sort_block_merge_implIS3_NS6_6detail15normal_iteratorINS6_10device_ptrIjEEEENSD_INSE_IS9_EEEEjNS1_19radix_merge_compareILb0ELb1EjNS0_19identity_decomposerEEEEE10hipError_tT0_T1_T2_jT3_P12ihipStream_tbPNSt15iterator_traitsISN_E10value_typeEPNST_ISO_E10value_typeEPSP_NS1_7vsmem_tEENKUlT_SN_SO_SP_E_clISG_PjSI_PS9_EESM_S12_SN_SO_SP_EUlS12_E0_NS1_11comp_targetILNS1_3genE0ELNS1_11target_archE4294967295ELNS1_3gpuE0ELNS1_3repE0EEENS1_38merge_mergepath_config_static_selectorELNS0_4arch9wavefront6targetE0EEEvSO_.has_recursion, 0
	.set _ZN7rocprim17ROCPRIM_400000_NS6detail17trampoline_kernelINS0_14default_configENS1_38merge_sort_block_merge_config_selectorIjN6thrust23THRUST_200600_302600_NS5tupleIffNS6_9null_typeES8_S8_S8_S8_S8_S8_S8_EEEEZZNS1_27merge_sort_block_merge_implIS3_NS6_6detail15normal_iteratorINS6_10device_ptrIjEEEENSD_INSE_IS9_EEEEjNS1_19radix_merge_compareILb0ELb1EjNS0_19identity_decomposerEEEEE10hipError_tT0_T1_T2_jT3_P12ihipStream_tbPNSt15iterator_traitsISN_E10value_typeEPNST_ISO_E10value_typeEPSP_NS1_7vsmem_tEENKUlT_SN_SO_SP_E_clISG_PjSI_PS9_EESM_S12_SN_SO_SP_EUlS12_E0_NS1_11comp_targetILNS1_3genE0ELNS1_11target_archE4294967295ELNS1_3gpuE0ELNS1_3repE0EEENS1_38merge_mergepath_config_static_selectorELNS0_4arch9wavefront6targetE0EEEvSO_.has_indirect_call, 0
	.section	.AMDGPU.csdata,"",@progbits
; Kernel info:
; codeLenInByte = 2196
; TotalNumSgprs: 34
; NumVgprs: 19
; ScratchSize: 0
; MemoryBound: 0
; FloatMode: 240
; IeeeMode: 1
; LDSByteSize: 8448 bytes/workgroup (compile time only)
; SGPRBlocks: 0
; VGPRBlocks: 1
; NumSGPRsForWavesPerEU: 34
; NumVGPRsForWavesPerEU: 19
; NamedBarCnt: 0
; Occupancy: 16
; WaveLimiterHint : 1
; COMPUTE_PGM_RSRC2:SCRATCH_EN: 0
; COMPUTE_PGM_RSRC2:USER_SGPR: 2
; COMPUTE_PGM_RSRC2:TRAP_HANDLER: 0
; COMPUTE_PGM_RSRC2:TGID_X_EN: 1
; COMPUTE_PGM_RSRC2:TGID_Y_EN: 1
; COMPUTE_PGM_RSRC2:TGID_Z_EN: 1
; COMPUTE_PGM_RSRC2:TIDIG_COMP_CNT: 0
	.section	.text._ZN7rocprim17ROCPRIM_400000_NS6detail17trampoline_kernelINS0_14default_configENS1_38merge_sort_block_merge_config_selectorIjN6thrust23THRUST_200600_302600_NS5tupleIffNS6_9null_typeES8_S8_S8_S8_S8_S8_S8_EEEEZZNS1_27merge_sort_block_merge_implIS3_NS6_6detail15normal_iteratorINS6_10device_ptrIjEEEENSD_INSE_IS9_EEEEjNS1_19radix_merge_compareILb0ELb1EjNS0_19identity_decomposerEEEEE10hipError_tT0_T1_T2_jT3_P12ihipStream_tbPNSt15iterator_traitsISN_E10value_typeEPNST_ISO_E10value_typeEPSP_NS1_7vsmem_tEENKUlT_SN_SO_SP_E_clISG_PjSI_PS9_EESM_S12_SN_SO_SP_EUlS12_E0_NS1_11comp_targetILNS1_3genE10ELNS1_11target_archE1201ELNS1_3gpuE5ELNS1_3repE0EEENS1_38merge_mergepath_config_static_selectorELNS0_4arch9wavefront6targetE0EEEvSO_,"axG",@progbits,_ZN7rocprim17ROCPRIM_400000_NS6detail17trampoline_kernelINS0_14default_configENS1_38merge_sort_block_merge_config_selectorIjN6thrust23THRUST_200600_302600_NS5tupleIffNS6_9null_typeES8_S8_S8_S8_S8_S8_S8_EEEEZZNS1_27merge_sort_block_merge_implIS3_NS6_6detail15normal_iteratorINS6_10device_ptrIjEEEENSD_INSE_IS9_EEEEjNS1_19radix_merge_compareILb0ELb1EjNS0_19identity_decomposerEEEEE10hipError_tT0_T1_T2_jT3_P12ihipStream_tbPNSt15iterator_traitsISN_E10value_typeEPNST_ISO_E10value_typeEPSP_NS1_7vsmem_tEENKUlT_SN_SO_SP_E_clISG_PjSI_PS9_EESM_S12_SN_SO_SP_EUlS12_E0_NS1_11comp_targetILNS1_3genE10ELNS1_11target_archE1201ELNS1_3gpuE5ELNS1_3repE0EEENS1_38merge_mergepath_config_static_selectorELNS0_4arch9wavefront6targetE0EEEvSO_,comdat
	.protected	_ZN7rocprim17ROCPRIM_400000_NS6detail17trampoline_kernelINS0_14default_configENS1_38merge_sort_block_merge_config_selectorIjN6thrust23THRUST_200600_302600_NS5tupleIffNS6_9null_typeES8_S8_S8_S8_S8_S8_S8_EEEEZZNS1_27merge_sort_block_merge_implIS3_NS6_6detail15normal_iteratorINS6_10device_ptrIjEEEENSD_INSE_IS9_EEEEjNS1_19radix_merge_compareILb0ELb1EjNS0_19identity_decomposerEEEEE10hipError_tT0_T1_T2_jT3_P12ihipStream_tbPNSt15iterator_traitsISN_E10value_typeEPNST_ISO_E10value_typeEPSP_NS1_7vsmem_tEENKUlT_SN_SO_SP_E_clISG_PjSI_PS9_EESM_S12_SN_SO_SP_EUlS12_E0_NS1_11comp_targetILNS1_3genE10ELNS1_11target_archE1201ELNS1_3gpuE5ELNS1_3repE0EEENS1_38merge_mergepath_config_static_selectorELNS0_4arch9wavefront6targetE0EEEvSO_ ; -- Begin function _ZN7rocprim17ROCPRIM_400000_NS6detail17trampoline_kernelINS0_14default_configENS1_38merge_sort_block_merge_config_selectorIjN6thrust23THRUST_200600_302600_NS5tupleIffNS6_9null_typeES8_S8_S8_S8_S8_S8_S8_EEEEZZNS1_27merge_sort_block_merge_implIS3_NS6_6detail15normal_iteratorINS6_10device_ptrIjEEEENSD_INSE_IS9_EEEEjNS1_19radix_merge_compareILb0ELb1EjNS0_19identity_decomposerEEEEE10hipError_tT0_T1_T2_jT3_P12ihipStream_tbPNSt15iterator_traitsISN_E10value_typeEPNST_ISO_E10value_typeEPSP_NS1_7vsmem_tEENKUlT_SN_SO_SP_E_clISG_PjSI_PS9_EESM_S12_SN_SO_SP_EUlS12_E0_NS1_11comp_targetILNS1_3genE10ELNS1_11target_archE1201ELNS1_3gpuE5ELNS1_3repE0EEENS1_38merge_mergepath_config_static_selectorELNS0_4arch9wavefront6targetE0EEEvSO_
	.globl	_ZN7rocprim17ROCPRIM_400000_NS6detail17trampoline_kernelINS0_14default_configENS1_38merge_sort_block_merge_config_selectorIjN6thrust23THRUST_200600_302600_NS5tupleIffNS6_9null_typeES8_S8_S8_S8_S8_S8_S8_EEEEZZNS1_27merge_sort_block_merge_implIS3_NS6_6detail15normal_iteratorINS6_10device_ptrIjEEEENSD_INSE_IS9_EEEEjNS1_19radix_merge_compareILb0ELb1EjNS0_19identity_decomposerEEEEE10hipError_tT0_T1_T2_jT3_P12ihipStream_tbPNSt15iterator_traitsISN_E10value_typeEPNST_ISO_E10value_typeEPSP_NS1_7vsmem_tEENKUlT_SN_SO_SP_E_clISG_PjSI_PS9_EESM_S12_SN_SO_SP_EUlS12_E0_NS1_11comp_targetILNS1_3genE10ELNS1_11target_archE1201ELNS1_3gpuE5ELNS1_3repE0EEENS1_38merge_mergepath_config_static_selectorELNS0_4arch9wavefront6targetE0EEEvSO_
	.p2align	8
	.type	_ZN7rocprim17ROCPRIM_400000_NS6detail17trampoline_kernelINS0_14default_configENS1_38merge_sort_block_merge_config_selectorIjN6thrust23THRUST_200600_302600_NS5tupleIffNS6_9null_typeES8_S8_S8_S8_S8_S8_S8_EEEEZZNS1_27merge_sort_block_merge_implIS3_NS6_6detail15normal_iteratorINS6_10device_ptrIjEEEENSD_INSE_IS9_EEEEjNS1_19radix_merge_compareILb0ELb1EjNS0_19identity_decomposerEEEEE10hipError_tT0_T1_T2_jT3_P12ihipStream_tbPNSt15iterator_traitsISN_E10value_typeEPNST_ISO_E10value_typeEPSP_NS1_7vsmem_tEENKUlT_SN_SO_SP_E_clISG_PjSI_PS9_EESM_S12_SN_SO_SP_EUlS12_E0_NS1_11comp_targetILNS1_3genE10ELNS1_11target_archE1201ELNS1_3gpuE5ELNS1_3repE0EEENS1_38merge_mergepath_config_static_selectorELNS0_4arch9wavefront6targetE0EEEvSO_,@function
_ZN7rocprim17ROCPRIM_400000_NS6detail17trampoline_kernelINS0_14default_configENS1_38merge_sort_block_merge_config_selectorIjN6thrust23THRUST_200600_302600_NS5tupleIffNS6_9null_typeES8_S8_S8_S8_S8_S8_S8_EEEEZZNS1_27merge_sort_block_merge_implIS3_NS6_6detail15normal_iteratorINS6_10device_ptrIjEEEENSD_INSE_IS9_EEEEjNS1_19radix_merge_compareILb0ELb1EjNS0_19identity_decomposerEEEEE10hipError_tT0_T1_T2_jT3_P12ihipStream_tbPNSt15iterator_traitsISN_E10value_typeEPNST_ISO_E10value_typeEPSP_NS1_7vsmem_tEENKUlT_SN_SO_SP_E_clISG_PjSI_PS9_EESM_S12_SN_SO_SP_EUlS12_E0_NS1_11comp_targetILNS1_3genE10ELNS1_11target_archE1201ELNS1_3gpuE5ELNS1_3repE0EEENS1_38merge_mergepath_config_static_selectorELNS0_4arch9wavefront6targetE0EEEvSO_: ; @_ZN7rocprim17ROCPRIM_400000_NS6detail17trampoline_kernelINS0_14default_configENS1_38merge_sort_block_merge_config_selectorIjN6thrust23THRUST_200600_302600_NS5tupleIffNS6_9null_typeES8_S8_S8_S8_S8_S8_S8_EEEEZZNS1_27merge_sort_block_merge_implIS3_NS6_6detail15normal_iteratorINS6_10device_ptrIjEEEENSD_INSE_IS9_EEEEjNS1_19radix_merge_compareILb0ELb1EjNS0_19identity_decomposerEEEEE10hipError_tT0_T1_T2_jT3_P12ihipStream_tbPNSt15iterator_traitsISN_E10value_typeEPNST_ISO_E10value_typeEPSP_NS1_7vsmem_tEENKUlT_SN_SO_SP_E_clISG_PjSI_PS9_EESM_S12_SN_SO_SP_EUlS12_E0_NS1_11comp_targetILNS1_3genE10ELNS1_11target_archE1201ELNS1_3gpuE5ELNS1_3repE0EEENS1_38merge_mergepath_config_static_selectorELNS0_4arch9wavefront6targetE0EEEvSO_
; %bb.0:
	.section	.rodata,"a",@progbits
	.p2align	6, 0x0
	.amdhsa_kernel _ZN7rocprim17ROCPRIM_400000_NS6detail17trampoline_kernelINS0_14default_configENS1_38merge_sort_block_merge_config_selectorIjN6thrust23THRUST_200600_302600_NS5tupleIffNS6_9null_typeES8_S8_S8_S8_S8_S8_S8_EEEEZZNS1_27merge_sort_block_merge_implIS3_NS6_6detail15normal_iteratorINS6_10device_ptrIjEEEENSD_INSE_IS9_EEEEjNS1_19radix_merge_compareILb0ELb1EjNS0_19identity_decomposerEEEEE10hipError_tT0_T1_T2_jT3_P12ihipStream_tbPNSt15iterator_traitsISN_E10value_typeEPNST_ISO_E10value_typeEPSP_NS1_7vsmem_tEENKUlT_SN_SO_SP_E_clISG_PjSI_PS9_EESM_S12_SN_SO_SP_EUlS12_E0_NS1_11comp_targetILNS1_3genE10ELNS1_11target_archE1201ELNS1_3gpuE5ELNS1_3repE0EEENS1_38merge_mergepath_config_static_selectorELNS0_4arch9wavefront6targetE0EEEvSO_
		.amdhsa_group_segment_fixed_size 0
		.amdhsa_private_segment_fixed_size 0
		.amdhsa_kernarg_size 64
		.amdhsa_user_sgpr_count 2
		.amdhsa_user_sgpr_dispatch_ptr 0
		.amdhsa_user_sgpr_queue_ptr 0
		.amdhsa_user_sgpr_kernarg_segment_ptr 1
		.amdhsa_user_sgpr_dispatch_id 0
		.amdhsa_user_sgpr_kernarg_preload_length 0
		.amdhsa_user_sgpr_kernarg_preload_offset 0
		.amdhsa_user_sgpr_private_segment_size 0
		.amdhsa_wavefront_size32 1
		.amdhsa_uses_dynamic_stack 0
		.amdhsa_enable_private_segment 0
		.amdhsa_system_sgpr_workgroup_id_x 1
		.amdhsa_system_sgpr_workgroup_id_y 0
		.amdhsa_system_sgpr_workgroup_id_z 0
		.amdhsa_system_sgpr_workgroup_info 0
		.amdhsa_system_vgpr_workitem_id 0
		.amdhsa_next_free_vgpr 1
		.amdhsa_next_free_sgpr 1
		.amdhsa_named_barrier_count 0
		.amdhsa_reserve_vcc 0
		.amdhsa_float_round_mode_32 0
		.amdhsa_float_round_mode_16_64 0
		.amdhsa_float_denorm_mode_32 3
		.amdhsa_float_denorm_mode_16_64 3
		.amdhsa_fp16_overflow 0
		.amdhsa_memory_ordered 1
		.amdhsa_forward_progress 1
		.amdhsa_inst_pref_size 0
		.amdhsa_round_robin_scheduling 0
		.amdhsa_exception_fp_ieee_invalid_op 0
		.amdhsa_exception_fp_denorm_src 0
		.amdhsa_exception_fp_ieee_div_zero 0
		.amdhsa_exception_fp_ieee_overflow 0
		.amdhsa_exception_fp_ieee_underflow 0
		.amdhsa_exception_fp_ieee_inexact 0
		.amdhsa_exception_int_div_zero 0
	.end_amdhsa_kernel
	.section	.text._ZN7rocprim17ROCPRIM_400000_NS6detail17trampoline_kernelINS0_14default_configENS1_38merge_sort_block_merge_config_selectorIjN6thrust23THRUST_200600_302600_NS5tupleIffNS6_9null_typeES8_S8_S8_S8_S8_S8_S8_EEEEZZNS1_27merge_sort_block_merge_implIS3_NS6_6detail15normal_iteratorINS6_10device_ptrIjEEEENSD_INSE_IS9_EEEEjNS1_19radix_merge_compareILb0ELb1EjNS0_19identity_decomposerEEEEE10hipError_tT0_T1_T2_jT3_P12ihipStream_tbPNSt15iterator_traitsISN_E10value_typeEPNST_ISO_E10value_typeEPSP_NS1_7vsmem_tEENKUlT_SN_SO_SP_E_clISG_PjSI_PS9_EESM_S12_SN_SO_SP_EUlS12_E0_NS1_11comp_targetILNS1_3genE10ELNS1_11target_archE1201ELNS1_3gpuE5ELNS1_3repE0EEENS1_38merge_mergepath_config_static_selectorELNS0_4arch9wavefront6targetE0EEEvSO_,"axG",@progbits,_ZN7rocprim17ROCPRIM_400000_NS6detail17trampoline_kernelINS0_14default_configENS1_38merge_sort_block_merge_config_selectorIjN6thrust23THRUST_200600_302600_NS5tupleIffNS6_9null_typeES8_S8_S8_S8_S8_S8_S8_EEEEZZNS1_27merge_sort_block_merge_implIS3_NS6_6detail15normal_iteratorINS6_10device_ptrIjEEEENSD_INSE_IS9_EEEEjNS1_19radix_merge_compareILb0ELb1EjNS0_19identity_decomposerEEEEE10hipError_tT0_T1_T2_jT3_P12ihipStream_tbPNSt15iterator_traitsISN_E10value_typeEPNST_ISO_E10value_typeEPSP_NS1_7vsmem_tEENKUlT_SN_SO_SP_E_clISG_PjSI_PS9_EESM_S12_SN_SO_SP_EUlS12_E0_NS1_11comp_targetILNS1_3genE10ELNS1_11target_archE1201ELNS1_3gpuE5ELNS1_3repE0EEENS1_38merge_mergepath_config_static_selectorELNS0_4arch9wavefront6targetE0EEEvSO_,comdat
.Lfunc_end124:
	.size	_ZN7rocprim17ROCPRIM_400000_NS6detail17trampoline_kernelINS0_14default_configENS1_38merge_sort_block_merge_config_selectorIjN6thrust23THRUST_200600_302600_NS5tupleIffNS6_9null_typeES8_S8_S8_S8_S8_S8_S8_EEEEZZNS1_27merge_sort_block_merge_implIS3_NS6_6detail15normal_iteratorINS6_10device_ptrIjEEEENSD_INSE_IS9_EEEEjNS1_19radix_merge_compareILb0ELb1EjNS0_19identity_decomposerEEEEE10hipError_tT0_T1_T2_jT3_P12ihipStream_tbPNSt15iterator_traitsISN_E10value_typeEPNST_ISO_E10value_typeEPSP_NS1_7vsmem_tEENKUlT_SN_SO_SP_E_clISG_PjSI_PS9_EESM_S12_SN_SO_SP_EUlS12_E0_NS1_11comp_targetILNS1_3genE10ELNS1_11target_archE1201ELNS1_3gpuE5ELNS1_3repE0EEENS1_38merge_mergepath_config_static_selectorELNS0_4arch9wavefront6targetE0EEEvSO_, .Lfunc_end124-_ZN7rocprim17ROCPRIM_400000_NS6detail17trampoline_kernelINS0_14default_configENS1_38merge_sort_block_merge_config_selectorIjN6thrust23THRUST_200600_302600_NS5tupleIffNS6_9null_typeES8_S8_S8_S8_S8_S8_S8_EEEEZZNS1_27merge_sort_block_merge_implIS3_NS6_6detail15normal_iteratorINS6_10device_ptrIjEEEENSD_INSE_IS9_EEEEjNS1_19radix_merge_compareILb0ELb1EjNS0_19identity_decomposerEEEEE10hipError_tT0_T1_T2_jT3_P12ihipStream_tbPNSt15iterator_traitsISN_E10value_typeEPNST_ISO_E10value_typeEPSP_NS1_7vsmem_tEENKUlT_SN_SO_SP_E_clISG_PjSI_PS9_EESM_S12_SN_SO_SP_EUlS12_E0_NS1_11comp_targetILNS1_3genE10ELNS1_11target_archE1201ELNS1_3gpuE5ELNS1_3repE0EEENS1_38merge_mergepath_config_static_selectorELNS0_4arch9wavefront6targetE0EEEvSO_
                                        ; -- End function
	.set _ZN7rocprim17ROCPRIM_400000_NS6detail17trampoline_kernelINS0_14default_configENS1_38merge_sort_block_merge_config_selectorIjN6thrust23THRUST_200600_302600_NS5tupleIffNS6_9null_typeES8_S8_S8_S8_S8_S8_S8_EEEEZZNS1_27merge_sort_block_merge_implIS3_NS6_6detail15normal_iteratorINS6_10device_ptrIjEEEENSD_INSE_IS9_EEEEjNS1_19radix_merge_compareILb0ELb1EjNS0_19identity_decomposerEEEEE10hipError_tT0_T1_T2_jT3_P12ihipStream_tbPNSt15iterator_traitsISN_E10value_typeEPNST_ISO_E10value_typeEPSP_NS1_7vsmem_tEENKUlT_SN_SO_SP_E_clISG_PjSI_PS9_EESM_S12_SN_SO_SP_EUlS12_E0_NS1_11comp_targetILNS1_3genE10ELNS1_11target_archE1201ELNS1_3gpuE5ELNS1_3repE0EEENS1_38merge_mergepath_config_static_selectorELNS0_4arch9wavefront6targetE0EEEvSO_.num_vgpr, 0
	.set _ZN7rocprim17ROCPRIM_400000_NS6detail17trampoline_kernelINS0_14default_configENS1_38merge_sort_block_merge_config_selectorIjN6thrust23THRUST_200600_302600_NS5tupleIffNS6_9null_typeES8_S8_S8_S8_S8_S8_S8_EEEEZZNS1_27merge_sort_block_merge_implIS3_NS6_6detail15normal_iteratorINS6_10device_ptrIjEEEENSD_INSE_IS9_EEEEjNS1_19radix_merge_compareILb0ELb1EjNS0_19identity_decomposerEEEEE10hipError_tT0_T1_T2_jT3_P12ihipStream_tbPNSt15iterator_traitsISN_E10value_typeEPNST_ISO_E10value_typeEPSP_NS1_7vsmem_tEENKUlT_SN_SO_SP_E_clISG_PjSI_PS9_EESM_S12_SN_SO_SP_EUlS12_E0_NS1_11comp_targetILNS1_3genE10ELNS1_11target_archE1201ELNS1_3gpuE5ELNS1_3repE0EEENS1_38merge_mergepath_config_static_selectorELNS0_4arch9wavefront6targetE0EEEvSO_.num_agpr, 0
	.set _ZN7rocprim17ROCPRIM_400000_NS6detail17trampoline_kernelINS0_14default_configENS1_38merge_sort_block_merge_config_selectorIjN6thrust23THRUST_200600_302600_NS5tupleIffNS6_9null_typeES8_S8_S8_S8_S8_S8_S8_EEEEZZNS1_27merge_sort_block_merge_implIS3_NS6_6detail15normal_iteratorINS6_10device_ptrIjEEEENSD_INSE_IS9_EEEEjNS1_19radix_merge_compareILb0ELb1EjNS0_19identity_decomposerEEEEE10hipError_tT0_T1_T2_jT3_P12ihipStream_tbPNSt15iterator_traitsISN_E10value_typeEPNST_ISO_E10value_typeEPSP_NS1_7vsmem_tEENKUlT_SN_SO_SP_E_clISG_PjSI_PS9_EESM_S12_SN_SO_SP_EUlS12_E0_NS1_11comp_targetILNS1_3genE10ELNS1_11target_archE1201ELNS1_3gpuE5ELNS1_3repE0EEENS1_38merge_mergepath_config_static_selectorELNS0_4arch9wavefront6targetE0EEEvSO_.numbered_sgpr, 0
	.set _ZN7rocprim17ROCPRIM_400000_NS6detail17trampoline_kernelINS0_14default_configENS1_38merge_sort_block_merge_config_selectorIjN6thrust23THRUST_200600_302600_NS5tupleIffNS6_9null_typeES8_S8_S8_S8_S8_S8_S8_EEEEZZNS1_27merge_sort_block_merge_implIS3_NS6_6detail15normal_iteratorINS6_10device_ptrIjEEEENSD_INSE_IS9_EEEEjNS1_19radix_merge_compareILb0ELb1EjNS0_19identity_decomposerEEEEE10hipError_tT0_T1_T2_jT3_P12ihipStream_tbPNSt15iterator_traitsISN_E10value_typeEPNST_ISO_E10value_typeEPSP_NS1_7vsmem_tEENKUlT_SN_SO_SP_E_clISG_PjSI_PS9_EESM_S12_SN_SO_SP_EUlS12_E0_NS1_11comp_targetILNS1_3genE10ELNS1_11target_archE1201ELNS1_3gpuE5ELNS1_3repE0EEENS1_38merge_mergepath_config_static_selectorELNS0_4arch9wavefront6targetE0EEEvSO_.num_named_barrier, 0
	.set _ZN7rocprim17ROCPRIM_400000_NS6detail17trampoline_kernelINS0_14default_configENS1_38merge_sort_block_merge_config_selectorIjN6thrust23THRUST_200600_302600_NS5tupleIffNS6_9null_typeES8_S8_S8_S8_S8_S8_S8_EEEEZZNS1_27merge_sort_block_merge_implIS3_NS6_6detail15normal_iteratorINS6_10device_ptrIjEEEENSD_INSE_IS9_EEEEjNS1_19radix_merge_compareILb0ELb1EjNS0_19identity_decomposerEEEEE10hipError_tT0_T1_T2_jT3_P12ihipStream_tbPNSt15iterator_traitsISN_E10value_typeEPNST_ISO_E10value_typeEPSP_NS1_7vsmem_tEENKUlT_SN_SO_SP_E_clISG_PjSI_PS9_EESM_S12_SN_SO_SP_EUlS12_E0_NS1_11comp_targetILNS1_3genE10ELNS1_11target_archE1201ELNS1_3gpuE5ELNS1_3repE0EEENS1_38merge_mergepath_config_static_selectorELNS0_4arch9wavefront6targetE0EEEvSO_.private_seg_size, 0
	.set _ZN7rocprim17ROCPRIM_400000_NS6detail17trampoline_kernelINS0_14default_configENS1_38merge_sort_block_merge_config_selectorIjN6thrust23THRUST_200600_302600_NS5tupleIffNS6_9null_typeES8_S8_S8_S8_S8_S8_S8_EEEEZZNS1_27merge_sort_block_merge_implIS3_NS6_6detail15normal_iteratorINS6_10device_ptrIjEEEENSD_INSE_IS9_EEEEjNS1_19radix_merge_compareILb0ELb1EjNS0_19identity_decomposerEEEEE10hipError_tT0_T1_T2_jT3_P12ihipStream_tbPNSt15iterator_traitsISN_E10value_typeEPNST_ISO_E10value_typeEPSP_NS1_7vsmem_tEENKUlT_SN_SO_SP_E_clISG_PjSI_PS9_EESM_S12_SN_SO_SP_EUlS12_E0_NS1_11comp_targetILNS1_3genE10ELNS1_11target_archE1201ELNS1_3gpuE5ELNS1_3repE0EEENS1_38merge_mergepath_config_static_selectorELNS0_4arch9wavefront6targetE0EEEvSO_.uses_vcc, 0
	.set _ZN7rocprim17ROCPRIM_400000_NS6detail17trampoline_kernelINS0_14default_configENS1_38merge_sort_block_merge_config_selectorIjN6thrust23THRUST_200600_302600_NS5tupleIffNS6_9null_typeES8_S8_S8_S8_S8_S8_S8_EEEEZZNS1_27merge_sort_block_merge_implIS3_NS6_6detail15normal_iteratorINS6_10device_ptrIjEEEENSD_INSE_IS9_EEEEjNS1_19radix_merge_compareILb0ELb1EjNS0_19identity_decomposerEEEEE10hipError_tT0_T1_T2_jT3_P12ihipStream_tbPNSt15iterator_traitsISN_E10value_typeEPNST_ISO_E10value_typeEPSP_NS1_7vsmem_tEENKUlT_SN_SO_SP_E_clISG_PjSI_PS9_EESM_S12_SN_SO_SP_EUlS12_E0_NS1_11comp_targetILNS1_3genE10ELNS1_11target_archE1201ELNS1_3gpuE5ELNS1_3repE0EEENS1_38merge_mergepath_config_static_selectorELNS0_4arch9wavefront6targetE0EEEvSO_.uses_flat_scratch, 0
	.set _ZN7rocprim17ROCPRIM_400000_NS6detail17trampoline_kernelINS0_14default_configENS1_38merge_sort_block_merge_config_selectorIjN6thrust23THRUST_200600_302600_NS5tupleIffNS6_9null_typeES8_S8_S8_S8_S8_S8_S8_EEEEZZNS1_27merge_sort_block_merge_implIS3_NS6_6detail15normal_iteratorINS6_10device_ptrIjEEEENSD_INSE_IS9_EEEEjNS1_19radix_merge_compareILb0ELb1EjNS0_19identity_decomposerEEEEE10hipError_tT0_T1_T2_jT3_P12ihipStream_tbPNSt15iterator_traitsISN_E10value_typeEPNST_ISO_E10value_typeEPSP_NS1_7vsmem_tEENKUlT_SN_SO_SP_E_clISG_PjSI_PS9_EESM_S12_SN_SO_SP_EUlS12_E0_NS1_11comp_targetILNS1_3genE10ELNS1_11target_archE1201ELNS1_3gpuE5ELNS1_3repE0EEENS1_38merge_mergepath_config_static_selectorELNS0_4arch9wavefront6targetE0EEEvSO_.has_dyn_sized_stack, 0
	.set _ZN7rocprim17ROCPRIM_400000_NS6detail17trampoline_kernelINS0_14default_configENS1_38merge_sort_block_merge_config_selectorIjN6thrust23THRUST_200600_302600_NS5tupleIffNS6_9null_typeES8_S8_S8_S8_S8_S8_S8_EEEEZZNS1_27merge_sort_block_merge_implIS3_NS6_6detail15normal_iteratorINS6_10device_ptrIjEEEENSD_INSE_IS9_EEEEjNS1_19radix_merge_compareILb0ELb1EjNS0_19identity_decomposerEEEEE10hipError_tT0_T1_T2_jT3_P12ihipStream_tbPNSt15iterator_traitsISN_E10value_typeEPNST_ISO_E10value_typeEPSP_NS1_7vsmem_tEENKUlT_SN_SO_SP_E_clISG_PjSI_PS9_EESM_S12_SN_SO_SP_EUlS12_E0_NS1_11comp_targetILNS1_3genE10ELNS1_11target_archE1201ELNS1_3gpuE5ELNS1_3repE0EEENS1_38merge_mergepath_config_static_selectorELNS0_4arch9wavefront6targetE0EEEvSO_.has_recursion, 0
	.set _ZN7rocprim17ROCPRIM_400000_NS6detail17trampoline_kernelINS0_14default_configENS1_38merge_sort_block_merge_config_selectorIjN6thrust23THRUST_200600_302600_NS5tupleIffNS6_9null_typeES8_S8_S8_S8_S8_S8_S8_EEEEZZNS1_27merge_sort_block_merge_implIS3_NS6_6detail15normal_iteratorINS6_10device_ptrIjEEEENSD_INSE_IS9_EEEEjNS1_19radix_merge_compareILb0ELb1EjNS0_19identity_decomposerEEEEE10hipError_tT0_T1_T2_jT3_P12ihipStream_tbPNSt15iterator_traitsISN_E10value_typeEPNST_ISO_E10value_typeEPSP_NS1_7vsmem_tEENKUlT_SN_SO_SP_E_clISG_PjSI_PS9_EESM_S12_SN_SO_SP_EUlS12_E0_NS1_11comp_targetILNS1_3genE10ELNS1_11target_archE1201ELNS1_3gpuE5ELNS1_3repE0EEENS1_38merge_mergepath_config_static_selectorELNS0_4arch9wavefront6targetE0EEEvSO_.has_indirect_call, 0
	.section	.AMDGPU.csdata,"",@progbits
; Kernel info:
; codeLenInByte = 0
; TotalNumSgprs: 0
; NumVgprs: 0
; ScratchSize: 0
; MemoryBound: 0
; FloatMode: 240
; IeeeMode: 1
; LDSByteSize: 0 bytes/workgroup (compile time only)
; SGPRBlocks: 0
; VGPRBlocks: 0
; NumSGPRsForWavesPerEU: 1
; NumVGPRsForWavesPerEU: 1
; NamedBarCnt: 0
; Occupancy: 16
; WaveLimiterHint : 0
; COMPUTE_PGM_RSRC2:SCRATCH_EN: 0
; COMPUTE_PGM_RSRC2:USER_SGPR: 2
; COMPUTE_PGM_RSRC2:TRAP_HANDLER: 0
; COMPUTE_PGM_RSRC2:TGID_X_EN: 1
; COMPUTE_PGM_RSRC2:TGID_Y_EN: 0
; COMPUTE_PGM_RSRC2:TGID_Z_EN: 0
; COMPUTE_PGM_RSRC2:TIDIG_COMP_CNT: 0
	.section	.text._ZN7rocprim17ROCPRIM_400000_NS6detail17trampoline_kernelINS0_14default_configENS1_38merge_sort_block_merge_config_selectorIjN6thrust23THRUST_200600_302600_NS5tupleIffNS6_9null_typeES8_S8_S8_S8_S8_S8_S8_EEEEZZNS1_27merge_sort_block_merge_implIS3_NS6_6detail15normal_iteratorINS6_10device_ptrIjEEEENSD_INSE_IS9_EEEEjNS1_19radix_merge_compareILb0ELb1EjNS0_19identity_decomposerEEEEE10hipError_tT0_T1_T2_jT3_P12ihipStream_tbPNSt15iterator_traitsISN_E10value_typeEPNST_ISO_E10value_typeEPSP_NS1_7vsmem_tEENKUlT_SN_SO_SP_E_clISG_PjSI_PS9_EESM_S12_SN_SO_SP_EUlS12_E0_NS1_11comp_targetILNS1_3genE5ELNS1_11target_archE942ELNS1_3gpuE9ELNS1_3repE0EEENS1_38merge_mergepath_config_static_selectorELNS0_4arch9wavefront6targetE0EEEvSO_,"axG",@progbits,_ZN7rocprim17ROCPRIM_400000_NS6detail17trampoline_kernelINS0_14default_configENS1_38merge_sort_block_merge_config_selectorIjN6thrust23THRUST_200600_302600_NS5tupleIffNS6_9null_typeES8_S8_S8_S8_S8_S8_S8_EEEEZZNS1_27merge_sort_block_merge_implIS3_NS6_6detail15normal_iteratorINS6_10device_ptrIjEEEENSD_INSE_IS9_EEEEjNS1_19radix_merge_compareILb0ELb1EjNS0_19identity_decomposerEEEEE10hipError_tT0_T1_T2_jT3_P12ihipStream_tbPNSt15iterator_traitsISN_E10value_typeEPNST_ISO_E10value_typeEPSP_NS1_7vsmem_tEENKUlT_SN_SO_SP_E_clISG_PjSI_PS9_EESM_S12_SN_SO_SP_EUlS12_E0_NS1_11comp_targetILNS1_3genE5ELNS1_11target_archE942ELNS1_3gpuE9ELNS1_3repE0EEENS1_38merge_mergepath_config_static_selectorELNS0_4arch9wavefront6targetE0EEEvSO_,comdat
	.protected	_ZN7rocprim17ROCPRIM_400000_NS6detail17trampoline_kernelINS0_14default_configENS1_38merge_sort_block_merge_config_selectorIjN6thrust23THRUST_200600_302600_NS5tupleIffNS6_9null_typeES8_S8_S8_S8_S8_S8_S8_EEEEZZNS1_27merge_sort_block_merge_implIS3_NS6_6detail15normal_iteratorINS6_10device_ptrIjEEEENSD_INSE_IS9_EEEEjNS1_19radix_merge_compareILb0ELb1EjNS0_19identity_decomposerEEEEE10hipError_tT0_T1_T2_jT3_P12ihipStream_tbPNSt15iterator_traitsISN_E10value_typeEPNST_ISO_E10value_typeEPSP_NS1_7vsmem_tEENKUlT_SN_SO_SP_E_clISG_PjSI_PS9_EESM_S12_SN_SO_SP_EUlS12_E0_NS1_11comp_targetILNS1_3genE5ELNS1_11target_archE942ELNS1_3gpuE9ELNS1_3repE0EEENS1_38merge_mergepath_config_static_selectorELNS0_4arch9wavefront6targetE0EEEvSO_ ; -- Begin function _ZN7rocprim17ROCPRIM_400000_NS6detail17trampoline_kernelINS0_14default_configENS1_38merge_sort_block_merge_config_selectorIjN6thrust23THRUST_200600_302600_NS5tupleIffNS6_9null_typeES8_S8_S8_S8_S8_S8_S8_EEEEZZNS1_27merge_sort_block_merge_implIS3_NS6_6detail15normal_iteratorINS6_10device_ptrIjEEEENSD_INSE_IS9_EEEEjNS1_19radix_merge_compareILb0ELb1EjNS0_19identity_decomposerEEEEE10hipError_tT0_T1_T2_jT3_P12ihipStream_tbPNSt15iterator_traitsISN_E10value_typeEPNST_ISO_E10value_typeEPSP_NS1_7vsmem_tEENKUlT_SN_SO_SP_E_clISG_PjSI_PS9_EESM_S12_SN_SO_SP_EUlS12_E0_NS1_11comp_targetILNS1_3genE5ELNS1_11target_archE942ELNS1_3gpuE9ELNS1_3repE0EEENS1_38merge_mergepath_config_static_selectorELNS0_4arch9wavefront6targetE0EEEvSO_
	.globl	_ZN7rocprim17ROCPRIM_400000_NS6detail17trampoline_kernelINS0_14default_configENS1_38merge_sort_block_merge_config_selectorIjN6thrust23THRUST_200600_302600_NS5tupleIffNS6_9null_typeES8_S8_S8_S8_S8_S8_S8_EEEEZZNS1_27merge_sort_block_merge_implIS3_NS6_6detail15normal_iteratorINS6_10device_ptrIjEEEENSD_INSE_IS9_EEEEjNS1_19radix_merge_compareILb0ELb1EjNS0_19identity_decomposerEEEEE10hipError_tT0_T1_T2_jT3_P12ihipStream_tbPNSt15iterator_traitsISN_E10value_typeEPNST_ISO_E10value_typeEPSP_NS1_7vsmem_tEENKUlT_SN_SO_SP_E_clISG_PjSI_PS9_EESM_S12_SN_SO_SP_EUlS12_E0_NS1_11comp_targetILNS1_3genE5ELNS1_11target_archE942ELNS1_3gpuE9ELNS1_3repE0EEENS1_38merge_mergepath_config_static_selectorELNS0_4arch9wavefront6targetE0EEEvSO_
	.p2align	8
	.type	_ZN7rocprim17ROCPRIM_400000_NS6detail17trampoline_kernelINS0_14default_configENS1_38merge_sort_block_merge_config_selectorIjN6thrust23THRUST_200600_302600_NS5tupleIffNS6_9null_typeES8_S8_S8_S8_S8_S8_S8_EEEEZZNS1_27merge_sort_block_merge_implIS3_NS6_6detail15normal_iteratorINS6_10device_ptrIjEEEENSD_INSE_IS9_EEEEjNS1_19radix_merge_compareILb0ELb1EjNS0_19identity_decomposerEEEEE10hipError_tT0_T1_T2_jT3_P12ihipStream_tbPNSt15iterator_traitsISN_E10value_typeEPNST_ISO_E10value_typeEPSP_NS1_7vsmem_tEENKUlT_SN_SO_SP_E_clISG_PjSI_PS9_EESM_S12_SN_SO_SP_EUlS12_E0_NS1_11comp_targetILNS1_3genE5ELNS1_11target_archE942ELNS1_3gpuE9ELNS1_3repE0EEENS1_38merge_mergepath_config_static_selectorELNS0_4arch9wavefront6targetE0EEEvSO_,@function
_ZN7rocprim17ROCPRIM_400000_NS6detail17trampoline_kernelINS0_14default_configENS1_38merge_sort_block_merge_config_selectorIjN6thrust23THRUST_200600_302600_NS5tupleIffNS6_9null_typeES8_S8_S8_S8_S8_S8_S8_EEEEZZNS1_27merge_sort_block_merge_implIS3_NS6_6detail15normal_iteratorINS6_10device_ptrIjEEEENSD_INSE_IS9_EEEEjNS1_19radix_merge_compareILb0ELb1EjNS0_19identity_decomposerEEEEE10hipError_tT0_T1_T2_jT3_P12ihipStream_tbPNSt15iterator_traitsISN_E10value_typeEPNST_ISO_E10value_typeEPSP_NS1_7vsmem_tEENKUlT_SN_SO_SP_E_clISG_PjSI_PS9_EESM_S12_SN_SO_SP_EUlS12_E0_NS1_11comp_targetILNS1_3genE5ELNS1_11target_archE942ELNS1_3gpuE9ELNS1_3repE0EEENS1_38merge_mergepath_config_static_selectorELNS0_4arch9wavefront6targetE0EEEvSO_: ; @_ZN7rocprim17ROCPRIM_400000_NS6detail17trampoline_kernelINS0_14default_configENS1_38merge_sort_block_merge_config_selectorIjN6thrust23THRUST_200600_302600_NS5tupleIffNS6_9null_typeES8_S8_S8_S8_S8_S8_S8_EEEEZZNS1_27merge_sort_block_merge_implIS3_NS6_6detail15normal_iteratorINS6_10device_ptrIjEEEENSD_INSE_IS9_EEEEjNS1_19radix_merge_compareILb0ELb1EjNS0_19identity_decomposerEEEEE10hipError_tT0_T1_T2_jT3_P12ihipStream_tbPNSt15iterator_traitsISN_E10value_typeEPNST_ISO_E10value_typeEPSP_NS1_7vsmem_tEENKUlT_SN_SO_SP_E_clISG_PjSI_PS9_EESM_S12_SN_SO_SP_EUlS12_E0_NS1_11comp_targetILNS1_3genE5ELNS1_11target_archE942ELNS1_3gpuE9ELNS1_3repE0EEENS1_38merge_mergepath_config_static_selectorELNS0_4arch9wavefront6targetE0EEEvSO_
; %bb.0:
	.section	.rodata,"a",@progbits
	.p2align	6, 0x0
	.amdhsa_kernel _ZN7rocprim17ROCPRIM_400000_NS6detail17trampoline_kernelINS0_14default_configENS1_38merge_sort_block_merge_config_selectorIjN6thrust23THRUST_200600_302600_NS5tupleIffNS6_9null_typeES8_S8_S8_S8_S8_S8_S8_EEEEZZNS1_27merge_sort_block_merge_implIS3_NS6_6detail15normal_iteratorINS6_10device_ptrIjEEEENSD_INSE_IS9_EEEEjNS1_19radix_merge_compareILb0ELb1EjNS0_19identity_decomposerEEEEE10hipError_tT0_T1_T2_jT3_P12ihipStream_tbPNSt15iterator_traitsISN_E10value_typeEPNST_ISO_E10value_typeEPSP_NS1_7vsmem_tEENKUlT_SN_SO_SP_E_clISG_PjSI_PS9_EESM_S12_SN_SO_SP_EUlS12_E0_NS1_11comp_targetILNS1_3genE5ELNS1_11target_archE942ELNS1_3gpuE9ELNS1_3repE0EEENS1_38merge_mergepath_config_static_selectorELNS0_4arch9wavefront6targetE0EEEvSO_
		.amdhsa_group_segment_fixed_size 0
		.amdhsa_private_segment_fixed_size 0
		.amdhsa_kernarg_size 64
		.amdhsa_user_sgpr_count 2
		.amdhsa_user_sgpr_dispatch_ptr 0
		.amdhsa_user_sgpr_queue_ptr 0
		.amdhsa_user_sgpr_kernarg_segment_ptr 1
		.amdhsa_user_sgpr_dispatch_id 0
		.amdhsa_user_sgpr_kernarg_preload_length 0
		.amdhsa_user_sgpr_kernarg_preload_offset 0
		.amdhsa_user_sgpr_private_segment_size 0
		.amdhsa_wavefront_size32 1
		.amdhsa_uses_dynamic_stack 0
		.amdhsa_enable_private_segment 0
		.amdhsa_system_sgpr_workgroup_id_x 1
		.amdhsa_system_sgpr_workgroup_id_y 0
		.amdhsa_system_sgpr_workgroup_id_z 0
		.amdhsa_system_sgpr_workgroup_info 0
		.amdhsa_system_vgpr_workitem_id 0
		.amdhsa_next_free_vgpr 1
		.amdhsa_next_free_sgpr 1
		.amdhsa_named_barrier_count 0
		.amdhsa_reserve_vcc 0
		.amdhsa_float_round_mode_32 0
		.amdhsa_float_round_mode_16_64 0
		.amdhsa_float_denorm_mode_32 3
		.amdhsa_float_denorm_mode_16_64 3
		.amdhsa_fp16_overflow 0
		.amdhsa_memory_ordered 1
		.amdhsa_forward_progress 1
		.amdhsa_inst_pref_size 0
		.amdhsa_round_robin_scheduling 0
		.amdhsa_exception_fp_ieee_invalid_op 0
		.amdhsa_exception_fp_denorm_src 0
		.amdhsa_exception_fp_ieee_div_zero 0
		.amdhsa_exception_fp_ieee_overflow 0
		.amdhsa_exception_fp_ieee_underflow 0
		.amdhsa_exception_fp_ieee_inexact 0
		.amdhsa_exception_int_div_zero 0
	.end_amdhsa_kernel
	.section	.text._ZN7rocprim17ROCPRIM_400000_NS6detail17trampoline_kernelINS0_14default_configENS1_38merge_sort_block_merge_config_selectorIjN6thrust23THRUST_200600_302600_NS5tupleIffNS6_9null_typeES8_S8_S8_S8_S8_S8_S8_EEEEZZNS1_27merge_sort_block_merge_implIS3_NS6_6detail15normal_iteratorINS6_10device_ptrIjEEEENSD_INSE_IS9_EEEEjNS1_19radix_merge_compareILb0ELb1EjNS0_19identity_decomposerEEEEE10hipError_tT0_T1_T2_jT3_P12ihipStream_tbPNSt15iterator_traitsISN_E10value_typeEPNST_ISO_E10value_typeEPSP_NS1_7vsmem_tEENKUlT_SN_SO_SP_E_clISG_PjSI_PS9_EESM_S12_SN_SO_SP_EUlS12_E0_NS1_11comp_targetILNS1_3genE5ELNS1_11target_archE942ELNS1_3gpuE9ELNS1_3repE0EEENS1_38merge_mergepath_config_static_selectorELNS0_4arch9wavefront6targetE0EEEvSO_,"axG",@progbits,_ZN7rocprim17ROCPRIM_400000_NS6detail17trampoline_kernelINS0_14default_configENS1_38merge_sort_block_merge_config_selectorIjN6thrust23THRUST_200600_302600_NS5tupleIffNS6_9null_typeES8_S8_S8_S8_S8_S8_S8_EEEEZZNS1_27merge_sort_block_merge_implIS3_NS6_6detail15normal_iteratorINS6_10device_ptrIjEEEENSD_INSE_IS9_EEEEjNS1_19radix_merge_compareILb0ELb1EjNS0_19identity_decomposerEEEEE10hipError_tT0_T1_T2_jT3_P12ihipStream_tbPNSt15iterator_traitsISN_E10value_typeEPNST_ISO_E10value_typeEPSP_NS1_7vsmem_tEENKUlT_SN_SO_SP_E_clISG_PjSI_PS9_EESM_S12_SN_SO_SP_EUlS12_E0_NS1_11comp_targetILNS1_3genE5ELNS1_11target_archE942ELNS1_3gpuE9ELNS1_3repE0EEENS1_38merge_mergepath_config_static_selectorELNS0_4arch9wavefront6targetE0EEEvSO_,comdat
.Lfunc_end125:
	.size	_ZN7rocprim17ROCPRIM_400000_NS6detail17trampoline_kernelINS0_14default_configENS1_38merge_sort_block_merge_config_selectorIjN6thrust23THRUST_200600_302600_NS5tupleIffNS6_9null_typeES8_S8_S8_S8_S8_S8_S8_EEEEZZNS1_27merge_sort_block_merge_implIS3_NS6_6detail15normal_iteratorINS6_10device_ptrIjEEEENSD_INSE_IS9_EEEEjNS1_19radix_merge_compareILb0ELb1EjNS0_19identity_decomposerEEEEE10hipError_tT0_T1_T2_jT3_P12ihipStream_tbPNSt15iterator_traitsISN_E10value_typeEPNST_ISO_E10value_typeEPSP_NS1_7vsmem_tEENKUlT_SN_SO_SP_E_clISG_PjSI_PS9_EESM_S12_SN_SO_SP_EUlS12_E0_NS1_11comp_targetILNS1_3genE5ELNS1_11target_archE942ELNS1_3gpuE9ELNS1_3repE0EEENS1_38merge_mergepath_config_static_selectorELNS0_4arch9wavefront6targetE0EEEvSO_, .Lfunc_end125-_ZN7rocprim17ROCPRIM_400000_NS6detail17trampoline_kernelINS0_14default_configENS1_38merge_sort_block_merge_config_selectorIjN6thrust23THRUST_200600_302600_NS5tupleIffNS6_9null_typeES8_S8_S8_S8_S8_S8_S8_EEEEZZNS1_27merge_sort_block_merge_implIS3_NS6_6detail15normal_iteratorINS6_10device_ptrIjEEEENSD_INSE_IS9_EEEEjNS1_19radix_merge_compareILb0ELb1EjNS0_19identity_decomposerEEEEE10hipError_tT0_T1_T2_jT3_P12ihipStream_tbPNSt15iterator_traitsISN_E10value_typeEPNST_ISO_E10value_typeEPSP_NS1_7vsmem_tEENKUlT_SN_SO_SP_E_clISG_PjSI_PS9_EESM_S12_SN_SO_SP_EUlS12_E0_NS1_11comp_targetILNS1_3genE5ELNS1_11target_archE942ELNS1_3gpuE9ELNS1_3repE0EEENS1_38merge_mergepath_config_static_selectorELNS0_4arch9wavefront6targetE0EEEvSO_
                                        ; -- End function
	.set _ZN7rocprim17ROCPRIM_400000_NS6detail17trampoline_kernelINS0_14default_configENS1_38merge_sort_block_merge_config_selectorIjN6thrust23THRUST_200600_302600_NS5tupleIffNS6_9null_typeES8_S8_S8_S8_S8_S8_S8_EEEEZZNS1_27merge_sort_block_merge_implIS3_NS6_6detail15normal_iteratorINS6_10device_ptrIjEEEENSD_INSE_IS9_EEEEjNS1_19radix_merge_compareILb0ELb1EjNS0_19identity_decomposerEEEEE10hipError_tT0_T1_T2_jT3_P12ihipStream_tbPNSt15iterator_traitsISN_E10value_typeEPNST_ISO_E10value_typeEPSP_NS1_7vsmem_tEENKUlT_SN_SO_SP_E_clISG_PjSI_PS9_EESM_S12_SN_SO_SP_EUlS12_E0_NS1_11comp_targetILNS1_3genE5ELNS1_11target_archE942ELNS1_3gpuE9ELNS1_3repE0EEENS1_38merge_mergepath_config_static_selectorELNS0_4arch9wavefront6targetE0EEEvSO_.num_vgpr, 0
	.set _ZN7rocprim17ROCPRIM_400000_NS6detail17trampoline_kernelINS0_14default_configENS1_38merge_sort_block_merge_config_selectorIjN6thrust23THRUST_200600_302600_NS5tupleIffNS6_9null_typeES8_S8_S8_S8_S8_S8_S8_EEEEZZNS1_27merge_sort_block_merge_implIS3_NS6_6detail15normal_iteratorINS6_10device_ptrIjEEEENSD_INSE_IS9_EEEEjNS1_19radix_merge_compareILb0ELb1EjNS0_19identity_decomposerEEEEE10hipError_tT0_T1_T2_jT3_P12ihipStream_tbPNSt15iterator_traitsISN_E10value_typeEPNST_ISO_E10value_typeEPSP_NS1_7vsmem_tEENKUlT_SN_SO_SP_E_clISG_PjSI_PS9_EESM_S12_SN_SO_SP_EUlS12_E0_NS1_11comp_targetILNS1_3genE5ELNS1_11target_archE942ELNS1_3gpuE9ELNS1_3repE0EEENS1_38merge_mergepath_config_static_selectorELNS0_4arch9wavefront6targetE0EEEvSO_.num_agpr, 0
	.set _ZN7rocprim17ROCPRIM_400000_NS6detail17trampoline_kernelINS0_14default_configENS1_38merge_sort_block_merge_config_selectorIjN6thrust23THRUST_200600_302600_NS5tupleIffNS6_9null_typeES8_S8_S8_S8_S8_S8_S8_EEEEZZNS1_27merge_sort_block_merge_implIS3_NS6_6detail15normal_iteratorINS6_10device_ptrIjEEEENSD_INSE_IS9_EEEEjNS1_19radix_merge_compareILb0ELb1EjNS0_19identity_decomposerEEEEE10hipError_tT0_T1_T2_jT3_P12ihipStream_tbPNSt15iterator_traitsISN_E10value_typeEPNST_ISO_E10value_typeEPSP_NS1_7vsmem_tEENKUlT_SN_SO_SP_E_clISG_PjSI_PS9_EESM_S12_SN_SO_SP_EUlS12_E0_NS1_11comp_targetILNS1_3genE5ELNS1_11target_archE942ELNS1_3gpuE9ELNS1_3repE0EEENS1_38merge_mergepath_config_static_selectorELNS0_4arch9wavefront6targetE0EEEvSO_.numbered_sgpr, 0
	.set _ZN7rocprim17ROCPRIM_400000_NS6detail17trampoline_kernelINS0_14default_configENS1_38merge_sort_block_merge_config_selectorIjN6thrust23THRUST_200600_302600_NS5tupleIffNS6_9null_typeES8_S8_S8_S8_S8_S8_S8_EEEEZZNS1_27merge_sort_block_merge_implIS3_NS6_6detail15normal_iteratorINS6_10device_ptrIjEEEENSD_INSE_IS9_EEEEjNS1_19radix_merge_compareILb0ELb1EjNS0_19identity_decomposerEEEEE10hipError_tT0_T1_T2_jT3_P12ihipStream_tbPNSt15iterator_traitsISN_E10value_typeEPNST_ISO_E10value_typeEPSP_NS1_7vsmem_tEENKUlT_SN_SO_SP_E_clISG_PjSI_PS9_EESM_S12_SN_SO_SP_EUlS12_E0_NS1_11comp_targetILNS1_3genE5ELNS1_11target_archE942ELNS1_3gpuE9ELNS1_3repE0EEENS1_38merge_mergepath_config_static_selectorELNS0_4arch9wavefront6targetE0EEEvSO_.num_named_barrier, 0
	.set _ZN7rocprim17ROCPRIM_400000_NS6detail17trampoline_kernelINS0_14default_configENS1_38merge_sort_block_merge_config_selectorIjN6thrust23THRUST_200600_302600_NS5tupleIffNS6_9null_typeES8_S8_S8_S8_S8_S8_S8_EEEEZZNS1_27merge_sort_block_merge_implIS3_NS6_6detail15normal_iteratorINS6_10device_ptrIjEEEENSD_INSE_IS9_EEEEjNS1_19radix_merge_compareILb0ELb1EjNS0_19identity_decomposerEEEEE10hipError_tT0_T1_T2_jT3_P12ihipStream_tbPNSt15iterator_traitsISN_E10value_typeEPNST_ISO_E10value_typeEPSP_NS1_7vsmem_tEENKUlT_SN_SO_SP_E_clISG_PjSI_PS9_EESM_S12_SN_SO_SP_EUlS12_E0_NS1_11comp_targetILNS1_3genE5ELNS1_11target_archE942ELNS1_3gpuE9ELNS1_3repE0EEENS1_38merge_mergepath_config_static_selectorELNS0_4arch9wavefront6targetE0EEEvSO_.private_seg_size, 0
	.set _ZN7rocprim17ROCPRIM_400000_NS6detail17trampoline_kernelINS0_14default_configENS1_38merge_sort_block_merge_config_selectorIjN6thrust23THRUST_200600_302600_NS5tupleIffNS6_9null_typeES8_S8_S8_S8_S8_S8_S8_EEEEZZNS1_27merge_sort_block_merge_implIS3_NS6_6detail15normal_iteratorINS6_10device_ptrIjEEEENSD_INSE_IS9_EEEEjNS1_19radix_merge_compareILb0ELb1EjNS0_19identity_decomposerEEEEE10hipError_tT0_T1_T2_jT3_P12ihipStream_tbPNSt15iterator_traitsISN_E10value_typeEPNST_ISO_E10value_typeEPSP_NS1_7vsmem_tEENKUlT_SN_SO_SP_E_clISG_PjSI_PS9_EESM_S12_SN_SO_SP_EUlS12_E0_NS1_11comp_targetILNS1_3genE5ELNS1_11target_archE942ELNS1_3gpuE9ELNS1_3repE0EEENS1_38merge_mergepath_config_static_selectorELNS0_4arch9wavefront6targetE0EEEvSO_.uses_vcc, 0
	.set _ZN7rocprim17ROCPRIM_400000_NS6detail17trampoline_kernelINS0_14default_configENS1_38merge_sort_block_merge_config_selectorIjN6thrust23THRUST_200600_302600_NS5tupleIffNS6_9null_typeES8_S8_S8_S8_S8_S8_S8_EEEEZZNS1_27merge_sort_block_merge_implIS3_NS6_6detail15normal_iteratorINS6_10device_ptrIjEEEENSD_INSE_IS9_EEEEjNS1_19radix_merge_compareILb0ELb1EjNS0_19identity_decomposerEEEEE10hipError_tT0_T1_T2_jT3_P12ihipStream_tbPNSt15iterator_traitsISN_E10value_typeEPNST_ISO_E10value_typeEPSP_NS1_7vsmem_tEENKUlT_SN_SO_SP_E_clISG_PjSI_PS9_EESM_S12_SN_SO_SP_EUlS12_E0_NS1_11comp_targetILNS1_3genE5ELNS1_11target_archE942ELNS1_3gpuE9ELNS1_3repE0EEENS1_38merge_mergepath_config_static_selectorELNS0_4arch9wavefront6targetE0EEEvSO_.uses_flat_scratch, 0
	.set _ZN7rocprim17ROCPRIM_400000_NS6detail17trampoline_kernelINS0_14default_configENS1_38merge_sort_block_merge_config_selectorIjN6thrust23THRUST_200600_302600_NS5tupleIffNS6_9null_typeES8_S8_S8_S8_S8_S8_S8_EEEEZZNS1_27merge_sort_block_merge_implIS3_NS6_6detail15normal_iteratorINS6_10device_ptrIjEEEENSD_INSE_IS9_EEEEjNS1_19radix_merge_compareILb0ELb1EjNS0_19identity_decomposerEEEEE10hipError_tT0_T1_T2_jT3_P12ihipStream_tbPNSt15iterator_traitsISN_E10value_typeEPNST_ISO_E10value_typeEPSP_NS1_7vsmem_tEENKUlT_SN_SO_SP_E_clISG_PjSI_PS9_EESM_S12_SN_SO_SP_EUlS12_E0_NS1_11comp_targetILNS1_3genE5ELNS1_11target_archE942ELNS1_3gpuE9ELNS1_3repE0EEENS1_38merge_mergepath_config_static_selectorELNS0_4arch9wavefront6targetE0EEEvSO_.has_dyn_sized_stack, 0
	.set _ZN7rocprim17ROCPRIM_400000_NS6detail17trampoline_kernelINS0_14default_configENS1_38merge_sort_block_merge_config_selectorIjN6thrust23THRUST_200600_302600_NS5tupleIffNS6_9null_typeES8_S8_S8_S8_S8_S8_S8_EEEEZZNS1_27merge_sort_block_merge_implIS3_NS6_6detail15normal_iteratorINS6_10device_ptrIjEEEENSD_INSE_IS9_EEEEjNS1_19radix_merge_compareILb0ELb1EjNS0_19identity_decomposerEEEEE10hipError_tT0_T1_T2_jT3_P12ihipStream_tbPNSt15iterator_traitsISN_E10value_typeEPNST_ISO_E10value_typeEPSP_NS1_7vsmem_tEENKUlT_SN_SO_SP_E_clISG_PjSI_PS9_EESM_S12_SN_SO_SP_EUlS12_E0_NS1_11comp_targetILNS1_3genE5ELNS1_11target_archE942ELNS1_3gpuE9ELNS1_3repE0EEENS1_38merge_mergepath_config_static_selectorELNS0_4arch9wavefront6targetE0EEEvSO_.has_recursion, 0
	.set _ZN7rocprim17ROCPRIM_400000_NS6detail17trampoline_kernelINS0_14default_configENS1_38merge_sort_block_merge_config_selectorIjN6thrust23THRUST_200600_302600_NS5tupleIffNS6_9null_typeES8_S8_S8_S8_S8_S8_S8_EEEEZZNS1_27merge_sort_block_merge_implIS3_NS6_6detail15normal_iteratorINS6_10device_ptrIjEEEENSD_INSE_IS9_EEEEjNS1_19radix_merge_compareILb0ELb1EjNS0_19identity_decomposerEEEEE10hipError_tT0_T1_T2_jT3_P12ihipStream_tbPNSt15iterator_traitsISN_E10value_typeEPNST_ISO_E10value_typeEPSP_NS1_7vsmem_tEENKUlT_SN_SO_SP_E_clISG_PjSI_PS9_EESM_S12_SN_SO_SP_EUlS12_E0_NS1_11comp_targetILNS1_3genE5ELNS1_11target_archE942ELNS1_3gpuE9ELNS1_3repE0EEENS1_38merge_mergepath_config_static_selectorELNS0_4arch9wavefront6targetE0EEEvSO_.has_indirect_call, 0
	.section	.AMDGPU.csdata,"",@progbits
; Kernel info:
; codeLenInByte = 0
; TotalNumSgprs: 0
; NumVgprs: 0
; ScratchSize: 0
; MemoryBound: 0
; FloatMode: 240
; IeeeMode: 1
; LDSByteSize: 0 bytes/workgroup (compile time only)
; SGPRBlocks: 0
; VGPRBlocks: 0
; NumSGPRsForWavesPerEU: 1
; NumVGPRsForWavesPerEU: 1
; NamedBarCnt: 0
; Occupancy: 16
; WaveLimiterHint : 0
; COMPUTE_PGM_RSRC2:SCRATCH_EN: 0
; COMPUTE_PGM_RSRC2:USER_SGPR: 2
; COMPUTE_PGM_RSRC2:TRAP_HANDLER: 0
; COMPUTE_PGM_RSRC2:TGID_X_EN: 1
; COMPUTE_PGM_RSRC2:TGID_Y_EN: 0
; COMPUTE_PGM_RSRC2:TGID_Z_EN: 0
; COMPUTE_PGM_RSRC2:TIDIG_COMP_CNT: 0
	.section	.text._ZN7rocprim17ROCPRIM_400000_NS6detail17trampoline_kernelINS0_14default_configENS1_38merge_sort_block_merge_config_selectorIjN6thrust23THRUST_200600_302600_NS5tupleIffNS6_9null_typeES8_S8_S8_S8_S8_S8_S8_EEEEZZNS1_27merge_sort_block_merge_implIS3_NS6_6detail15normal_iteratorINS6_10device_ptrIjEEEENSD_INSE_IS9_EEEEjNS1_19radix_merge_compareILb0ELb1EjNS0_19identity_decomposerEEEEE10hipError_tT0_T1_T2_jT3_P12ihipStream_tbPNSt15iterator_traitsISN_E10value_typeEPNST_ISO_E10value_typeEPSP_NS1_7vsmem_tEENKUlT_SN_SO_SP_E_clISG_PjSI_PS9_EESM_S12_SN_SO_SP_EUlS12_E0_NS1_11comp_targetILNS1_3genE4ELNS1_11target_archE910ELNS1_3gpuE8ELNS1_3repE0EEENS1_38merge_mergepath_config_static_selectorELNS0_4arch9wavefront6targetE0EEEvSO_,"axG",@progbits,_ZN7rocprim17ROCPRIM_400000_NS6detail17trampoline_kernelINS0_14default_configENS1_38merge_sort_block_merge_config_selectorIjN6thrust23THRUST_200600_302600_NS5tupleIffNS6_9null_typeES8_S8_S8_S8_S8_S8_S8_EEEEZZNS1_27merge_sort_block_merge_implIS3_NS6_6detail15normal_iteratorINS6_10device_ptrIjEEEENSD_INSE_IS9_EEEEjNS1_19radix_merge_compareILb0ELb1EjNS0_19identity_decomposerEEEEE10hipError_tT0_T1_T2_jT3_P12ihipStream_tbPNSt15iterator_traitsISN_E10value_typeEPNST_ISO_E10value_typeEPSP_NS1_7vsmem_tEENKUlT_SN_SO_SP_E_clISG_PjSI_PS9_EESM_S12_SN_SO_SP_EUlS12_E0_NS1_11comp_targetILNS1_3genE4ELNS1_11target_archE910ELNS1_3gpuE8ELNS1_3repE0EEENS1_38merge_mergepath_config_static_selectorELNS0_4arch9wavefront6targetE0EEEvSO_,comdat
	.protected	_ZN7rocprim17ROCPRIM_400000_NS6detail17trampoline_kernelINS0_14default_configENS1_38merge_sort_block_merge_config_selectorIjN6thrust23THRUST_200600_302600_NS5tupleIffNS6_9null_typeES8_S8_S8_S8_S8_S8_S8_EEEEZZNS1_27merge_sort_block_merge_implIS3_NS6_6detail15normal_iteratorINS6_10device_ptrIjEEEENSD_INSE_IS9_EEEEjNS1_19radix_merge_compareILb0ELb1EjNS0_19identity_decomposerEEEEE10hipError_tT0_T1_T2_jT3_P12ihipStream_tbPNSt15iterator_traitsISN_E10value_typeEPNST_ISO_E10value_typeEPSP_NS1_7vsmem_tEENKUlT_SN_SO_SP_E_clISG_PjSI_PS9_EESM_S12_SN_SO_SP_EUlS12_E0_NS1_11comp_targetILNS1_3genE4ELNS1_11target_archE910ELNS1_3gpuE8ELNS1_3repE0EEENS1_38merge_mergepath_config_static_selectorELNS0_4arch9wavefront6targetE0EEEvSO_ ; -- Begin function _ZN7rocprim17ROCPRIM_400000_NS6detail17trampoline_kernelINS0_14default_configENS1_38merge_sort_block_merge_config_selectorIjN6thrust23THRUST_200600_302600_NS5tupleIffNS6_9null_typeES8_S8_S8_S8_S8_S8_S8_EEEEZZNS1_27merge_sort_block_merge_implIS3_NS6_6detail15normal_iteratorINS6_10device_ptrIjEEEENSD_INSE_IS9_EEEEjNS1_19radix_merge_compareILb0ELb1EjNS0_19identity_decomposerEEEEE10hipError_tT0_T1_T2_jT3_P12ihipStream_tbPNSt15iterator_traitsISN_E10value_typeEPNST_ISO_E10value_typeEPSP_NS1_7vsmem_tEENKUlT_SN_SO_SP_E_clISG_PjSI_PS9_EESM_S12_SN_SO_SP_EUlS12_E0_NS1_11comp_targetILNS1_3genE4ELNS1_11target_archE910ELNS1_3gpuE8ELNS1_3repE0EEENS1_38merge_mergepath_config_static_selectorELNS0_4arch9wavefront6targetE0EEEvSO_
	.globl	_ZN7rocprim17ROCPRIM_400000_NS6detail17trampoline_kernelINS0_14default_configENS1_38merge_sort_block_merge_config_selectorIjN6thrust23THRUST_200600_302600_NS5tupleIffNS6_9null_typeES8_S8_S8_S8_S8_S8_S8_EEEEZZNS1_27merge_sort_block_merge_implIS3_NS6_6detail15normal_iteratorINS6_10device_ptrIjEEEENSD_INSE_IS9_EEEEjNS1_19radix_merge_compareILb0ELb1EjNS0_19identity_decomposerEEEEE10hipError_tT0_T1_T2_jT3_P12ihipStream_tbPNSt15iterator_traitsISN_E10value_typeEPNST_ISO_E10value_typeEPSP_NS1_7vsmem_tEENKUlT_SN_SO_SP_E_clISG_PjSI_PS9_EESM_S12_SN_SO_SP_EUlS12_E0_NS1_11comp_targetILNS1_3genE4ELNS1_11target_archE910ELNS1_3gpuE8ELNS1_3repE0EEENS1_38merge_mergepath_config_static_selectorELNS0_4arch9wavefront6targetE0EEEvSO_
	.p2align	8
	.type	_ZN7rocprim17ROCPRIM_400000_NS6detail17trampoline_kernelINS0_14default_configENS1_38merge_sort_block_merge_config_selectorIjN6thrust23THRUST_200600_302600_NS5tupleIffNS6_9null_typeES8_S8_S8_S8_S8_S8_S8_EEEEZZNS1_27merge_sort_block_merge_implIS3_NS6_6detail15normal_iteratorINS6_10device_ptrIjEEEENSD_INSE_IS9_EEEEjNS1_19radix_merge_compareILb0ELb1EjNS0_19identity_decomposerEEEEE10hipError_tT0_T1_T2_jT3_P12ihipStream_tbPNSt15iterator_traitsISN_E10value_typeEPNST_ISO_E10value_typeEPSP_NS1_7vsmem_tEENKUlT_SN_SO_SP_E_clISG_PjSI_PS9_EESM_S12_SN_SO_SP_EUlS12_E0_NS1_11comp_targetILNS1_3genE4ELNS1_11target_archE910ELNS1_3gpuE8ELNS1_3repE0EEENS1_38merge_mergepath_config_static_selectorELNS0_4arch9wavefront6targetE0EEEvSO_,@function
_ZN7rocprim17ROCPRIM_400000_NS6detail17trampoline_kernelINS0_14default_configENS1_38merge_sort_block_merge_config_selectorIjN6thrust23THRUST_200600_302600_NS5tupleIffNS6_9null_typeES8_S8_S8_S8_S8_S8_S8_EEEEZZNS1_27merge_sort_block_merge_implIS3_NS6_6detail15normal_iteratorINS6_10device_ptrIjEEEENSD_INSE_IS9_EEEEjNS1_19radix_merge_compareILb0ELb1EjNS0_19identity_decomposerEEEEE10hipError_tT0_T1_T2_jT3_P12ihipStream_tbPNSt15iterator_traitsISN_E10value_typeEPNST_ISO_E10value_typeEPSP_NS1_7vsmem_tEENKUlT_SN_SO_SP_E_clISG_PjSI_PS9_EESM_S12_SN_SO_SP_EUlS12_E0_NS1_11comp_targetILNS1_3genE4ELNS1_11target_archE910ELNS1_3gpuE8ELNS1_3repE0EEENS1_38merge_mergepath_config_static_selectorELNS0_4arch9wavefront6targetE0EEEvSO_: ; @_ZN7rocprim17ROCPRIM_400000_NS6detail17trampoline_kernelINS0_14default_configENS1_38merge_sort_block_merge_config_selectorIjN6thrust23THRUST_200600_302600_NS5tupleIffNS6_9null_typeES8_S8_S8_S8_S8_S8_S8_EEEEZZNS1_27merge_sort_block_merge_implIS3_NS6_6detail15normal_iteratorINS6_10device_ptrIjEEEENSD_INSE_IS9_EEEEjNS1_19radix_merge_compareILb0ELb1EjNS0_19identity_decomposerEEEEE10hipError_tT0_T1_T2_jT3_P12ihipStream_tbPNSt15iterator_traitsISN_E10value_typeEPNST_ISO_E10value_typeEPSP_NS1_7vsmem_tEENKUlT_SN_SO_SP_E_clISG_PjSI_PS9_EESM_S12_SN_SO_SP_EUlS12_E0_NS1_11comp_targetILNS1_3genE4ELNS1_11target_archE910ELNS1_3gpuE8ELNS1_3repE0EEENS1_38merge_mergepath_config_static_selectorELNS0_4arch9wavefront6targetE0EEEvSO_
; %bb.0:
	.section	.rodata,"a",@progbits
	.p2align	6, 0x0
	.amdhsa_kernel _ZN7rocprim17ROCPRIM_400000_NS6detail17trampoline_kernelINS0_14default_configENS1_38merge_sort_block_merge_config_selectorIjN6thrust23THRUST_200600_302600_NS5tupleIffNS6_9null_typeES8_S8_S8_S8_S8_S8_S8_EEEEZZNS1_27merge_sort_block_merge_implIS3_NS6_6detail15normal_iteratorINS6_10device_ptrIjEEEENSD_INSE_IS9_EEEEjNS1_19radix_merge_compareILb0ELb1EjNS0_19identity_decomposerEEEEE10hipError_tT0_T1_T2_jT3_P12ihipStream_tbPNSt15iterator_traitsISN_E10value_typeEPNST_ISO_E10value_typeEPSP_NS1_7vsmem_tEENKUlT_SN_SO_SP_E_clISG_PjSI_PS9_EESM_S12_SN_SO_SP_EUlS12_E0_NS1_11comp_targetILNS1_3genE4ELNS1_11target_archE910ELNS1_3gpuE8ELNS1_3repE0EEENS1_38merge_mergepath_config_static_selectorELNS0_4arch9wavefront6targetE0EEEvSO_
		.amdhsa_group_segment_fixed_size 0
		.amdhsa_private_segment_fixed_size 0
		.amdhsa_kernarg_size 64
		.amdhsa_user_sgpr_count 2
		.amdhsa_user_sgpr_dispatch_ptr 0
		.amdhsa_user_sgpr_queue_ptr 0
		.amdhsa_user_sgpr_kernarg_segment_ptr 1
		.amdhsa_user_sgpr_dispatch_id 0
		.amdhsa_user_sgpr_kernarg_preload_length 0
		.amdhsa_user_sgpr_kernarg_preload_offset 0
		.amdhsa_user_sgpr_private_segment_size 0
		.amdhsa_wavefront_size32 1
		.amdhsa_uses_dynamic_stack 0
		.amdhsa_enable_private_segment 0
		.amdhsa_system_sgpr_workgroup_id_x 1
		.amdhsa_system_sgpr_workgroup_id_y 0
		.amdhsa_system_sgpr_workgroup_id_z 0
		.amdhsa_system_sgpr_workgroup_info 0
		.amdhsa_system_vgpr_workitem_id 0
		.amdhsa_next_free_vgpr 1
		.amdhsa_next_free_sgpr 1
		.amdhsa_named_barrier_count 0
		.amdhsa_reserve_vcc 0
		.amdhsa_float_round_mode_32 0
		.amdhsa_float_round_mode_16_64 0
		.amdhsa_float_denorm_mode_32 3
		.amdhsa_float_denorm_mode_16_64 3
		.amdhsa_fp16_overflow 0
		.amdhsa_memory_ordered 1
		.amdhsa_forward_progress 1
		.amdhsa_inst_pref_size 0
		.amdhsa_round_robin_scheduling 0
		.amdhsa_exception_fp_ieee_invalid_op 0
		.amdhsa_exception_fp_denorm_src 0
		.amdhsa_exception_fp_ieee_div_zero 0
		.amdhsa_exception_fp_ieee_overflow 0
		.amdhsa_exception_fp_ieee_underflow 0
		.amdhsa_exception_fp_ieee_inexact 0
		.amdhsa_exception_int_div_zero 0
	.end_amdhsa_kernel
	.section	.text._ZN7rocprim17ROCPRIM_400000_NS6detail17trampoline_kernelINS0_14default_configENS1_38merge_sort_block_merge_config_selectorIjN6thrust23THRUST_200600_302600_NS5tupleIffNS6_9null_typeES8_S8_S8_S8_S8_S8_S8_EEEEZZNS1_27merge_sort_block_merge_implIS3_NS6_6detail15normal_iteratorINS6_10device_ptrIjEEEENSD_INSE_IS9_EEEEjNS1_19radix_merge_compareILb0ELb1EjNS0_19identity_decomposerEEEEE10hipError_tT0_T1_T2_jT3_P12ihipStream_tbPNSt15iterator_traitsISN_E10value_typeEPNST_ISO_E10value_typeEPSP_NS1_7vsmem_tEENKUlT_SN_SO_SP_E_clISG_PjSI_PS9_EESM_S12_SN_SO_SP_EUlS12_E0_NS1_11comp_targetILNS1_3genE4ELNS1_11target_archE910ELNS1_3gpuE8ELNS1_3repE0EEENS1_38merge_mergepath_config_static_selectorELNS0_4arch9wavefront6targetE0EEEvSO_,"axG",@progbits,_ZN7rocprim17ROCPRIM_400000_NS6detail17trampoline_kernelINS0_14default_configENS1_38merge_sort_block_merge_config_selectorIjN6thrust23THRUST_200600_302600_NS5tupleIffNS6_9null_typeES8_S8_S8_S8_S8_S8_S8_EEEEZZNS1_27merge_sort_block_merge_implIS3_NS6_6detail15normal_iteratorINS6_10device_ptrIjEEEENSD_INSE_IS9_EEEEjNS1_19radix_merge_compareILb0ELb1EjNS0_19identity_decomposerEEEEE10hipError_tT0_T1_T2_jT3_P12ihipStream_tbPNSt15iterator_traitsISN_E10value_typeEPNST_ISO_E10value_typeEPSP_NS1_7vsmem_tEENKUlT_SN_SO_SP_E_clISG_PjSI_PS9_EESM_S12_SN_SO_SP_EUlS12_E0_NS1_11comp_targetILNS1_3genE4ELNS1_11target_archE910ELNS1_3gpuE8ELNS1_3repE0EEENS1_38merge_mergepath_config_static_selectorELNS0_4arch9wavefront6targetE0EEEvSO_,comdat
.Lfunc_end126:
	.size	_ZN7rocprim17ROCPRIM_400000_NS6detail17trampoline_kernelINS0_14default_configENS1_38merge_sort_block_merge_config_selectorIjN6thrust23THRUST_200600_302600_NS5tupleIffNS6_9null_typeES8_S8_S8_S8_S8_S8_S8_EEEEZZNS1_27merge_sort_block_merge_implIS3_NS6_6detail15normal_iteratorINS6_10device_ptrIjEEEENSD_INSE_IS9_EEEEjNS1_19radix_merge_compareILb0ELb1EjNS0_19identity_decomposerEEEEE10hipError_tT0_T1_T2_jT3_P12ihipStream_tbPNSt15iterator_traitsISN_E10value_typeEPNST_ISO_E10value_typeEPSP_NS1_7vsmem_tEENKUlT_SN_SO_SP_E_clISG_PjSI_PS9_EESM_S12_SN_SO_SP_EUlS12_E0_NS1_11comp_targetILNS1_3genE4ELNS1_11target_archE910ELNS1_3gpuE8ELNS1_3repE0EEENS1_38merge_mergepath_config_static_selectorELNS0_4arch9wavefront6targetE0EEEvSO_, .Lfunc_end126-_ZN7rocprim17ROCPRIM_400000_NS6detail17trampoline_kernelINS0_14default_configENS1_38merge_sort_block_merge_config_selectorIjN6thrust23THRUST_200600_302600_NS5tupleIffNS6_9null_typeES8_S8_S8_S8_S8_S8_S8_EEEEZZNS1_27merge_sort_block_merge_implIS3_NS6_6detail15normal_iteratorINS6_10device_ptrIjEEEENSD_INSE_IS9_EEEEjNS1_19radix_merge_compareILb0ELb1EjNS0_19identity_decomposerEEEEE10hipError_tT0_T1_T2_jT3_P12ihipStream_tbPNSt15iterator_traitsISN_E10value_typeEPNST_ISO_E10value_typeEPSP_NS1_7vsmem_tEENKUlT_SN_SO_SP_E_clISG_PjSI_PS9_EESM_S12_SN_SO_SP_EUlS12_E0_NS1_11comp_targetILNS1_3genE4ELNS1_11target_archE910ELNS1_3gpuE8ELNS1_3repE0EEENS1_38merge_mergepath_config_static_selectorELNS0_4arch9wavefront6targetE0EEEvSO_
                                        ; -- End function
	.set _ZN7rocprim17ROCPRIM_400000_NS6detail17trampoline_kernelINS0_14default_configENS1_38merge_sort_block_merge_config_selectorIjN6thrust23THRUST_200600_302600_NS5tupleIffNS6_9null_typeES8_S8_S8_S8_S8_S8_S8_EEEEZZNS1_27merge_sort_block_merge_implIS3_NS6_6detail15normal_iteratorINS6_10device_ptrIjEEEENSD_INSE_IS9_EEEEjNS1_19radix_merge_compareILb0ELb1EjNS0_19identity_decomposerEEEEE10hipError_tT0_T1_T2_jT3_P12ihipStream_tbPNSt15iterator_traitsISN_E10value_typeEPNST_ISO_E10value_typeEPSP_NS1_7vsmem_tEENKUlT_SN_SO_SP_E_clISG_PjSI_PS9_EESM_S12_SN_SO_SP_EUlS12_E0_NS1_11comp_targetILNS1_3genE4ELNS1_11target_archE910ELNS1_3gpuE8ELNS1_3repE0EEENS1_38merge_mergepath_config_static_selectorELNS0_4arch9wavefront6targetE0EEEvSO_.num_vgpr, 0
	.set _ZN7rocprim17ROCPRIM_400000_NS6detail17trampoline_kernelINS0_14default_configENS1_38merge_sort_block_merge_config_selectorIjN6thrust23THRUST_200600_302600_NS5tupleIffNS6_9null_typeES8_S8_S8_S8_S8_S8_S8_EEEEZZNS1_27merge_sort_block_merge_implIS3_NS6_6detail15normal_iteratorINS6_10device_ptrIjEEEENSD_INSE_IS9_EEEEjNS1_19radix_merge_compareILb0ELb1EjNS0_19identity_decomposerEEEEE10hipError_tT0_T1_T2_jT3_P12ihipStream_tbPNSt15iterator_traitsISN_E10value_typeEPNST_ISO_E10value_typeEPSP_NS1_7vsmem_tEENKUlT_SN_SO_SP_E_clISG_PjSI_PS9_EESM_S12_SN_SO_SP_EUlS12_E0_NS1_11comp_targetILNS1_3genE4ELNS1_11target_archE910ELNS1_3gpuE8ELNS1_3repE0EEENS1_38merge_mergepath_config_static_selectorELNS0_4arch9wavefront6targetE0EEEvSO_.num_agpr, 0
	.set _ZN7rocprim17ROCPRIM_400000_NS6detail17trampoline_kernelINS0_14default_configENS1_38merge_sort_block_merge_config_selectorIjN6thrust23THRUST_200600_302600_NS5tupleIffNS6_9null_typeES8_S8_S8_S8_S8_S8_S8_EEEEZZNS1_27merge_sort_block_merge_implIS3_NS6_6detail15normal_iteratorINS6_10device_ptrIjEEEENSD_INSE_IS9_EEEEjNS1_19radix_merge_compareILb0ELb1EjNS0_19identity_decomposerEEEEE10hipError_tT0_T1_T2_jT3_P12ihipStream_tbPNSt15iterator_traitsISN_E10value_typeEPNST_ISO_E10value_typeEPSP_NS1_7vsmem_tEENKUlT_SN_SO_SP_E_clISG_PjSI_PS9_EESM_S12_SN_SO_SP_EUlS12_E0_NS1_11comp_targetILNS1_3genE4ELNS1_11target_archE910ELNS1_3gpuE8ELNS1_3repE0EEENS1_38merge_mergepath_config_static_selectorELNS0_4arch9wavefront6targetE0EEEvSO_.numbered_sgpr, 0
	.set _ZN7rocprim17ROCPRIM_400000_NS6detail17trampoline_kernelINS0_14default_configENS1_38merge_sort_block_merge_config_selectorIjN6thrust23THRUST_200600_302600_NS5tupleIffNS6_9null_typeES8_S8_S8_S8_S8_S8_S8_EEEEZZNS1_27merge_sort_block_merge_implIS3_NS6_6detail15normal_iteratorINS6_10device_ptrIjEEEENSD_INSE_IS9_EEEEjNS1_19radix_merge_compareILb0ELb1EjNS0_19identity_decomposerEEEEE10hipError_tT0_T1_T2_jT3_P12ihipStream_tbPNSt15iterator_traitsISN_E10value_typeEPNST_ISO_E10value_typeEPSP_NS1_7vsmem_tEENKUlT_SN_SO_SP_E_clISG_PjSI_PS9_EESM_S12_SN_SO_SP_EUlS12_E0_NS1_11comp_targetILNS1_3genE4ELNS1_11target_archE910ELNS1_3gpuE8ELNS1_3repE0EEENS1_38merge_mergepath_config_static_selectorELNS0_4arch9wavefront6targetE0EEEvSO_.num_named_barrier, 0
	.set _ZN7rocprim17ROCPRIM_400000_NS6detail17trampoline_kernelINS0_14default_configENS1_38merge_sort_block_merge_config_selectorIjN6thrust23THRUST_200600_302600_NS5tupleIffNS6_9null_typeES8_S8_S8_S8_S8_S8_S8_EEEEZZNS1_27merge_sort_block_merge_implIS3_NS6_6detail15normal_iteratorINS6_10device_ptrIjEEEENSD_INSE_IS9_EEEEjNS1_19radix_merge_compareILb0ELb1EjNS0_19identity_decomposerEEEEE10hipError_tT0_T1_T2_jT3_P12ihipStream_tbPNSt15iterator_traitsISN_E10value_typeEPNST_ISO_E10value_typeEPSP_NS1_7vsmem_tEENKUlT_SN_SO_SP_E_clISG_PjSI_PS9_EESM_S12_SN_SO_SP_EUlS12_E0_NS1_11comp_targetILNS1_3genE4ELNS1_11target_archE910ELNS1_3gpuE8ELNS1_3repE0EEENS1_38merge_mergepath_config_static_selectorELNS0_4arch9wavefront6targetE0EEEvSO_.private_seg_size, 0
	.set _ZN7rocprim17ROCPRIM_400000_NS6detail17trampoline_kernelINS0_14default_configENS1_38merge_sort_block_merge_config_selectorIjN6thrust23THRUST_200600_302600_NS5tupleIffNS6_9null_typeES8_S8_S8_S8_S8_S8_S8_EEEEZZNS1_27merge_sort_block_merge_implIS3_NS6_6detail15normal_iteratorINS6_10device_ptrIjEEEENSD_INSE_IS9_EEEEjNS1_19radix_merge_compareILb0ELb1EjNS0_19identity_decomposerEEEEE10hipError_tT0_T1_T2_jT3_P12ihipStream_tbPNSt15iterator_traitsISN_E10value_typeEPNST_ISO_E10value_typeEPSP_NS1_7vsmem_tEENKUlT_SN_SO_SP_E_clISG_PjSI_PS9_EESM_S12_SN_SO_SP_EUlS12_E0_NS1_11comp_targetILNS1_3genE4ELNS1_11target_archE910ELNS1_3gpuE8ELNS1_3repE0EEENS1_38merge_mergepath_config_static_selectorELNS0_4arch9wavefront6targetE0EEEvSO_.uses_vcc, 0
	.set _ZN7rocprim17ROCPRIM_400000_NS6detail17trampoline_kernelINS0_14default_configENS1_38merge_sort_block_merge_config_selectorIjN6thrust23THRUST_200600_302600_NS5tupleIffNS6_9null_typeES8_S8_S8_S8_S8_S8_S8_EEEEZZNS1_27merge_sort_block_merge_implIS3_NS6_6detail15normal_iteratorINS6_10device_ptrIjEEEENSD_INSE_IS9_EEEEjNS1_19radix_merge_compareILb0ELb1EjNS0_19identity_decomposerEEEEE10hipError_tT0_T1_T2_jT3_P12ihipStream_tbPNSt15iterator_traitsISN_E10value_typeEPNST_ISO_E10value_typeEPSP_NS1_7vsmem_tEENKUlT_SN_SO_SP_E_clISG_PjSI_PS9_EESM_S12_SN_SO_SP_EUlS12_E0_NS1_11comp_targetILNS1_3genE4ELNS1_11target_archE910ELNS1_3gpuE8ELNS1_3repE0EEENS1_38merge_mergepath_config_static_selectorELNS0_4arch9wavefront6targetE0EEEvSO_.uses_flat_scratch, 0
	.set _ZN7rocprim17ROCPRIM_400000_NS6detail17trampoline_kernelINS0_14default_configENS1_38merge_sort_block_merge_config_selectorIjN6thrust23THRUST_200600_302600_NS5tupleIffNS6_9null_typeES8_S8_S8_S8_S8_S8_S8_EEEEZZNS1_27merge_sort_block_merge_implIS3_NS6_6detail15normal_iteratorINS6_10device_ptrIjEEEENSD_INSE_IS9_EEEEjNS1_19radix_merge_compareILb0ELb1EjNS0_19identity_decomposerEEEEE10hipError_tT0_T1_T2_jT3_P12ihipStream_tbPNSt15iterator_traitsISN_E10value_typeEPNST_ISO_E10value_typeEPSP_NS1_7vsmem_tEENKUlT_SN_SO_SP_E_clISG_PjSI_PS9_EESM_S12_SN_SO_SP_EUlS12_E0_NS1_11comp_targetILNS1_3genE4ELNS1_11target_archE910ELNS1_3gpuE8ELNS1_3repE0EEENS1_38merge_mergepath_config_static_selectorELNS0_4arch9wavefront6targetE0EEEvSO_.has_dyn_sized_stack, 0
	.set _ZN7rocprim17ROCPRIM_400000_NS6detail17trampoline_kernelINS0_14default_configENS1_38merge_sort_block_merge_config_selectorIjN6thrust23THRUST_200600_302600_NS5tupleIffNS6_9null_typeES8_S8_S8_S8_S8_S8_S8_EEEEZZNS1_27merge_sort_block_merge_implIS3_NS6_6detail15normal_iteratorINS6_10device_ptrIjEEEENSD_INSE_IS9_EEEEjNS1_19radix_merge_compareILb0ELb1EjNS0_19identity_decomposerEEEEE10hipError_tT0_T1_T2_jT3_P12ihipStream_tbPNSt15iterator_traitsISN_E10value_typeEPNST_ISO_E10value_typeEPSP_NS1_7vsmem_tEENKUlT_SN_SO_SP_E_clISG_PjSI_PS9_EESM_S12_SN_SO_SP_EUlS12_E0_NS1_11comp_targetILNS1_3genE4ELNS1_11target_archE910ELNS1_3gpuE8ELNS1_3repE0EEENS1_38merge_mergepath_config_static_selectorELNS0_4arch9wavefront6targetE0EEEvSO_.has_recursion, 0
	.set _ZN7rocprim17ROCPRIM_400000_NS6detail17trampoline_kernelINS0_14default_configENS1_38merge_sort_block_merge_config_selectorIjN6thrust23THRUST_200600_302600_NS5tupleIffNS6_9null_typeES8_S8_S8_S8_S8_S8_S8_EEEEZZNS1_27merge_sort_block_merge_implIS3_NS6_6detail15normal_iteratorINS6_10device_ptrIjEEEENSD_INSE_IS9_EEEEjNS1_19radix_merge_compareILb0ELb1EjNS0_19identity_decomposerEEEEE10hipError_tT0_T1_T2_jT3_P12ihipStream_tbPNSt15iterator_traitsISN_E10value_typeEPNST_ISO_E10value_typeEPSP_NS1_7vsmem_tEENKUlT_SN_SO_SP_E_clISG_PjSI_PS9_EESM_S12_SN_SO_SP_EUlS12_E0_NS1_11comp_targetILNS1_3genE4ELNS1_11target_archE910ELNS1_3gpuE8ELNS1_3repE0EEENS1_38merge_mergepath_config_static_selectorELNS0_4arch9wavefront6targetE0EEEvSO_.has_indirect_call, 0
	.section	.AMDGPU.csdata,"",@progbits
; Kernel info:
; codeLenInByte = 0
; TotalNumSgprs: 0
; NumVgprs: 0
; ScratchSize: 0
; MemoryBound: 0
; FloatMode: 240
; IeeeMode: 1
; LDSByteSize: 0 bytes/workgroup (compile time only)
; SGPRBlocks: 0
; VGPRBlocks: 0
; NumSGPRsForWavesPerEU: 1
; NumVGPRsForWavesPerEU: 1
; NamedBarCnt: 0
; Occupancy: 16
; WaveLimiterHint : 0
; COMPUTE_PGM_RSRC2:SCRATCH_EN: 0
; COMPUTE_PGM_RSRC2:USER_SGPR: 2
; COMPUTE_PGM_RSRC2:TRAP_HANDLER: 0
; COMPUTE_PGM_RSRC2:TGID_X_EN: 1
; COMPUTE_PGM_RSRC2:TGID_Y_EN: 0
; COMPUTE_PGM_RSRC2:TGID_Z_EN: 0
; COMPUTE_PGM_RSRC2:TIDIG_COMP_CNT: 0
	.section	.text._ZN7rocprim17ROCPRIM_400000_NS6detail17trampoline_kernelINS0_14default_configENS1_38merge_sort_block_merge_config_selectorIjN6thrust23THRUST_200600_302600_NS5tupleIffNS6_9null_typeES8_S8_S8_S8_S8_S8_S8_EEEEZZNS1_27merge_sort_block_merge_implIS3_NS6_6detail15normal_iteratorINS6_10device_ptrIjEEEENSD_INSE_IS9_EEEEjNS1_19radix_merge_compareILb0ELb1EjNS0_19identity_decomposerEEEEE10hipError_tT0_T1_T2_jT3_P12ihipStream_tbPNSt15iterator_traitsISN_E10value_typeEPNST_ISO_E10value_typeEPSP_NS1_7vsmem_tEENKUlT_SN_SO_SP_E_clISG_PjSI_PS9_EESM_S12_SN_SO_SP_EUlS12_E0_NS1_11comp_targetILNS1_3genE3ELNS1_11target_archE908ELNS1_3gpuE7ELNS1_3repE0EEENS1_38merge_mergepath_config_static_selectorELNS0_4arch9wavefront6targetE0EEEvSO_,"axG",@progbits,_ZN7rocprim17ROCPRIM_400000_NS6detail17trampoline_kernelINS0_14default_configENS1_38merge_sort_block_merge_config_selectorIjN6thrust23THRUST_200600_302600_NS5tupleIffNS6_9null_typeES8_S8_S8_S8_S8_S8_S8_EEEEZZNS1_27merge_sort_block_merge_implIS3_NS6_6detail15normal_iteratorINS6_10device_ptrIjEEEENSD_INSE_IS9_EEEEjNS1_19radix_merge_compareILb0ELb1EjNS0_19identity_decomposerEEEEE10hipError_tT0_T1_T2_jT3_P12ihipStream_tbPNSt15iterator_traitsISN_E10value_typeEPNST_ISO_E10value_typeEPSP_NS1_7vsmem_tEENKUlT_SN_SO_SP_E_clISG_PjSI_PS9_EESM_S12_SN_SO_SP_EUlS12_E0_NS1_11comp_targetILNS1_3genE3ELNS1_11target_archE908ELNS1_3gpuE7ELNS1_3repE0EEENS1_38merge_mergepath_config_static_selectorELNS0_4arch9wavefront6targetE0EEEvSO_,comdat
	.protected	_ZN7rocprim17ROCPRIM_400000_NS6detail17trampoline_kernelINS0_14default_configENS1_38merge_sort_block_merge_config_selectorIjN6thrust23THRUST_200600_302600_NS5tupleIffNS6_9null_typeES8_S8_S8_S8_S8_S8_S8_EEEEZZNS1_27merge_sort_block_merge_implIS3_NS6_6detail15normal_iteratorINS6_10device_ptrIjEEEENSD_INSE_IS9_EEEEjNS1_19radix_merge_compareILb0ELb1EjNS0_19identity_decomposerEEEEE10hipError_tT0_T1_T2_jT3_P12ihipStream_tbPNSt15iterator_traitsISN_E10value_typeEPNST_ISO_E10value_typeEPSP_NS1_7vsmem_tEENKUlT_SN_SO_SP_E_clISG_PjSI_PS9_EESM_S12_SN_SO_SP_EUlS12_E0_NS1_11comp_targetILNS1_3genE3ELNS1_11target_archE908ELNS1_3gpuE7ELNS1_3repE0EEENS1_38merge_mergepath_config_static_selectorELNS0_4arch9wavefront6targetE0EEEvSO_ ; -- Begin function _ZN7rocprim17ROCPRIM_400000_NS6detail17trampoline_kernelINS0_14default_configENS1_38merge_sort_block_merge_config_selectorIjN6thrust23THRUST_200600_302600_NS5tupleIffNS6_9null_typeES8_S8_S8_S8_S8_S8_S8_EEEEZZNS1_27merge_sort_block_merge_implIS3_NS6_6detail15normal_iteratorINS6_10device_ptrIjEEEENSD_INSE_IS9_EEEEjNS1_19radix_merge_compareILb0ELb1EjNS0_19identity_decomposerEEEEE10hipError_tT0_T1_T2_jT3_P12ihipStream_tbPNSt15iterator_traitsISN_E10value_typeEPNST_ISO_E10value_typeEPSP_NS1_7vsmem_tEENKUlT_SN_SO_SP_E_clISG_PjSI_PS9_EESM_S12_SN_SO_SP_EUlS12_E0_NS1_11comp_targetILNS1_3genE3ELNS1_11target_archE908ELNS1_3gpuE7ELNS1_3repE0EEENS1_38merge_mergepath_config_static_selectorELNS0_4arch9wavefront6targetE0EEEvSO_
	.globl	_ZN7rocprim17ROCPRIM_400000_NS6detail17trampoline_kernelINS0_14default_configENS1_38merge_sort_block_merge_config_selectorIjN6thrust23THRUST_200600_302600_NS5tupleIffNS6_9null_typeES8_S8_S8_S8_S8_S8_S8_EEEEZZNS1_27merge_sort_block_merge_implIS3_NS6_6detail15normal_iteratorINS6_10device_ptrIjEEEENSD_INSE_IS9_EEEEjNS1_19radix_merge_compareILb0ELb1EjNS0_19identity_decomposerEEEEE10hipError_tT0_T1_T2_jT3_P12ihipStream_tbPNSt15iterator_traitsISN_E10value_typeEPNST_ISO_E10value_typeEPSP_NS1_7vsmem_tEENKUlT_SN_SO_SP_E_clISG_PjSI_PS9_EESM_S12_SN_SO_SP_EUlS12_E0_NS1_11comp_targetILNS1_3genE3ELNS1_11target_archE908ELNS1_3gpuE7ELNS1_3repE0EEENS1_38merge_mergepath_config_static_selectorELNS0_4arch9wavefront6targetE0EEEvSO_
	.p2align	8
	.type	_ZN7rocprim17ROCPRIM_400000_NS6detail17trampoline_kernelINS0_14default_configENS1_38merge_sort_block_merge_config_selectorIjN6thrust23THRUST_200600_302600_NS5tupleIffNS6_9null_typeES8_S8_S8_S8_S8_S8_S8_EEEEZZNS1_27merge_sort_block_merge_implIS3_NS6_6detail15normal_iteratorINS6_10device_ptrIjEEEENSD_INSE_IS9_EEEEjNS1_19radix_merge_compareILb0ELb1EjNS0_19identity_decomposerEEEEE10hipError_tT0_T1_T2_jT3_P12ihipStream_tbPNSt15iterator_traitsISN_E10value_typeEPNST_ISO_E10value_typeEPSP_NS1_7vsmem_tEENKUlT_SN_SO_SP_E_clISG_PjSI_PS9_EESM_S12_SN_SO_SP_EUlS12_E0_NS1_11comp_targetILNS1_3genE3ELNS1_11target_archE908ELNS1_3gpuE7ELNS1_3repE0EEENS1_38merge_mergepath_config_static_selectorELNS0_4arch9wavefront6targetE0EEEvSO_,@function
_ZN7rocprim17ROCPRIM_400000_NS6detail17trampoline_kernelINS0_14default_configENS1_38merge_sort_block_merge_config_selectorIjN6thrust23THRUST_200600_302600_NS5tupleIffNS6_9null_typeES8_S8_S8_S8_S8_S8_S8_EEEEZZNS1_27merge_sort_block_merge_implIS3_NS6_6detail15normal_iteratorINS6_10device_ptrIjEEEENSD_INSE_IS9_EEEEjNS1_19radix_merge_compareILb0ELb1EjNS0_19identity_decomposerEEEEE10hipError_tT0_T1_T2_jT3_P12ihipStream_tbPNSt15iterator_traitsISN_E10value_typeEPNST_ISO_E10value_typeEPSP_NS1_7vsmem_tEENKUlT_SN_SO_SP_E_clISG_PjSI_PS9_EESM_S12_SN_SO_SP_EUlS12_E0_NS1_11comp_targetILNS1_3genE3ELNS1_11target_archE908ELNS1_3gpuE7ELNS1_3repE0EEENS1_38merge_mergepath_config_static_selectorELNS0_4arch9wavefront6targetE0EEEvSO_: ; @_ZN7rocprim17ROCPRIM_400000_NS6detail17trampoline_kernelINS0_14default_configENS1_38merge_sort_block_merge_config_selectorIjN6thrust23THRUST_200600_302600_NS5tupleIffNS6_9null_typeES8_S8_S8_S8_S8_S8_S8_EEEEZZNS1_27merge_sort_block_merge_implIS3_NS6_6detail15normal_iteratorINS6_10device_ptrIjEEEENSD_INSE_IS9_EEEEjNS1_19radix_merge_compareILb0ELb1EjNS0_19identity_decomposerEEEEE10hipError_tT0_T1_T2_jT3_P12ihipStream_tbPNSt15iterator_traitsISN_E10value_typeEPNST_ISO_E10value_typeEPSP_NS1_7vsmem_tEENKUlT_SN_SO_SP_E_clISG_PjSI_PS9_EESM_S12_SN_SO_SP_EUlS12_E0_NS1_11comp_targetILNS1_3genE3ELNS1_11target_archE908ELNS1_3gpuE7ELNS1_3repE0EEENS1_38merge_mergepath_config_static_selectorELNS0_4arch9wavefront6targetE0EEEvSO_
; %bb.0:
	.section	.rodata,"a",@progbits
	.p2align	6, 0x0
	.amdhsa_kernel _ZN7rocprim17ROCPRIM_400000_NS6detail17trampoline_kernelINS0_14default_configENS1_38merge_sort_block_merge_config_selectorIjN6thrust23THRUST_200600_302600_NS5tupleIffNS6_9null_typeES8_S8_S8_S8_S8_S8_S8_EEEEZZNS1_27merge_sort_block_merge_implIS3_NS6_6detail15normal_iteratorINS6_10device_ptrIjEEEENSD_INSE_IS9_EEEEjNS1_19radix_merge_compareILb0ELb1EjNS0_19identity_decomposerEEEEE10hipError_tT0_T1_T2_jT3_P12ihipStream_tbPNSt15iterator_traitsISN_E10value_typeEPNST_ISO_E10value_typeEPSP_NS1_7vsmem_tEENKUlT_SN_SO_SP_E_clISG_PjSI_PS9_EESM_S12_SN_SO_SP_EUlS12_E0_NS1_11comp_targetILNS1_3genE3ELNS1_11target_archE908ELNS1_3gpuE7ELNS1_3repE0EEENS1_38merge_mergepath_config_static_selectorELNS0_4arch9wavefront6targetE0EEEvSO_
		.amdhsa_group_segment_fixed_size 0
		.amdhsa_private_segment_fixed_size 0
		.amdhsa_kernarg_size 64
		.amdhsa_user_sgpr_count 2
		.amdhsa_user_sgpr_dispatch_ptr 0
		.amdhsa_user_sgpr_queue_ptr 0
		.amdhsa_user_sgpr_kernarg_segment_ptr 1
		.amdhsa_user_sgpr_dispatch_id 0
		.amdhsa_user_sgpr_kernarg_preload_length 0
		.amdhsa_user_sgpr_kernarg_preload_offset 0
		.amdhsa_user_sgpr_private_segment_size 0
		.amdhsa_wavefront_size32 1
		.amdhsa_uses_dynamic_stack 0
		.amdhsa_enable_private_segment 0
		.amdhsa_system_sgpr_workgroup_id_x 1
		.amdhsa_system_sgpr_workgroup_id_y 0
		.amdhsa_system_sgpr_workgroup_id_z 0
		.amdhsa_system_sgpr_workgroup_info 0
		.amdhsa_system_vgpr_workitem_id 0
		.amdhsa_next_free_vgpr 1
		.amdhsa_next_free_sgpr 1
		.amdhsa_named_barrier_count 0
		.amdhsa_reserve_vcc 0
		.amdhsa_float_round_mode_32 0
		.amdhsa_float_round_mode_16_64 0
		.amdhsa_float_denorm_mode_32 3
		.amdhsa_float_denorm_mode_16_64 3
		.amdhsa_fp16_overflow 0
		.amdhsa_memory_ordered 1
		.amdhsa_forward_progress 1
		.amdhsa_inst_pref_size 0
		.amdhsa_round_robin_scheduling 0
		.amdhsa_exception_fp_ieee_invalid_op 0
		.amdhsa_exception_fp_denorm_src 0
		.amdhsa_exception_fp_ieee_div_zero 0
		.amdhsa_exception_fp_ieee_overflow 0
		.amdhsa_exception_fp_ieee_underflow 0
		.amdhsa_exception_fp_ieee_inexact 0
		.amdhsa_exception_int_div_zero 0
	.end_amdhsa_kernel
	.section	.text._ZN7rocprim17ROCPRIM_400000_NS6detail17trampoline_kernelINS0_14default_configENS1_38merge_sort_block_merge_config_selectorIjN6thrust23THRUST_200600_302600_NS5tupleIffNS6_9null_typeES8_S8_S8_S8_S8_S8_S8_EEEEZZNS1_27merge_sort_block_merge_implIS3_NS6_6detail15normal_iteratorINS6_10device_ptrIjEEEENSD_INSE_IS9_EEEEjNS1_19radix_merge_compareILb0ELb1EjNS0_19identity_decomposerEEEEE10hipError_tT0_T1_T2_jT3_P12ihipStream_tbPNSt15iterator_traitsISN_E10value_typeEPNST_ISO_E10value_typeEPSP_NS1_7vsmem_tEENKUlT_SN_SO_SP_E_clISG_PjSI_PS9_EESM_S12_SN_SO_SP_EUlS12_E0_NS1_11comp_targetILNS1_3genE3ELNS1_11target_archE908ELNS1_3gpuE7ELNS1_3repE0EEENS1_38merge_mergepath_config_static_selectorELNS0_4arch9wavefront6targetE0EEEvSO_,"axG",@progbits,_ZN7rocprim17ROCPRIM_400000_NS6detail17trampoline_kernelINS0_14default_configENS1_38merge_sort_block_merge_config_selectorIjN6thrust23THRUST_200600_302600_NS5tupleIffNS6_9null_typeES8_S8_S8_S8_S8_S8_S8_EEEEZZNS1_27merge_sort_block_merge_implIS3_NS6_6detail15normal_iteratorINS6_10device_ptrIjEEEENSD_INSE_IS9_EEEEjNS1_19radix_merge_compareILb0ELb1EjNS0_19identity_decomposerEEEEE10hipError_tT0_T1_T2_jT3_P12ihipStream_tbPNSt15iterator_traitsISN_E10value_typeEPNST_ISO_E10value_typeEPSP_NS1_7vsmem_tEENKUlT_SN_SO_SP_E_clISG_PjSI_PS9_EESM_S12_SN_SO_SP_EUlS12_E0_NS1_11comp_targetILNS1_3genE3ELNS1_11target_archE908ELNS1_3gpuE7ELNS1_3repE0EEENS1_38merge_mergepath_config_static_selectorELNS0_4arch9wavefront6targetE0EEEvSO_,comdat
.Lfunc_end127:
	.size	_ZN7rocprim17ROCPRIM_400000_NS6detail17trampoline_kernelINS0_14default_configENS1_38merge_sort_block_merge_config_selectorIjN6thrust23THRUST_200600_302600_NS5tupleIffNS6_9null_typeES8_S8_S8_S8_S8_S8_S8_EEEEZZNS1_27merge_sort_block_merge_implIS3_NS6_6detail15normal_iteratorINS6_10device_ptrIjEEEENSD_INSE_IS9_EEEEjNS1_19radix_merge_compareILb0ELb1EjNS0_19identity_decomposerEEEEE10hipError_tT0_T1_T2_jT3_P12ihipStream_tbPNSt15iterator_traitsISN_E10value_typeEPNST_ISO_E10value_typeEPSP_NS1_7vsmem_tEENKUlT_SN_SO_SP_E_clISG_PjSI_PS9_EESM_S12_SN_SO_SP_EUlS12_E0_NS1_11comp_targetILNS1_3genE3ELNS1_11target_archE908ELNS1_3gpuE7ELNS1_3repE0EEENS1_38merge_mergepath_config_static_selectorELNS0_4arch9wavefront6targetE0EEEvSO_, .Lfunc_end127-_ZN7rocprim17ROCPRIM_400000_NS6detail17trampoline_kernelINS0_14default_configENS1_38merge_sort_block_merge_config_selectorIjN6thrust23THRUST_200600_302600_NS5tupleIffNS6_9null_typeES8_S8_S8_S8_S8_S8_S8_EEEEZZNS1_27merge_sort_block_merge_implIS3_NS6_6detail15normal_iteratorINS6_10device_ptrIjEEEENSD_INSE_IS9_EEEEjNS1_19radix_merge_compareILb0ELb1EjNS0_19identity_decomposerEEEEE10hipError_tT0_T1_T2_jT3_P12ihipStream_tbPNSt15iterator_traitsISN_E10value_typeEPNST_ISO_E10value_typeEPSP_NS1_7vsmem_tEENKUlT_SN_SO_SP_E_clISG_PjSI_PS9_EESM_S12_SN_SO_SP_EUlS12_E0_NS1_11comp_targetILNS1_3genE3ELNS1_11target_archE908ELNS1_3gpuE7ELNS1_3repE0EEENS1_38merge_mergepath_config_static_selectorELNS0_4arch9wavefront6targetE0EEEvSO_
                                        ; -- End function
	.set _ZN7rocprim17ROCPRIM_400000_NS6detail17trampoline_kernelINS0_14default_configENS1_38merge_sort_block_merge_config_selectorIjN6thrust23THRUST_200600_302600_NS5tupleIffNS6_9null_typeES8_S8_S8_S8_S8_S8_S8_EEEEZZNS1_27merge_sort_block_merge_implIS3_NS6_6detail15normal_iteratorINS6_10device_ptrIjEEEENSD_INSE_IS9_EEEEjNS1_19radix_merge_compareILb0ELb1EjNS0_19identity_decomposerEEEEE10hipError_tT0_T1_T2_jT3_P12ihipStream_tbPNSt15iterator_traitsISN_E10value_typeEPNST_ISO_E10value_typeEPSP_NS1_7vsmem_tEENKUlT_SN_SO_SP_E_clISG_PjSI_PS9_EESM_S12_SN_SO_SP_EUlS12_E0_NS1_11comp_targetILNS1_3genE3ELNS1_11target_archE908ELNS1_3gpuE7ELNS1_3repE0EEENS1_38merge_mergepath_config_static_selectorELNS0_4arch9wavefront6targetE0EEEvSO_.num_vgpr, 0
	.set _ZN7rocprim17ROCPRIM_400000_NS6detail17trampoline_kernelINS0_14default_configENS1_38merge_sort_block_merge_config_selectorIjN6thrust23THRUST_200600_302600_NS5tupleIffNS6_9null_typeES8_S8_S8_S8_S8_S8_S8_EEEEZZNS1_27merge_sort_block_merge_implIS3_NS6_6detail15normal_iteratorINS6_10device_ptrIjEEEENSD_INSE_IS9_EEEEjNS1_19radix_merge_compareILb0ELb1EjNS0_19identity_decomposerEEEEE10hipError_tT0_T1_T2_jT3_P12ihipStream_tbPNSt15iterator_traitsISN_E10value_typeEPNST_ISO_E10value_typeEPSP_NS1_7vsmem_tEENKUlT_SN_SO_SP_E_clISG_PjSI_PS9_EESM_S12_SN_SO_SP_EUlS12_E0_NS1_11comp_targetILNS1_3genE3ELNS1_11target_archE908ELNS1_3gpuE7ELNS1_3repE0EEENS1_38merge_mergepath_config_static_selectorELNS0_4arch9wavefront6targetE0EEEvSO_.num_agpr, 0
	.set _ZN7rocprim17ROCPRIM_400000_NS6detail17trampoline_kernelINS0_14default_configENS1_38merge_sort_block_merge_config_selectorIjN6thrust23THRUST_200600_302600_NS5tupleIffNS6_9null_typeES8_S8_S8_S8_S8_S8_S8_EEEEZZNS1_27merge_sort_block_merge_implIS3_NS6_6detail15normal_iteratorINS6_10device_ptrIjEEEENSD_INSE_IS9_EEEEjNS1_19radix_merge_compareILb0ELb1EjNS0_19identity_decomposerEEEEE10hipError_tT0_T1_T2_jT3_P12ihipStream_tbPNSt15iterator_traitsISN_E10value_typeEPNST_ISO_E10value_typeEPSP_NS1_7vsmem_tEENKUlT_SN_SO_SP_E_clISG_PjSI_PS9_EESM_S12_SN_SO_SP_EUlS12_E0_NS1_11comp_targetILNS1_3genE3ELNS1_11target_archE908ELNS1_3gpuE7ELNS1_3repE0EEENS1_38merge_mergepath_config_static_selectorELNS0_4arch9wavefront6targetE0EEEvSO_.numbered_sgpr, 0
	.set _ZN7rocprim17ROCPRIM_400000_NS6detail17trampoline_kernelINS0_14default_configENS1_38merge_sort_block_merge_config_selectorIjN6thrust23THRUST_200600_302600_NS5tupleIffNS6_9null_typeES8_S8_S8_S8_S8_S8_S8_EEEEZZNS1_27merge_sort_block_merge_implIS3_NS6_6detail15normal_iteratorINS6_10device_ptrIjEEEENSD_INSE_IS9_EEEEjNS1_19radix_merge_compareILb0ELb1EjNS0_19identity_decomposerEEEEE10hipError_tT0_T1_T2_jT3_P12ihipStream_tbPNSt15iterator_traitsISN_E10value_typeEPNST_ISO_E10value_typeEPSP_NS1_7vsmem_tEENKUlT_SN_SO_SP_E_clISG_PjSI_PS9_EESM_S12_SN_SO_SP_EUlS12_E0_NS1_11comp_targetILNS1_3genE3ELNS1_11target_archE908ELNS1_3gpuE7ELNS1_3repE0EEENS1_38merge_mergepath_config_static_selectorELNS0_4arch9wavefront6targetE0EEEvSO_.num_named_barrier, 0
	.set _ZN7rocprim17ROCPRIM_400000_NS6detail17trampoline_kernelINS0_14default_configENS1_38merge_sort_block_merge_config_selectorIjN6thrust23THRUST_200600_302600_NS5tupleIffNS6_9null_typeES8_S8_S8_S8_S8_S8_S8_EEEEZZNS1_27merge_sort_block_merge_implIS3_NS6_6detail15normal_iteratorINS6_10device_ptrIjEEEENSD_INSE_IS9_EEEEjNS1_19radix_merge_compareILb0ELb1EjNS0_19identity_decomposerEEEEE10hipError_tT0_T1_T2_jT3_P12ihipStream_tbPNSt15iterator_traitsISN_E10value_typeEPNST_ISO_E10value_typeEPSP_NS1_7vsmem_tEENKUlT_SN_SO_SP_E_clISG_PjSI_PS9_EESM_S12_SN_SO_SP_EUlS12_E0_NS1_11comp_targetILNS1_3genE3ELNS1_11target_archE908ELNS1_3gpuE7ELNS1_3repE0EEENS1_38merge_mergepath_config_static_selectorELNS0_4arch9wavefront6targetE0EEEvSO_.private_seg_size, 0
	.set _ZN7rocprim17ROCPRIM_400000_NS6detail17trampoline_kernelINS0_14default_configENS1_38merge_sort_block_merge_config_selectorIjN6thrust23THRUST_200600_302600_NS5tupleIffNS6_9null_typeES8_S8_S8_S8_S8_S8_S8_EEEEZZNS1_27merge_sort_block_merge_implIS3_NS6_6detail15normal_iteratorINS6_10device_ptrIjEEEENSD_INSE_IS9_EEEEjNS1_19radix_merge_compareILb0ELb1EjNS0_19identity_decomposerEEEEE10hipError_tT0_T1_T2_jT3_P12ihipStream_tbPNSt15iterator_traitsISN_E10value_typeEPNST_ISO_E10value_typeEPSP_NS1_7vsmem_tEENKUlT_SN_SO_SP_E_clISG_PjSI_PS9_EESM_S12_SN_SO_SP_EUlS12_E0_NS1_11comp_targetILNS1_3genE3ELNS1_11target_archE908ELNS1_3gpuE7ELNS1_3repE0EEENS1_38merge_mergepath_config_static_selectorELNS0_4arch9wavefront6targetE0EEEvSO_.uses_vcc, 0
	.set _ZN7rocprim17ROCPRIM_400000_NS6detail17trampoline_kernelINS0_14default_configENS1_38merge_sort_block_merge_config_selectorIjN6thrust23THRUST_200600_302600_NS5tupleIffNS6_9null_typeES8_S8_S8_S8_S8_S8_S8_EEEEZZNS1_27merge_sort_block_merge_implIS3_NS6_6detail15normal_iteratorINS6_10device_ptrIjEEEENSD_INSE_IS9_EEEEjNS1_19radix_merge_compareILb0ELb1EjNS0_19identity_decomposerEEEEE10hipError_tT0_T1_T2_jT3_P12ihipStream_tbPNSt15iterator_traitsISN_E10value_typeEPNST_ISO_E10value_typeEPSP_NS1_7vsmem_tEENKUlT_SN_SO_SP_E_clISG_PjSI_PS9_EESM_S12_SN_SO_SP_EUlS12_E0_NS1_11comp_targetILNS1_3genE3ELNS1_11target_archE908ELNS1_3gpuE7ELNS1_3repE0EEENS1_38merge_mergepath_config_static_selectorELNS0_4arch9wavefront6targetE0EEEvSO_.uses_flat_scratch, 0
	.set _ZN7rocprim17ROCPRIM_400000_NS6detail17trampoline_kernelINS0_14default_configENS1_38merge_sort_block_merge_config_selectorIjN6thrust23THRUST_200600_302600_NS5tupleIffNS6_9null_typeES8_S8_S8_S8_S8_S8_S8_EEEEZZNS1_27merge_sort_block_merge_implIS3_NS6_6detail15normal_iteratorINS6_10device_ptrIjEEEENSD_INSE_IS9_EEEEjNS1_19radix_merge_compareILb0ELb1EjNS0_19identity_decomposerEEEEE10hipError_tT0_T1_T2_jT3_P12ihipStream_tbPNSt15iterator_traitsISN_E10value_typeEPNST_ISO_E10value_typeEPSP_NS1_7vsmem_tEENKUlT_SN_SO_SP_E_clISG_PjSI_PS9_EESM_S12_SN_SO_SP_EUlS12_E0_NS1_11comp_targetILNS1_3genE3ELNS1_11target_archE908ELNS1_3gpuE7ELNS1_3repE0EEENS1_38merge_mergepath_config_static_selectorELNS0_4arch9wavefront6targetE0EEEvSO_.has_dyn_sized_stack, 0
	.set _ZN7rocprim17ROCPRIM_400000_NS6detail17trampoline_kernelINS0_14default_configENS1_38merge_sort_block_merge_config_selectorIjN6thrust23THRUST_200600_302600_NS5tupleIffNS6_9null_typeES8_S8_S8_S8_S8_S8_S8_EEEEZZNS1_27merge_sort_block_merge_implIS3_NS6_6detail15normal_iteratorINS6_10device_ptrIjEEEENSD_INSE_IS9_EEEEjNS1_19radix_merge_compareILb0ELb1EjNS0_19identity_decomposerEEEEE10hipError_tT0_T1_T2_jT3_P12ihipStream_tbPNSt15iterator_traitsISN_E10value_typeEPNST_ISO_E10value_typeEPSP_NS1_7vsmem_tEENKUlT_SN_SO_SP_E_clISG_PjSI_PS9_EESM_S12_SN_SO_SP_EUlS12_E0_NS1_11comp_targetILNS1_3genE3ELNS1_11target_archE908ELNS1_3gpuE7ELNS1_3repE0EEENS1_38merge_mergepath_config_static_selectorELNS0_4arch9wavefront6targetE0EEEvSO_.has_recursion, 0
	.set _ZN7rocprim17ROCPRIM_400000_NS6detail17trampoline_kernelINS0_14default_configENS1_38merge_sort_block_merge_config_selectorIjN6thrust23THRUST_200600_302600_NS5tupleIffNS6_9null_typeES8_S8_S8_S8_S8_S8_S8_EEEEZZNS1_27merge_sort_block_merge_implIS3_NS6_6detail15normal_iteratorINS6_10device_ptrIjEEEENSD_INSE_IS9_EEEEjNS1_19radix_merge_compareILb0ELb1EjNS0_19identity_decomposerEEEEE10hipError_tT0_T1_T2_jT3_P12ihipStream_tbPNSt15iterator_traitsISN_E10value_typeEPNST_ISO_E10value_typeEPSP_NS1_7vsmem_tEENKUlT_SN_SO_SP_E_clISG_PjSI_PS9_EESM_S12_SN_SO_SP_EUlS12_E0_NS1_11comp_targetILNS1_3genE3ELNS1_11target_archE908ELNS1_3gpuE7ELNS1_3repE0EEENS1_38merge_mergepath_config_static_selectorELNS0_4arch9wavefront6targetE0EEEvSO_.has_indirect_call, 0
	.section	.AMDGPU.csdata,"",@progbits
; Kernel info:
; codeLenInByte = 0
; TotalNumSgprs: 0
; NumVgprs: 0
; ScratchSize: 0
; MemoryBound: 0
; FloatMode: 240
; IeeeMode: 1
; LDSByteSize: 0 bytes/workgroup (compile time only)
; SGPRBlocks: 0
; VGPRBlocks: 0
; NumSGPRsForWavesPerEU: 1
; NumVGPRsForWavesPerEU: 1
; NamedBarCnt: 0
; Occupancy: 16
; WaveLimiterHint : 0
; COMPUTE_PGM_RSRC2:SCRATCH_EN: 0
; COMPUTE_PGM_RSRC2:USER_SGPR: 2
; COMPUTE_PGM_RSRC2:TRAP_HANDLER: 0
; COMPUTE_PGM_RSRC2:TGID_X_EN: 1
; COMPUTE_PGM_RSRC2:TGID_Y_EN: 0
; COMPUTE_PGM_RSRC2:TGID_Z_EN: 0
; COMPUTE_PGM_RSRC2:TIDIG_COMP_CNT: 0
	.section	.text._ZN7rocprim17ROCPRIM_400000_NS6detail17trampoline_kernelINS0_14default_configENS1_38merge_sort_block_merge_config_selectorIjN6thrust23THRUST_200600_302600_NS5tupleIffNS6_9null_typeES8_S8_S8_S8_S8_S8_S8_EEEEZZNS1_27merge_sort_block_merge_implIS3_NS6_6detail15normal_iteratorINS6_10device_ptrIjEEEENSD_INSE_IS9_EEEEjNS1_19radix_merge_compareILb0ELb1EjNS0_19identity_decomposerEEEEE10hipError_tT0_T1_T2_jT3_P12ihipStream_tbPNSt15iterator_traitsISN_E10value_typeEPNST_ISO_E10value_typeEPSP_NS1_7vsmem_tEENKUlT_SN_SO_SP_E_clISG_PjSI_PS9_EESM_S12_SN_SO_SP_EUlS12_E0_NS1_11comp_targetILNS1_3genE2ELNS1_11target_archE906ELNS1_3gpuE6ELNS1_3repE0EEENS1_38merge_mergepath_config_static_selectorELNS0_4arch9wavefront6targetE0EEEvSO_,"axG",@progbits,_ZN7rocprim17ROCPRIM_400000_NS6detail17trampoline_kernelINS0_14default_configENS1_38merge_sort_block_merge_config_selectorIjN6thrust23THRUST_200600_302600_NS5tupleIffNS6_9null_typeES8_S8_S8_S8_S8_S8_S8_EEEEZZNS1_27merge_sort_block_merge_implIS3_NS6_6detail15normal_iteratorINS6_10device_ptrIjEEEENSD_INSE_IS9_EEEEjNS1_19radix_merge_compareILb0ELb1EjNS0_19identity_decomposerEEEEE10hipError_tT0_T1_T2_jT3_P12ihipStream_tbPNSt15iterator_traitsISN_E10value_typeEPNST_ISO_E10value_typeEPSP_NS1_7vsmem_tEENKUlT_SN_SO_SP_E_clISG_PjSI_PS9_EESM_S12_SN_SO_SP_EUlS12_E0_NS1_11comp_targetILNS1_3genE2ELNS1_11target_archE906ELNS1_3gpuE6ELNS1_3repE0EEENS1_38merge_mergepath_config_static_selectorELNS0_4arch9wavefront6targetE0EEEvSO_,comdat
	.protected	_ZN7rocprim17ROCPRIM_400000_NS6detail17trampoline_kernelINS0_14default_configENS1_38merge_sort_block_merge_config_selectorIjN6thrust23THRUST_200600_302600_NS5tupleIffNS6_9null_typeES8_S8_S8_S8_S8_S8_S8_EEEEZZNS1_27merge_sort_block_merge_implIS3_NS6_6detail15normal_iteratorINS6_10device_ptrIjEEEENSD_INSE_IS9_EEEEjNS1_19radix_merge_compareILb0ELb1EjNS0_19identity_decomposerEEEEE10hipError_tT0_T1_T2_jT3_P12ihipStream_tbPNSt15iterator_traitsISN_E10value_typeEPNST_ISO_E10value_typeEPSP_NS1_7vsmem_tEENKUlT_SN_SO_SP_E_clISG_PjSI_PS9_EESM_S12_SN_SO_SP_EUlS12_E0_NS1_11comp_targetILNS1_3genE2ELNS1_11target_archE906ELNS1_3gpuE6ELNS1_3repE0EEENS1_38merge_mergepath_config_static_selectorELNS0_4arch9wavefront6targetE0EEEvSO_ ; -- Begin function _ZN7rocprim17ROCPRIM_400000_NS6detail17trampoline_kernelINS0_14default_configENS1_38merge_sort_block_merge_config_selectorIjN6thrust23THRUST_200600_302600_NS5tupleIffNS6_9null_typeES8_S8_S8_S8_S8_S8_S8_EEEEZZNS1_27merge_sort_block_merge_implIS3_NS6_6detail15normal_iteratorINS6_10device_ptrIjEEEENSD_INSE_IS9_EEEEjNS1_19radix_merge_compareILb0ELb1EjNS0_19identity_decomposerEEEEE10hipError_tT0_T1_T2_jT3_P12ihipStream_tbPNSt15iterator_traitsISN_E10value_typeEPNST_ISO_E10value_typeEPSP_NS1_7vsmem_tEENKUlT_SN_SO_SP_E_clISG_PjSI_PS9_EESM_S12_SN_SO_SP_EUlS12_E0_NS1_11comp_targetILNS1_3genE2ELNS1_11target_archE906ELNS1_3gpuE6ELNS1_3repE0EEENS1_38merge_mergepath_config_static_selectorELNS0_4arch9wavefront6targetE0EEEvSO_
	.globl	_ZN7rocprim17ROCPRIM_400000_NS6detail17trampoline_kernelINS0_14default_configENS1_38merge_sort_block_merge_config_selectorIjN6thrust23THRUST_200600_302600_NS5tupleIffNS6_9null_typeES8_S8_S8_S8_S8_S8_S8_EEEEZZNS1_27merge_sort_block_merge_implIS3_NS6_6detail15normal_iteratorINS6_10device_ptrIjEEEENSD_INSE_IS9_EEEEjNS1_19radix_merge_compareILb0ELb1EjNS0_19identity_decomposerEEEEE10hipError_tT0_T1_T2_jT3_P12ihipStream_tbPNSt15iterator_traitsISN_E10value_typeEPNST_ISO_E10value_typeEPSP_NS1_7vsmem_tEENKUlT_SN_SO_SP_E_clISG_PjSI_PS9_EESM_S12_SN_SO_SP_EUlS12_E0_NS1_11comp_targetILNS1_3genE2ELNS1_11target_archE906ELNS1_3gpuE6ELNS1_3repE0EEENS1_38merge_mergepath_config_static_selectorELNS0_4arch9wavefront6targetE0EEEvSO_
	.p2align	8
	.type	_ZN7rocprim17ROCPRIM_400000_NS6detail17trampoline_kernelINS0_14default_configENS1_38merge_sort_block_merge_config_selectorIjN6thrust23THRUST_200600_302600_NS5tupleIffNS6_9null_typeES8_S8_S8_S8_S8_S8_S8_EEEEZZNS1_27merge_sort_block_merge_implIS3_NS6_6detail15normal_iteratorINS6_10device_ptrIjEEEENSD_INSE_IS9_EEEEjNS1_19radix_merge_compareILb0ELb1EjNS0_19identity_decomposerEEEEE10hipError_tT0_T1_T2_jT3_P12ihipStream_tbPNSt15iterator_traitsISN_E10value_typeEPNST_ISO_E10value_typeEPSP_NS1_7vsmem_tEENKUlT_SN_SO_SP_E_clISG_PjSI_PS9_EESM_S12_SN_SO_SP_EUlS12_E0_NS1_11comp_targetILNS1_3genE2ELNS1_11target_archE906ELNS1_3gpuE6ELNS1_3repE0EEENS1_38merge_mergepath_config_static_selectorELNS0_4arch9wavefront6targetE0EEEvSO_,@function
_ZN7rocprim17ROCPRIM_400000_NS6detail17trampoline_kernelINS0_14default_configENS1_38merge_sort_block_merge_config_selectorIjN6thrust23THRUST_200600_302600_NS5tupleIffNS6_9null_typeES8_S8_S8_S8_S8_S8_S8_EEEEZZNS1_27merge_sort_block_merge_implIS3_NS6_6detail15normal_iteratorINS6_10device_ptrIjEEEENSD_INSE_IS9_EEEEjNS1_19radix_merge_compareILb0ELb1EjNS0_19identity_decomposerEEEEE10hipError_tT0_T1_T2_jT3_P12ihipStream_tbPNSt15iterator_traitsISN_E10value_typeEPNST_ISO_E10value_typeEPSP_NS1_7vsmem_tEENKUlT_SN_SO_SP_E_clISG_PjSI_PS9_EESM_S12_SN_SO_SP_EUlS12_E0_NS1_11comp_targetILNS1_3genE2ELNS1_11target_archE906ELNS1_3gpuE6ELNS1_3repE0EEENS1_38merge_mergepath_config_static_selectorELNS0_4arch9wavefront6targetE0EEEvSO_: ; @_ZN7rocprim17ROCPRIM_400000_NS6detail17trampoline_kernelINS0_14default_configENS1_38merge_sort_block_merge_config_selectorIjN6thrust23THRUST_200600_302600_NS5tupleIffNS6_9null_typeES8_S8_S8_S8_S8_S8_S8_EEEEZZNS1_27merge_sort_block_merge_implIS3_NS6_6detail15normal_iteratorINS6_10device_ptrIjEEEENSD_INSE_IS9_EEEEjNS1_19radix_merge_compareILb0ELb1EjNS0_19identity_decomposerEEEEE10hipError_tT0_T1_T2_jT3_P12ihipStream_tbPNSt15iterator_traitsISN_E10value_typeEPNST_ISO_E10value_typeEPSP_NS1_7vsmem_tEENKUlT_SN_SO_SP_E_clISG_PjSI_PS9_EESM_S12_SN_SO_SP_EUlS12_E0_NS1_11comp_targetILNS1_3genE2ELNS1_11target_archE906ELNS1_3gpuE6ELNS1_3repE0EEENS1_38merge_mergepath_config_static_selectorELNS0_4arch9wavefront6targetE0EEEvSO_
; %bb.0:
	.section	.rodata,"a",@progbits
	.p2align	6, 0x0
	.amdhsa_kernel _ZN7rocprim17ROCPRIM_400000_NS6detail17trampoline_kernelINS0_14default_configENS1_38merge_sort_block_merge_config_selectorIjN6thrust23THRUST_200600_302600_NS5tupleIffNS6_9null_typeES8_S8_S8_S8_S8_S8_S8_EEEEZZNS1_27merge_sort_block_merge_implIS3_NS6_6detail15normal_iteratorINS6_10device_ptrIjEEEENSD_INSE_IS9_EEEEjNS1_19radix_merge_compareILb0ELb1EjNS0_19identity_decomposerEEEEE10hipError_tT0_T1_T2_jT3_P12ihipStream_tbPNSt15iterator_traitsISN_E10value_typeEPNST_ISO_E10value_typeEPSP_NS1_7vsmem_tEENKUlT_SN_SO_SP_E_clISG_PjSI_PS9_EESM_S12_SN_SO_SP_EUlS12_E0_NS1_11comp_targetILNS1_3genE2ELNS1_11target_archE906ELNS1_3gpuE6ELNS1_3repE0EEENS1_38merge_mergepath_config_static_selectorELNS0_4arch9wavefront6targetE0EEEvSO_
		.amdhsa_group_segment_fixed_size 0
		.amdhsa_private_segment_fixed_size 0
		.amdhsa_kernarg_size 64
		.amdhsa_user_sgpr_count 2
		.amdhsa_user_sgpr_dispatch_ptr 0
		.amdhsa_user_sgpr_queue_ptr 0
		.amdhsa_user_sgpr_kernarg_segment_ptr 1
		.amdhsa_user_sgpr_dispatch_id 0
		.amdhsa_user_sgpr_kernarg_preload_length 0
		.amdhsa_user_sgpr_kernarg_preload_offset 0
		.amdhsa_user_sgpr_private_segment_size 0
		.amdhsa_wavefront_size32 1
		.amdhsa_uses_dynamic_stack 0
		.amdhsa_enable_private_segment 0
		.amdhsa_system_sgpr_workgroup_id_x 1
		.amdhsa_system_sgpr_workgroup_id_y 0
		.amdhsa_system_sgpr_workgroup_id_z 0
		.amdhsa_system_sgpr_workgroup_info 0
		.amdhsa_system_vgpr_workitem_id 0
		.amdhsa_next_free_vgpr 1
		.amdhsa_next_free_sgpr 1
		.amdhsa_named_barrier_count 0
		.amdhsa_reserve_vcc 0
		.amdhsa_float_round_mode_32 0
		.amdhsa_float_round_mode_16_64 0
		.amdhsa_float_denorm_mode_32 3
		.amdhsa_float_denorm_mode_16_64 3
		.amdhsa_fp16_overflow 0
		.amdhsa_memory_ordered 1
		.amdhsa_forward_progress 1
		.amdhsa_inst_pref_size 0
		.amdhsa_round_robin_scheduling 0
		.amdhsa_exception_fp_ieee_invalid_op 0
		.amdhsa_exception_fp_denorm_src 0
		.amdhsa_exception_fp_ieee_div_zero 0
		.amdhsa_exception_fp_ieee_overflow 0
		.amdhsa_exception_fp_ieee_underflow 0
		.amdhsa_exception_fp_ieee_inexact 0
		.amdhsa_exception_int_div_zero 0
	.end_amdhsa_kernel
	.section	.text._ZN7rocprim17ROCPRIM_400000_NS6detail17trampoline_kernelINS0_14default_configENS1_38merge_sort_block_merge_config_selectorIjN6thrust23THRUST_200600_302600_NS5tupleIffNS6_9null_typeES8_S8_S8_S8_S8_S8_S8_EEEEZZNS1_27merge_sort_block_merge_implIS3_NS6_6detail15normal_iteratorINS6_10device_ptrIjEEEENSD_INSE_IS9_EEEEjNS1_19radix_merge_compareILb0ELb1EjNS0_19identity_decomposerEEEEE10hipError_tT0_T1_T2_jT3_P12ihipStream_tbPNSt15iterator_traitsISN_E10value_typeEPNST_ISO_E10value_typeEPSP_NS1_7vsmem_tEENKUlT_SN_SO_SP_E_clISG_PjSI_PS9_EESM_S12_SN_SO_SP_EUlS12_E0_NS1_11comp_targetILNS1_3genE2ELNS1_11target_archE906ELNS1_3gpuE6ELNS1_3repE0EEENS1_38merge_mergepath_config_static_selectorELNS0_4arch9wavefront6targetE0EEEvSO_,"axG",@progbits,_ZN7rocprim17ROCPRIM_400000_NS6detail17trampoline_kernelINS0_14default_configENS1_38merge_sort_block_merge_config_selectorIjN6thrust23THRUST_200600_302600_NS5tupleIffNS6_9null_typeES8_S8_S8_S8_S8_S8_S8_EEEEZZNS1_27merge_sort_block_merge_implIS3_NS6_6detail15normal_iteratorINS6_10device_ptrIjEEEENSD_INSE_IS9_EEEEjNS1_19radix_merge_compareILb0ELb1EjNS0_19identity_decomposerEEEEE10hipError_tT0_T1_T2_jT3_P12ihipStream_tbPNSt15iterator_traitsISN_E10value_typeEPNST_ISO_E10value_typeEPSP_NS1_7vsmem_tEENKUlT_SN_SO_SP_E_clISG_PjSI_PS9_EESM_S12_SN_SO_SP_EUlS12_E0_NS1_11comp_targetILNS1_3genE2ELNS1_11target_archE906ELNS1_3gpuE6ELNS1_3repE0EEENS1_38merge_mergepath_config_static_selectorELNS0_4arch9wavefront6targetE0EEEvSO_,comdat
.Lfunc_end128:
	.size	_ZN7rocprim17ROCPRIM_400000_NS6detail17trampoline_kernelINS0_14default_configENS1_38merge_sort_block_merge_config_selectorIjN6thrust23THRUST_200600_302600_NS5tupleIffNS6_9null_typeES8_S8_S8_S8_S8_S8_S8_EEEEZZNS1_27merge_sort_block_merge_implIS3_NS6_6detail15normal_iteratorINS6_10device_ptrIjEEEENSD_INSE_IS9_EEEEjNS1_19radix_merge_compareILb0ELb1EjNS0_19identity_decomposerEEEEE10hipError_tT0_T1_T2_jT3_P12ihipStream_tbPNSt15iterator_traitsISN_E10value_typeEPNST_ISO_E10value_typeEPSP_NS1_7vsmem_tEENKUlT_SN_SO_SP_E_clISG_PjSI_PS9_EESM_S12_SN_SO_SP_EUlS12_E0_NS1_11comp_targetILNS1_3genE2ELNS1_11target_archE906ELNS1_3gpuE6ELNS1_3repE0EEENS1_38merge_mergepath_config_static_selectorELNS0_4arch9wavefront6targetE0EEEvSO_, .Lfunc_end128-_ZN7rocprim17ROCPRIM_400000_NS6detail17trampoline_kernelINS0_14default_configENS1_38merge_sort_block_merge_config_selectorIjN6thrust23THRUST_200600_302600_NS5tupleIffNS6_9null_typeES8_S8_S8_S8_S8_S8_S8_EEEEZZNS1_27merge_sort_block_merge_implIS3_NS6_6detail15normal_iteratorINS6_10device_ptrIjEEEENSD_INSE_IS9_EEEEjNS1_19radix_merge_compareILb0ELb1EjNS0_19identity_decomposerEEEEE10hipError_tT0_T1_T2_jT3_P12ihipStream_tbPNSt15iterator_traitsISN_E10value_typeEPNST_ISO_E10value_typeEPSP_NS1_7vsmem_tEENKUlT_SN_SO_SP_E_clISG_PjSI_PS9_EESM_S12_SN_SO_SP_EUlS12_E0_NS1_11comp_targetILNS1_3genE2ELNS1_11target_archE906ELNS1_3gpuE6ELNS1_3repE0EEENS1_38merge_mergepath_config_static_selectorELNS0_4arch9wavefront6targetE0EEEvSO_
                                        ; -- End function
	.set _ZN7rocprim17ROCPRIM_400000_NS6detail17trampoline_kernelINS0_14default_configENS1_38merge_sort_block_merge_config_selectorIjN6thrust23THRUST_200600_302600_NS5tupleIffNS6_9null_typeES8_S8_S8_S8_S8_S8_S8_EEEEZZNS1_27merge_sort_block_merge_implIS3_NS6_6detail15normal_iteratorINS6_10device_ptrIjEEEENSD_INSE_IS9_EEEEjNS1_19radix_merge_compareILb0ELb1EjNS0_19identity_decomposerEEEEE10hipError_tT0_T1_T2_jT3_P12ihipStream_tbPNSt15iterator_traitsISN_E10value_typeEPNST_ISO_E10value_typeEPSP_NS1_7vsmem_tEENKUlT_SN_SO_SP_E_clISG_PjSI_PS9_EESM_S12_SN_SO_SP_EUlS12_E0_NS1_11comp_targetILNS1_3genE2ELNS1_11target_archE906ELNS1_3gpuE6ELNS1_3repE0EEENS1_38merge_mergepath_config_static_selectorELNS0_4arch9wavefront6targetE0EEEvSO_.num_vgpr, 0
	.set _ZN7rocprim17ROCPRIM_400000_NS6detail17trampoline_kernelINS0_14default_configENS1_38merge_sort_block_merge_config_selectorIjN6thrust23THRUST_200600_302600_NS5tupleIffNS6_9null_typeES8_S8_S8_S8_S8_S8_S8_EEEEZZNS1_27merge_sort_block_merge_implIS3_NS6_6detail15normal_iteratorINS6_10device_ptrIjEEEENSD_INSE_IS9_EEEEjNS1_19radix_merge_compareILb0ELb1EjNS0_19identity_decomposerEEEEE10hipError_tT0_T1_T2_jT3_P12ihipStream_tbPNSt15iterator_traitsISN_E10value_typeEPNST_ISO_E10value_typeEPSP_NS1_7vsmem_tEENKUlT_SN_SO_SP_E_clISG_PjSI_PS9_EESM_S12_SN_SO_SP_EUlS12_E0_NS1_11comp_targetILNS1_3genE2ELNS1_11target_archE906ELNS1_3gpuE6ELNS1_3repE0EEENS1_38merge_mergepath_config_static_selectorELNS0_4arch9wavefront6targetE0EEEvSO_.num_agpr, 0
	.set _ZN7rocprim17ROCPRIM_400000_NS6detail17trampoline_kernelINS0_14default_configENS1_38merge_sort_block_merge_config_selectorIjN6thrust23THRUST_200600_302600_NS5tupleIffNS6_9null_typeES8_S8_S8_S8_S8_S8_S8_EEEEZZNS1_27merge_sort_block_merge_implIS3_NS6_6detail15normal_iteratorINS6_10device_ptrIjEEEENSD_INSE_IS9_EEEEjNS1_19radix_merge_compareILb0ELb1EjNS0_19identity_decomposerEEEEE10hipError_tT0_T1_T2_jT3_P12ihipStream_tbPNSt15iterator_traitsISN_E10value_typeEPNST_ISO_E10value_typeEPSP_NS1_7vsmem_tEENKUlT_SN_SO_SP_E_clISG_PjSI_PS9_EESM_S12_SN_SO_SP_EUlS12_E0_NS1_11comp_targetILNS1_3genE2ELNS1_11target_archE906ELNS1_3gpuE6ELNS1_3repE0EEENS1_38merge_mergepath_config_static_selectorELNS0_4arch9wavefront6targetE0EEEvSO_.numbered_sgpr, 0
	.set _ZN7rocprim17ROCPRIM_400000_NS6detail17trampoline_kernelINS0_14default_configENS1_38merge_sort_block_merge_config_selectorIjN6thrust23THRUST_200600_302600_NS5tupleIffNS6_9null_typeES8_S8_S8_S8_S8_S8_S8_EEEEZZNS1_27merge_sort_block_merge_implIS3_NS6_6detail15normal_iteratorINS6_10device_ptrIjEEEENSD_INSE_IS9_EEEEjNS1_19radix_merge_compareILb0ELb1EjNS0_19identity_decomposerEEEEE10hipError_tT0_T1_T2_jT3_P12ihipStream_tbPNSt15iterator_traitsISN_E10value_typeEPNST_ISO_E10value_typeEPSP_NS1_7vsmem_tEENKUlT_SN_SO_SP_E_clISG_PjSI_PS9_EESM_S12_SN_SO_SP_EUlS12_E0_NS1_11comp_targetILNS1_3genE2ELNS1_11target_archE906ELNS1_3gpuE6ELNS1_3repE0EEENS1_38merge_mergepath_config_static_selectorELNS0_4arch9wavefront6targetE0EEEvSO_.num_named_barrier, 0
	.set _ZN7rocprim17ROCPRIM_400000_NS6detail17trampoline_kernelINS0_14default_configENS1_38merge_sort_block_merge_config_selectorIjN6thrust23THRUST_200600_302600_NS5tupleIffNS6_9null_typeES8_S8_S8_S8_S8_S8_S8_EEEEZZNS1_27merge_sort_block_merge_implIS3_NS6_6detail15normal_iteratorINS6_10device_ptrIjEEEENSD_INSE_IS9_EEEEjNS1_19radix_merge_compareILb0ELb1EjNS0_19identity_decomposerEEEEE10hipError_tT0_T1_T2_jT3_P12ihipStream_tbPNSt15iterator_traitsISN_E10value_typeEPNST_ISO_E10value_typeEPSP_NS1_7vsmem_tEENKUlT_SN_SO_SP_E_clISG_PjSI_PS9_EESM_S12_SN_SO_SP_EUlS12_E0_NS1_11comp_targetILNS1_3genE2ELNS1_11target_archE906ELNS1_3gpuE6ELNS1_3repE0EEENS1_38merge_mergepath_config_static_selectorELNS0_4arch9wavefront6targetE0EEEvSO_.private_seg_size, 0
	.set _ZN7rocprim17ROCPRIM_400000_NS6detail17trampoline_kernelINS0_14default_configENS1_38merge_sort_block_merge_config_selectorIjN6thrust23THRUST_200600_302600_NS5tupleIffNS6_9null_typeES8_S8_S8_S8_S8_S8_S8_EEEEZZNS1_27merge_sort_block_merge_implIS3_NS6_6detail15normal_iteratorINS6_10device_ptrIjEEEENSD_INSE_IS9_EEEEjNS1_19radix_merge_compareILb0ELb1EjNS0_19identity_decomposerEEEEE10hipError_tT0_T1_T2_jT3_P12ihipStream_tbPNSt15iterator_traitsISN_E10value_typeEPNST_ISO_E10value_typeEPSP_NS1_7vsmem_tEENKUlT_SN_SO_SP_E_clISG_PjSI_PS9_EESM_S12_SN_SO_SP_EUlS12_E0_NS1_11comp_targetILNS1_3genE2ELNS1_11target_archE906ELNS1_3gpuE6ELNS1_3repE0EEENS1_38merge_mergepath_config_static_selectorELNS0_4arch9wavefront6targetE0EEEvSO_.uses_vcc, 0
	.set _ZN7rocprim17ROCPRIM_400000_NS6detail17trampoline_kernelINS0_14default_configENS1_38merge_sort_block_merge_config_selectorIjN6thrust23THRUST_200600_302600_NS5tupleIffNS6_9null_typeES8_S8_S8_S8_S8_S8_S8_EEEEZZNS1_27merge_sort_block_merge_implIS3_NS6_6detail15normal_iteratorINS6_10device_ptrIjEEEENSD_INSE_IS9_EEEEjNS1_19radix_merge_compareILb0ELb1EjNS0_19identity_decomposerEEEEE10hipError_tT0_T1_T2_jT3_P12ihipStream_tbPNSt15iterator_traitsISN_E10value_typeEPNST_ISO_E10value_typeEPSP_NS1_7vsmem_tEENKUlT_SN_SO_SP_E_clISG_PjSI_PS9_EESM_S12_SN_SO_SP_EUlS12_E0_NS1_11comp_targetILNS1_3genE2ELNS1_11target_archE906ELNS1_3gpuE6ELNS1_3repE0EEENS1_38merge_mergepath_config_static_selectorELNS0_4arch9wavefront6targetE0EEEvSO_.uses_flat_scratch, 0
	.set _ZN7rocprim17ROCPRIM_400000_NS6detail17trampoline_kernelINS0_14default_configENS1_38merge_sort_block_merge_config_selectorIjN6thrust23THRUST_200600_302600_NS5tupleIffNS6_9null_typeES8_S8_S8_S8_S8_S8_S8_EEEEZZNS1_27merge_sort_block_merge_implIS3_NS6_6detail15normal_iteratorINS6_10device_ptrIjEEEENSD_INSE_IS9_EEEEjNS1_19radix_merge_compareILb0ELb1EjNS0_19identity_decomposerEEEEE10hipError_tT0_T1_T2_jT3_P12ihipStream_tbPNSt15iterator_traitsISN_E10value_typeEPNST_ISO_E10value_typeEPSP_NS1_7vsmem_tEENKUlT_SN_SO_SP_E_clISG_PjSI_PS9_EESM_S12_SN_SO_SP_EUlS12_E0_NS1_11comp_targetILNS1_3genE2ELNS1_11target_archE906ELNS1_3gpuE6ELNS1_3repE0EEENS1_38merge_mergepath_config_static_selectorELNS0_4arch9wavefront6targetE0EEEvSO_.has_dyn_sized_stack, 0
	.set _ZN7rocprim17ROCPRIM_400000_NS6detail17trampoline_kernelINS0_14default_configENS1_38merge_sort_block_merge_config_selectorIjN6thrust23THRUST_200600_302600_NS5tupleIffNS6_9null_typeES8_S8_S8_S8_S8_S8_S8_EEEEZZNS1_27merge_sort_block_merge_implIS3_NS6_6detail15normal_iteratorINS6_10device_ptrIjEEEENSD_INSE_IS9_EEEEjNS1_19radix_merge_compareILb0ELb1EjNS0_19identity_decomposerEEEEE10hipError_tT0_T1_T2_jT3_P12ihipStream_tbPNSt15iterator_traitsISN_E10value_typeEPNST_ISO_E10value_typeEPSP_NS1_7vsmem_tEENKUlT_SN_SO_SP_E_clISG_PjSI_PS9_EESM_S12_SN_SO_SP_EUlS12_E0_NS1_11comp_targetILNS1_3genE2ELNS1_11target_archE906ELNS1_3gpuE6ELNS1_3repE0EEENS1_38merge_mergepath_config_static_selectorELNS0_4arch9wavefront6targetE0EEEvSO_.has_recursion, 0
	.set _ZN7rocprim17ROCPRIM_400000_NS6detail17trampoline_kernelINS0_14default_configENS1_38merge_sort_block_merge_config_selectorIjN6thrust23THRUST_200600_302600_NS5tupleIffNS6_9null_typeES8_S8_S8_S8_S8_S8_S8_EEEEZZNS1_27merge_sort_block_merge_implIS3_NS6_6detail15normal_iteratorINS6_10device_ptrIjEEEENSD_INSE_IS9_EEEEjNS1_19radix_merge_compareILb0ELb1EjNS0_19identity_decomposerEEEEE10hipError_tT0_T1_T2_jT3_P12ihipStream_tbPNSt15iterator_traitsISN_E10value_typeEPNST_ISO_E10value_typeEPSP_NS1_7vsmem_tEENKUlT_SN_SO_SP_E_clISG_PjSI_PS9_EESM_S12_SN_SO_SP_EUlS12_E0_NS1_11comp_targetILNS1_3genE2ELNS1_11target_archE906ELNS1_3gpuE6ELNS1_3repE0EEENS1_38merge_mergepath_config_static_selectorELNS0_4arch9wavefront6targetE0EEEvSO_.has_indirect_call, 0
	.section	.AMDGPU.csdata,"",@progbits
; Kernel info:
; codeLenInByte = 0
; TotalNumSgprs: 0
; NumVgprs: 0
; ScratchSize: 0
; MemoryBound: 0
; FloatMode: 240
; IeeeMode: 1
; LDSByteSize: 0 bytes/workgroup (compile time only)
; SGPRBlocks: 0
; VGPRBlocks: 0
; NumSGPRsForWavesPerEU: 1
; NumVGPRsForWavesPerEU: 1
; NamedBarCnt: 0
; Occupancy: 16
; WaveLimiterHint : 0
; COMPUTE_PGM_RSRC2:SCRATCH_EN: 0
; COMPUTE_PGM_RSRC2:USER_SGPR: 2
; COMPUTE_PGM_RSRC2:TRAP_HANDLER: 0
; COMPUTE_PGM_RSRC2:TGID_X_EN: 1
; COMPUTE_PGM_RSRC2:TGID_Y_EN: 0
; COMPUTE_PGM_RSRC2:TGID_Z_EN: 0
; COMPUTE_PGM_RSRC2:TIDIG_COMP_CNT: 0
	.section	.text._ZN7rocprim17ROCPRIM_400000_NS6detail17trampoline_kernelINS0_14default_configENS1_38merge_sort_block_merge_config_selectorIjN6thrust23THRUST_200600_302600_NS5tupleIffNS6_9null_typeES8_S8_S8_S8_S8_S8_S8_EEEEZZNS1_27merge_sort_block_merge_implIS3_NS6_6detail15normal_iteratorINS6_10device_ptrIjEEEENSD_INSE_IS9_EEEEjNS1_19radix_merge_compareILb0ELb1EjNS0_19identity_decomposerEEEEE10hipError_tT0_T1_T2_jT3_P12ihipStream_tbPNSt15iterator_traitsISN_E10value_typeEPNST_ISO_E10value_typeEPSP_NS1_7vsmem_tEENKUlT_SN_SO_SP_E_clISG_PjSI_PS9_EESM_S12_SN_SO_SP_EUlS12_E0_NS1_11comp_targetILNS1_3genE9ELNS1_11target_archE1100ELNS1_3gpuE3ELNS1_3repE0EEENS1_38merge_mergepath_config_static_selectorELNS0_4arch9wavefront6targetE0EEEvSO_,"axG",@progbits,_ZN7rocprim17ROCPRIM_400000_NS6detail17trampoline_kernelINS0_14default_configENS1_38merge_sort_block_merge_config_selectorIjN6thrust23THRUST_200600_302600_NS5tupleIffNS6_9null_typeES8_S8_S8_S8_S8_S8_S8_EEEEZZNS1_27merge_sort_block_merge_implIS3_NS6_6detail15normal_iteratorINS6_10device_ptrIjEEEENSD_INSE_IS9_EEEEjNS1_19radix_merge_compareILb0ELb1EjNS0_19identity_decomposerEEEEE10hipError_tT0_T1_T2_jT3_P12ihipStream_tbPNSt15iterator_traitsISN_E10value_typeEPNST_ISO_E10value_typeEPSP_NS1_7vsmem_tEENKUlT_SN_SO_SP_E_clISG_PjSI_PS9_EESM_S12_SN_SO_SP_EUlS12_E0_NS1_11comp_targetILNS1_3genE9ELNS1_11target_archE1100ELNS1_3gpuE3ELNS1_3repE0EEENS1_38merge_mergepath_config_static_selectorELNS0_4arch9wavefront6targetE0EEEvSO_,comdat
	.protected	_ZN7rocprim17ROCPRIM_400000_NS6detail17trampoline_kernelINS0_14default_configENS1_38merge_sort_block_merge_config_selectorIjN6thrust23THRUST_200600_302600_NS5tupleIffNS6_9null_typeES8_S8_S8_S8_S8_S8_S8_EEEEZZNS1_27merge_sort_block_merge_implIS3_NS6_6detail15normal_iteratorINS6_10device_ptrIjEEEENSD_INSE_IS9_EEEEjNS1_19radix_merge_compareILb0ELb1EjNS0_19identity_decomposerEEEEE10hipError_tT0_T1_T2_jT3_P12ihipStream_tbPNSt15iterator_traitsISN_E10value_typeEPNST_ISO_E10value_typeEPSP_NS1_7vsmem_tEENKUlT_SN_SO_SP_E_clISG_PjSI_PS9_EESM_S12_SN_SO_SP_EUlS12_E0_NS1_11comp_targetILNS1_3genE9ELNS1_11target_archE1100ELNS1_3gpuE3ELNS1_3repE0EEENS1_38merge_mergepath_config_static_selectorELNS0_4arch9wavefront6targetE0EEEvSO_ ; -- Begin function _ZN7rocprim17ROCPRIM_400000_NS6detail17trampoline_kernelINS0_14default_configENS1_38merge_sort_block_merge_config_selectorIjN6thrust23THRUST_200600_302600_NS5tupleIffNS6_9null_typeES8_S8_S8_S8_S8_S8_S8_EEEEZZNS1_27merge_sort_block_merge_implIS3_NS6_6detail15normal_iteratorINS6_10device_ptrIjEEEENSD_INSE_IS9_EEEEjNS1_19radix_merge_compareILb0ELb1EjNS0_19identity_decomposerEEEEE10hipError_tT0_T1_T2_jT3_P12ihipStream_tbPNSt15iterator_traitsISN_E10value_typeEPNST_ISO_E10value_typeEPSP_NS1_7vsmem_tEENKUlT_SN_SO_SP_E_clISG_PjSI_PS9_EESM_S12_SN_SO_SP_EUlS12_E0_NS1_11comp_targetILNS1_3genE9ELNS1_11target_archE1100ELNS1_3gpuE3ELNS1_3repE0EEENS1_38merge_mergepath_config_static_selectorELNS0_4arch9wavefront6targetE0EEEvSO_
	.globl	_ZN7rocprim17ROCPRIM_400000_NS6detail17trampoline_kernelINS0_14default_configENS1_38merge_sort_block_merge_config_selectorIjN6thrust23THRUST_200600_302600_NS5tupleIffNS6_9null_typeES8_S8_S8_S8_S8_S8_S8_EEEEZZNS1_27merge_sort_block_merge_implIS3_NS6_6detail15normal_iteratorINS6_10device_ptrIjEEEENSD_INSE_IS9_EEEEjNS1_19radix_merge_compareILb0ELb1EjNS0_19identity_decomposerEEEEE10hipError_tT0_T1_T2_jT3_P12ihipStream_tbPNSt15iterator_traitsISN_E10value_typeEPNST_ISO_E10value_typeEPSP_NS1_7vsmem_tEENKUlT_SN_SO_SP_E_clISG_PjSI_PS9_EESM_S12_SN_SO_SP_EUlS12_E0_NS1_11comp_targetILNS1_3genE9ELNS1_11target_archE1100ELNS1_3gpuE3ELNS1_3repE0EEENS1_38merge_mergepath_config_static_selectorELNS0_4arch9wavefront6targetE0EEEvSO_
	.p2align	8
	.type	_ZN7rocprim17ROCPRIM_400000_NS6detail17trampoline_kernelINS0_14default_configENS1_38merge_sort_block_merge_config_selectorIjN6thrust23THRUST_200600_302600_NS5tupleIffNS6_9null_typeES8_S8_S8_S8_S8_S8_S8_EEEEZZNS1_27merge_sort_block_merge_implIS3_NS6_6detail15normal_iteratorINS6_10device_ptrIjEEEENSD_INSE_IS9_EEEEjNS1_19radix_merge_compareILb0ELb1EjNS0_19identity_decomposerEEEEE10hipError_tT0_T1_T2_jT3_P12ihipStream_tbPNSt15iterator_traitsISN_E10value_typeEPNST_ISO_E10value_typeEPSP_NS1_7vsmem_tEENKUlT_SN_SO_SP_E_clISG_PjSI_PS9_EESM_S12_SN_SO_SP_EUlS12_E0_NS1_11comp_targetILNS1_3genE9ELNS1_11target_archE1100ELNS1_3gpuE3ELNS1_3repE0EEENS1_38merge_mergepath_config_static_selectorELNS0_4arch9wavefront6targetE0EEEvSO_,@function
_ZN7rocprim17ROCPRIM_400000_NS6detail17trampoline_kernelINS0_14default_configENS1_38merge_sort_block_merge_config_selectorIjN6thrust23THRUST_200600_302600_NS5tupleIffNS6_9null_typeES8_S8_S8_S8_S8_S8_S8_EEEEZZNS1_27merge_sort_block_merge_implIS3_NS6_6detail15normal_iteratorINS6_10device_ptrIjEEEENSD_INSE_IS9_EEEEjNS1_19radix_merge_compareILb0ELb1EjNS0_19identity_decomposerEEEEE10hipError_tT0_T1_T2_jT3_P12ihipStream_tbPNSt15iterator_traitsISN_E10value_typeEPNST_ISO_E10value_typeEPSP_NS1_7vsmem_tEENKUlT_SN_SO_SP_E_clISG_PjSI_PS9_EESM_S12_SN_SO_SP_EUlS12_E0_NS1_11comp_targetILNS1_3genE9ELNS1_11target_archE1100ELNS1_3gpuE3ELNS1_3repE0EEENS1_38merge_mergepath_config_static_selectorELNS0_4arch9wavefront6targetE0EEEvSO_: ; @_ZN7rocprim17ROCPRIM_400000_NS6detail17trampoline_kernelINS0_14default_configENS1_38merge_sort_block_merge_config_selectorIjN6thrust23THRUST_200600_302600_NS5tupleIffNS6_9null_typeES8_S8_S8_S8_S8_S8_S8_EEEEZZNS1_27merge_sort_block_merge_implIS3_NS6_6detail15normal_iteratorINS6_10device_ptrIjEEEENSD_INSE_IS9_EEEEjNS1_19radix_merge_compareILb0ELb1EjNS0_19identity_decomposerEEEEE10hipError_tT0_T1_T2_jT3_P12ihipStream_tbPNSt15iterator_traitsISN_E10value_typeEPNST_ISO_E10value_typeEPSP_NS1_7vsmem_tEENKUlT_SN_SO_SP_E_clISG_PjSI_PS9_EESM_S12_SN_SO_SP_EUlS12_E0_NS1_11comp_targetILNS1_3genE9ELNS1_11target_archE1100ELNS1_3gpuE3ELNS1_3repE0EEENS1_38merge_mergepath_config_static_selectorELNS0_4arch9wavefront6targetE0EEEvSO_
; %bb.0:
	.section	.rodata,"a",@progbits
	.p2align	6, 0x0
	.amdhsa_kernel _ZN7rocprim17ROCPRIM_400000_NS6detail17trampoline_kernelINS0_14default_configENS1_38merge_sort_block_merge_config_selectorIjN6thrust23THRUST_200600_302600_NS5tupleIffNS6_9null_typeES8_S8_S8_S8_S8_S8_S8_EEEEZZNS1_27merge_sort_block_merge_implIS3_NS6_6detail15normal_iteratorINS6_10device_ptrIjEEEENSD_INSE_IS9_EEEEjNS1_19radix_merge_compareILb0ELb1EjNS0_19identity_decomposerEEEEE10hipError_tT0_T1_T2_jT3_P12ihipStream_tbPNSt15iterator_traitsISN_E10value_typeEPNST_ISO_E10value_typeEPSP_NS1_7vsmem_tEENKUlT_SN_SO_SP_E_clISG_PjSI_PS9_EESM_S12_SN_SO_SP_EUlS12_E0_NS1_11comp_targetILNS1_3genE9ELNS1_11target_archE1100ELNS1_3gpuE3ELNS1_3repE0EEENS1_38merge_mergepath_config_static_selectorELNS0_4arch9wavefront6targetE0EEEvSO_
		.amdhsa_group_segment_fixed_size 0
		.amdhsa_private_segment_fixed_size 0
		.amdhsa_kernarg_size 64
		.amdhsa_user_sgpr_count 2
		.amdhsa_user_sgpr_dispatch_ptr 0
		.amdhsa_user_sgpr_queue_ptr 0
		.amdhsa_user_sgpr_kernarg_segment_ptr 1
		.amdhsa_user_sgpr_dispatch_id 0
		.amdhsa_user_sgpr_kernarg_preload_length 0
		.amdhsa_user_sgpr_kernarg_preload_offset 0
		.amdhsa_user_sgpr_private_segment_size 0
		.amdhsa_wavefront_size32 1
		.amdhsa_uses_dynamic_stack 0
		.amdhsa_enable_private_segment 0
		.amdhsa_system_sgpr_workgroup_id_x 1
		.amdhsa_system_sgpr_workgroup_id_y 0
		.amdhsa_system_sgpr_workgroup_id_z 0
		.amdhsa_system_sgpr_workgroup_info 0
		.amdhsa_system_vgpr_workitem_id 0
		.amdhsa_next_free_vgpr 1
		.amdhsa_next_free_sgpr 1
		.amdhsa_named_barrier_count 0
		.amdhsa_reserve_vcc 0
		.amdhsa_float_round_mode_32 0
		.amdhsa_float_round_mode_16_64 0
		.amdhsa_float_denorm_mode_32 3
		.amdhsa_float_denorm_mode_16_64 3
		.amdhsa_fp16_overflow 0
		.amdhsa_memory_ordered 1
		.amdhsa_forward_progress 1
		.amdhsa_inst_pref_size 0
		.amdhsa_round_robin_scheduling 0
		.amdhsa_exception_fp_ieee_invalid_op 0
		.amdhsa_exception_fp_denorm_src 0
		.amdhsa_exception_fp_ieee_div_zero 0
		.amdhsa_exception_fp_ieee_overflow 0
		.amdhsa_exception_fp_ieee_underflow 0
		.amdhsa_exception_fp_ieee_inexact 0
		.amdhsa_exception_int_div_zero 0
	.end_amdhsa_kernel
	.section	.text._ZN7rocprim17ROCPRIM_400000_NS6detail17trampoline_kernelINS0_14default_configENS1_38merge_sort_block_merge_config_selectorIjN6thrust23THRUST_200600_302600_NS5tupleIffNS6_9null_typeES8_S8_S8_S8_S8_S8_S8_EEEEZZNS1_27merge_sort_block_merge_implIS3_NS6_6detail15normal_iteratorINS6_10device_ptrIjEEEENSD_INSE_IS9_EEEEjNS1_19radix_merge_compareILb0ELb1EjNS0_19identity_decomposerEEEEE10hipError_tT0_T1_T2_jT3_P12ihipStream_tbPNSt15iterator_traitsISN_E10value_typeEPNST_ISO_E10value_typeEPSP_NS1_7vsmem_tEENKUlT_SN_SO_SP_E_clISG_PjSI_PS9_EESM_S12_SN_SO_SP_EUlS12_E0_NS1_11comp_targetILNS1_3genE9ELNS1_11target_archE1100ELNS1_3gpuE3ELNS1_3repE0EEENS1_38merge_mergepath_config_static_selectorELNS0_4arch9wavefront6targetE0EEEvSO_,"axG",@progbits,_ZN7rocprim17ROCPRIM_400000_NS6detail17trampoline_kernelINS0_14default_configENS1_38merge_sort_block_merge_config_selectorIjN6thrust23THRUST_200600_302600_NS5tupleIffNS6_9null_typeES8_S8_S8_S8_S8_S8_S8_EEEEZZNS1_27merge_sort_block_merge_implIS3_NS6_6detail15normal_iteratorINS6_10device_ptrIjEEEENSD_INSE_IS9_EEEEjNS1_19radix_merge_compareILb0ELb1EjNS0_19identity_decomposerEEEEE10hipError_tT0_T1_T2_jT3_P12ihipStream_tbPNSt15iterator_traitsISN_E10value_typeEPNST_ISO_E10value_typeEPSP_NS1_7vsmem_tEENKUlT_SN_SO_SP_E_clISG_PjSI_PS9_EESM_S12_SN_SO_SP_EUlS12_E0_NS1_11comp_targetILNS1_3genE9ELNS1_11target_archE1100ELNS1_3gpuE3ELNS1_3repE0EEENS1_38merge_mergepath_config_static_selectorELNS0_4arch9wavefront6targetE0EEEvSO_,comdat
.Lfunc_end129:
	.size	_ZN7rocprim17ROCPRIM_400000_NS6detail17trampoline_kernelINS0_14default_configENS1_38merge_sort_block_merge_config_selectorIjN6thrust23THRUST_200600_302600_NS5tupleIffNS6_9null_typeES8_S8_S8_S8_S8_S8_S8_EEEEZZNS1_27merge_sort_block_merge_implIS3_NS6_6detail15normal_iteratorINS6_10device_ptrIjEEEENSD_INSE_IS9_EEEEjNS1_19radix_merge_compareILb0ELb1EjNS0_19identity_decomposerEEEEE10hipError_tT0_T1_T2_jT3_P12ihipStream_tbPNSt15iterator_traitsISN_E10value_typeEPNST_ISO_E10value_typeEPSP_NS1_7vsmem_tEENKUlT_SN_SO_SP_E_clISG_PjSI_PS9_EESM_S12_SN_SO_SP_EUlS12_E0_NS1_11comp_targetILNS1_3genE9ELNS1_11target_archE1100ELNS1_3gpuE3ELNS1_3repE0EEENS1_38merge_mergepath_config_static_selectorELNS0_4arch9wavefront6targetE0EEEvSO_, .Lfunc_end129-_ZN7rocprim17ROCPRIM_400000_NS6detail17trampoline_kernelINS0_14default_configENS1_38merge_sort_block_merge_config_selectorIjN6thrust23THRUST_200600_302600_NS5tupleIffNS6_9null_typeES8_S8_S8_S8_S8_S8_S8_EEEEZZNS1_27merge_sort_block_merge_implIS3_NS6_6detail15normal_iteratorINS6_10device_ptrIjEEEENSD_INSE_IS9_EEEEjNS1_19radix_merge_compareILb0ELb1EjNS0_19identity_decomposerEEEEE10hipError_tT0_T1_T2_jT3_P12ihipStream_tbPNSt15iterator_traitsISN_E10value_typeEPNST_ISO_E10value_typeEPSP_NS1_7vsmem_tEENKUlT_SN_SO_SP_E_clISG_PjSI_PS9_EESM_S12_SN_SO_SP_EUlS12_E0_NS1_11comp_targetILNS1_3genE9ELNS1_11target_archE1100ELNS1_3gpuE3ELNS1_3repE0EEENS1_38merge_mergepath_config_static_selectorELNS0_4arch9wavefront6targetE0EEEvSO_
                                        ; -- End function
	.set _ZN7rocprim17ROCPRIM_400000_NS6detail17trampoline_kernelINS0_14default_configENS1_38merge_sort_block_merge_config_selectorIjN6thrust23THRUST_200600_302600_NS5tupleIffNS6_9null_typeES8_S8_S8_S8_S8_S8_S8_EEEEZZNS1_27merge_sort_block_merge_implIS3_NS6_6detail15normal_iteratorINS6_10device_ptrIjEEEENSD_INSE_IS9_EEEEjNS1_19radix_merge_compareILb0ELb1EjNS0_19identity_decomposerEEEEE10hipError_tT0_T1_T2_jT3_P12ihipStream_tbPNSt15iterator_traitsISN_E10value_typeEPNST_ISO_E10value_typeEPSP_NS1_7vsmem_tEENKUlT_SN_SO_SP_E_clISG_PjSI_PS9_EESM_S12_SN_SO_SP_EUlS12_E0_NS1_11comp_targetILNS1_3genE9ELNS1_11target_archE1100ELNS1_3gpuE3ELNS1_3repE0EEENS1_38merge_mergepath_config_static_selectorELNS0_4arch9wavefront6targetE0EEEvSO_.num_vgpr, 0
	.set _ZN7rocprim17ROCPRIM_400000_NS6detail17trampoline_kernelINS0_14default_configENS1_38merge_sort_block_merge_config_selectorIjN6thrust23THRUST_200600_302600_NS5tupleIffNS6_9null_typeES8_S8_S8_S8_S8_S8_S8_EEEEZZNS1_27merge_sort_block_merge_implIS3_NS6_6detail15normal_iteratorINS6_10device_ptrIjEEEENSD_INSE_IS9_EEEEjNS1_19radix_merge_compareILb0ELb1EjNS0_19identity_decomposerEEEEE10hipError_tT0_T1_T2_jT3_P12ihipStream_tbPNSt15iterator_traitsISN_E10value_typeEPNST_ISO_E10value_typeEPSP_NS1_7vsmem_tEENKUlT_SN_SO_SP_E_clISG_PjSI_PS9_EESM_S12_SN_SO_SP_EUlS12_E0_NS1_11comp_targetILNS1_3genE9ELNS1_11target_archE1100ELNS1_3gpuE3ELNS1_3repE0EEENS1_38merge_mergepath_config_static_selectorELNS0_4arch9wavefront6targetE0EEEvSO_.num_agpr, 0
	.set _ZN7rocprim17ROCPRIM_400000_NS6detail17trampoline_kernelINS0_14default_configENS1_38merge_sort_block_merge_config_selectorIjN6thrust23THRUST_200600_302600_NS5tupleIffNS6_9null_typeES8_S8_S8_S8_S8_S8_S8_EEEEZZNS1_27merge_sort_block_merge_implIS3_NS6_6detail15normal_iteratorINS6_10device_ptrIjEEEENSD_INSE_IS9_EEEEjNS1_19radix_merge_compareILb0ELb1EjNS0_19identity_decomposerEEEEE10hipError_tT0_T1_T2_jT3_P12ihipStream_tbPNSt15iterator_traitsISN_E10value_typeEPNST_ISO_E10value_typeEPSP_NS1_7vsmem_tEENKUlT_SN_SO_SP_E_clISG_PjSI_PS9_EESM_S12_SN_SO_SP_EUlS12_E0_NS1_11comp_targetILNS1_3genE9ELNS1_11target_archE1100ELNS1_3gpuE3ELNS1_3repE0EEENS1_38merge_mergepath_config_static_selectorELNS0_4arch9wavefront6targetE0EEEvSO_.numbered_sgpr, 0
	.set _ZN7rocprim17ROCPRIM_400000_NS6detail17trampoline_kernelINS0_14default_configENS1_38merge_sort_block_merge_config_selectorIjN6thrust23THRUST_200600_302600_NS5tupleIffNS6_9null_typeES8_S8_S8_S8_S8_S8_S8_EEEEZZNS1_27merge_sort_block_merge_implIS3_NS6_6detail15normal_iteratorINS6_10device_ptrIjEEEENSD_INSE_IS9_EEEEjNS1_19radix_merge_compareILb0ELb1EjNS0_19identity_decomposerEEEEE10hipError_tT0_T1_T2_jT3_P12ihipStream_tbPNSt15iterator_traitsISN_E10value_typeEPNST_ISO_E10value_typeEPSP_NS1_7vsmem_tEENKUlT_SN_SO_SP_E_clISG_PjSI_PS9_EESM_S12_SN_SO_SP_EUlS12_E0_NS1_11comp_targetILNS1_3genE9ELNS1_11target_archE1100ELNS1_3gpuE3ELNS1_3repE0EEENS1_38merge_mergepath_config_static_selectorELNS0_4arch9wavefront6targetE0EEEvSO_.num_named_barrier, 0
	.set _ZN7rocprim17ROCPRIM_400000_NS6detail17trampoline_kernelINS0_14default_configENS1_38merge_sort_block_merge_config_selectorIjN6thrust23THRUST_200600_302600_NS5tupleIffNS6_9null_typeES8_S8_S8_S8_S8_S8_S8_EEEEZZNS1_27merge_sort_block_merge_implIS3_NS6_6detail15normal_iteratorINS6_10device_ptrIjEEEENSD_INSE_IS9_EEEEjNS1_19radix_merge_compareILb0ELb1EjNS0_19identity_decomposerEEEEE10hipError_tT0_T1_T2_jT3_P12ihipStream_tbPNSt15iterator_traitsISN_E10value_typeEPNST_ISO_E10value_typeEPSP_NS1_7vsmem_tEENKUlT_SN_SO_SP_E_clISG_PjSI_PS9_EESM_S12_SN_SO_SP_EUlS12_E0_NS1_11comp_targetILNS1_3genE9ELNS1_11target_archE1100ELNS1_3gpuE3ELNS1_3repE0EEENS1_38merge_mergepath_config_static_selectorELNS0_4arch9wavefront6targetE0EEEvSO_.private_seg_size, 0
	.set _ZN7rocprim17ROCPRIM_400000_NS6detail17trampoline_kernelINS0_14default_configENS1_38merge_sort_block_merge_config_selectorIjN6thrust23THRUST_200600_302600_NS5tupleIffNS6_9null_typeES8_S8_S8_S8_S8_S8_S8_EEEEZZNS1_27merge_sort_block_merge_implIS3_NS6_6detail15normal_iteratorINS6_10device_ptrIjEEEENSD_INSE_IS9_EEEEjNS1_19radix_merge_compareILb0ELb1EjNS0_19identity_decomposerEEEEE10hipError_tT0_T1_T2_jT3_P12ihipStream_tbPNSt15iterator_traitsISN_E10value_typeEPNST_ISO_E10value_typeEPSP_NS1_7vsmem_tEENKUlT_SN_SO_SP_E_clISG_PjSI_PS9_EESM_S12_SN_SO_SP_EUlS12_E0_NS1_11comp_targetILNS1_3genE9ELNS1_11target_archE1100ELNS1_3gpuE3ELNS1_3repE0EEENS1_38merge_mergepath_config_static_selectorELNS0_4arch9wavefront6targetE0EEEvSO_.uses_vcc, 0
	.set _ZN7rocprim17ROCPRIM_400000_NS6detail17trampoline_kernelINS0_14default_configENS1_38merge_sort_block_merge_config_selectorIjN6thrust23THRUST_200600_302600_NS5tupleIffNS6_9null_typeES8_S8_S8_S8_S8_S8_S8_EEEEZZNS1_27merge_sort_block_merge_implIS3_NS6_6detail15normal_iteratorINS6_10device_ptrIjEEEENSD_INSE_IS9_EEEEjNS1_19radix_merge_compareILb0ELb1EjNS0_19identity_decomposerEEEEE10hipError_tT0_T1_T2_jT3_P12ihipStream_tbPNSt15iterator_traitsISN_E10value_typeEPNST_ISO_E10value_typeEPSP_NS1_7vsmem_tEENKUlT_SN_SO_SP_E_clISG_PjSI_PS9_EESM_S12_SN_SO_SP_EUlS12_E0_NS1_11comp_targetILNS1_3genE9ELNS1_11target_archE1100ELNS1_3gpuE3ELNS1_3repE0EEENS1_38merge_mergepath_config_static_selectorELNS0_4arch9wavefront6targetE0EEEvSO_.uses_flat_scratch, 0
	.set _ZN7rocprim17ROCPRIM_400000_NS6detail17trampoline_kernelINS0_14default_configENS1_38merge_sort_block_merge_config_selectorIjN6thrust23THRUST_200600_302600_NS5tupleIffNS6_9null_typeES8_S8_S8_S8_S8_S8_S8_EEEEZZNS1_27merge_sort_block_merge_implIS3_NS6_6detail15normal_iteratorINS6_10device_ptrIjEEEENSD_INSE_IS9_EEEEjNS1_19radix_merge_compareILb0ELb1EjNS0_19identity_decomposerEEEEE10hipError_tT0_T1_T2_jT3_P12ihipStream_tbPNSt15iterator_traitsISN_E10value_typeEPNST_ISO_E10value_typeEPSP_NS1_7vsmem_tEENKUlT_SN_SO_SP_E_clISG_PjSI_PS9_EESM_S12_SN_SO_SP_EUlS12_E0_NS1_11comp_targetILNS1_3genE9ELNS1_11target_archE1100ELNS1_3gpuE3ELNS1_3repE0EEENS1_38merge_mergepath_config_static_selectorELNS0_4arch9wavefront6targetE0EEEvSO_.has_dyn_sized_stack, 0
	.set _ZN7rocprim17ROCPRIM_400000_NS6detail17trampoline_kernelINS0_14default_configENS1_38merge_sort_block_merge_config_selectorIjN6thrust23THRUST_200600_302600_NS5tupleIffNS6_9null_typeES8_S8_S8_S8_S8_S8_S8_EEEEZZNS1_27merge_sort_block_merge_implIS3_NS6_6detail15normal_iteratorINS6_10device_ptrIjEEEENSD_INSE_IS9_EEEEjNS1_19radix_merge_compareILb0ELb1EjNS0_19identity_decomposerEEEEE10hipError_tT0_T1_T2_jT3_P12ihipStream_tbPNSt15iterator_traitsISN_E10value_typeEPNST_ISO_E10value_typeEPSP_NS1_7vsmem_tEENKUlT_SN_SO_SP_E_clISG_PjSI_PS9_EESM_S12_SN_SO_SP_EUlS12_E0_NS1_11comp_targetILNS1_3genE9ELNS1_11target_archE1100ELNS1_3gpuE3ELNS1_3repE0EEENS1_38merge_mergepath_config_static_selectorELNS0_4arch9wavefront6targetE0EEEvSO_.has_recursion, 0
	.set _ZN7rocprim17ROCPRIM_400000_NS6detail17trampoline_kernelINS0_14default_configENS1_38merge_sort_block_merge_config_selectorIjN6thrust23THRUST_200600_302600_NS5tupleIffNS6_9null_typeES8_S8_S8_S8_S8_S8_S8_EEEEZZNS1_27merge_sort_block_merge_implIS3_NS6_6detail15normal_iteratorINS6_10device_ptrIjEEEENSD_INSE_IS9_EEEEjNS1_19radix_merge_compareILb0ELb1EjNS0_19identity_decomposerEEEEE10hipError_tT0_T1_T2_jT3_P12ihipStream_tbPNSt15iterator_traitsISN_E10value_typeEPNST_ISO_E10value_typeEPSP_NS1_7vsmem_tEENKUlT_SN_SO_SP_E_clISG_PjSI_PS9_EESM_S12_SN_SO_SP_EUlS12_E0_NS1_11comp_targetILNS1_3genE9ELNS1_11target_archE1100ELNS1_3gpuE3ELNS1_3repE0EEENS1_38merge_mergepath_config_static_selectorELNS0_4arch9wavefront6targetE0EEEvSO_.has_indirect_call, 0
	.section	.AMDGPU.csdata,"",@progbits
; Kernel info:
; codeLenInByte = 0
; TotalNumSgprs: 0
; NumVgprs: 0
; ScratchSize: 0
; MemoryBound: 0
; FloatMode: 240
; IeeeMode: 1
; LDSByteSize: 0 bytes/workgroup (compile time only)
; SGPRBlocks: 0
; VGPRBlocks: 0
; NumSGPRsForWavesPerEU: 1
; NumVGPRsForWavesPerEU: 1
; NamedBarCnt: 0
; Occupancy: 16
; WaveLimiterHint : 0
; COMPUTE_PGM_RSRC2:SCRATCH_EN: 0
; COMPUTE_PGM_RSRC2:USER_SGPR: 2
; COMPUTE_PGM_RSRC2:TRAP_HANDLER: 0
; COMPUTE_PGM_RSRC2:TGID_X_EN: 1
; COMPUTE_PGM_RSRC2:TGID_Y_EN: 0
; COMPUTE_PGM_RSRC2:TGID_Z_EN: 0
; COMPUTE_PGM_RSRC2:TIDIG_COMP_CNT: 0
	.section	.text._ZN7rocprim17ROCPRIM_400000_NS6detail17trampoline_kernelINS0_14default_configENS1_38merge_sort_block_merge_config_selectorIjN6thrust23THRUST_200600_302600_NS5tupleIffNS6_9null_typeES8_S8_S8_S8_S8_S8_S8_EEEEZZNS1_27merge_sort_block_merge_implIS3_NS6_6detail15normal_iteratorINS6_10device_ptrIjEEEENSD_INSE_IS9_EEEEjNS1_19radix_merge_compareILb0ELb1EjNS0_19identity_decomposerEEEEE10hipError_tT0_T1_T2_jT3_P12ihipStream_tbPNSt15iterator_traitsISN_E10value_typeEPNST_ISO_E10value_typeEPSP_NS1_7vsmem_tEENKUlT_SN_SO_SP_E_clISG_PjSI_PS9_EESM_S12_SN_SO_SP_EUlS12_E0_NS1_11comp_targetILNS1_3genE8ELNS1_11target_archE1030ELNS1_3gpuE2ELNS1_3repE0EEENS1_38merge_mergepath_config_static_selectorELNS0_4arch9wavefront6targetE0EEEvSO_,"axG",@progbits,_ZN7rocprim17ROCPRIM_400000_NS6detail17trampoline_kernelINS0_14default_configENS1_38merge_sort_block_merge_config_selectorIjN6thrust23THRUST_200600_302600_NS5tupleIffNS6_9null_typeES8_S8_S8_S8_S8_S8_S8_EEEEZZNS1_27merge_sort_block_merge_implIS3_NS6_6detail15normal_iteratorINS6_10device_ptrIjEEEENSD_INSE_IS9_EEEEjNS1_19radix_merge_compareILb0ELb1EjNS0_19identity_decomposerEEEEE10hipError_tT0_T1_T2_jT3_P12ihipStream_tbPNSt15iterator_traitsISN_E10value_typeEPNST_ISO_E10value_typeEPSP_NS1_7vsmem_tEENKUlT_SN_SO_SP_E_clISG_PjSI_PS9_EESM_S12_SN_SO_SP_EUlS12_E0_NS1_11comp_targetILNS1_3genE8ELNS1_11target_archE1030ELNS1_3gpuE2ELNS1_3repE0EEENS1_38merge_mergepath_config_static_selectorELNS0_4arch9wavefront6targetE0EEEvSO_,comdat
	.protected	_ZN7rocprim17ROCPRIM_400000_NS6detail17trampoline_kernelINS0_14default_configENS1_38merge_sort_block_merge_config_selectorIjN6thrust23THRUST_200600_302600_NS5tupleIffNS6_9null_typeES8_S8_S8_S8_S8_S8_S8_EEEEZZNS1_27merge_sort_block_merge_implIS3_NS6_6detail15normal_iteratorINS6_10device_ptrIjEEEENSD_INSE_IS9_EEEEjNS1_19radix_merge_compareILb0ELb1EjNS0_19identity_decomposerEEEEE10hipError_tT0_T1_T2_jT3_P12ihipStream_tbPNSt15iterator_traitsISN_E10value_typeEPNST_ISO_E10value_typeEPSP_NS1_7vsmem_tEENKUlT_SN_SO_SP_E_clISG_PjSI_PS9_EESM_S12_SN_SO_SP_EUlS12_E0_NS1_11comp_targetILNS1_3genE8ELNS1_11target_archE1030ELNS1_3gpuE2ELNS1_3repE0EEENS1_38merge_mergepath_config_static_selectorELNS0_4arch9wavefront6targetE0EEEvSO_ ; -- Begin function _ZN7rocprim17ROCPRIM_400000_NS6detail17trampoline_kernelINS0_14default_configENS1_38merge_sort_block_merge_config_selectorIjN6thrust23THRUST_200600_302600_NS5tupleIffNS6_9null_typeES8_S8_S8_S8_S8_S8_S8_EEEEZZNS1_27merge_sort_block_merge_implIS3_NS6_6detail15normal_iteratorINS6_10device_ptrIjEEEENSD_INSE_IS9_EEEEjNS1_19radix_merge_compareILb0ELb1EjNS0_19identity_decomposerEEEEE10hipError_tT0_T1_T2_jT3_P12ihipStream_tbPNSt15iterator_traitsISN_E10value_typeEPNST_ISO_E10value_typeEPSP_NS1_7vsmem_tEENKUlT_SN_SO_SP_E_clISG_PjSI_PS9_EESM_S12_SN_SO_SP_EUlS12_E0_NS1_11comp_targetILNS1_3genE8ELNS1_11target_archE1030ELNS1_3gpuE2ELNS1_3repE0EEENS1_38merge_mergepath_config_static_selectorELNS0_4arch9wavefront6targetE0EEEvSO_
	.globl	_ZN7rocprim17ROCPRIM_400000_NS6detail17trampoline_kernelINS0_14default_configENS1_38merge_sort_block_merge_config_selectorIjN6thrust23THRUST_200600_302600_NS5tupleIffNS6_9null_typeES8_S8_S8_S8_S8_S8_S8_EEEEZZNS1_27merge_sort_block_merge_implIS3_NS6_6detail15normal_iteratorINS6_10device_ptrIjEEEENSD_INSE_IS9_EEEEjNS1_19radix_merge_compareILb0ELb1EjNS0_19identity_decomposerEEEEE10hipError_tT0_T1_T2_jT3_P12ihipStream_tbPNSt15iterator_traitsISN_E10value_typeEPNST_ISO_E10value_typeEPSP_NS1_7vsmem_tEENKUlT_SN_SO_SP_E_clISG_PjSI_PS9_EESM_S12_SN_SO_SP_EUlS12_E0_NS1_11comp_targetILNS1_3genE8ELNS1_11target_archE1030ELNS1_3gpuE2ELNS1_3repE0EEENS1_38merge_mergepath_config_static_selectorELNS0_4arch9wavefront6targetE0EEEvSO_
	.p2align	8
	.type	_ZN7rocprim17ROCPRIM_400000_NS6detail17trampoline_kernelINS0_14default_configENS1_38merge_sort_block_merge_config_selectorIjN6thrust23THRUST_200600_302600_NS5tupleIffNS6_9null_typeES8_S8_S8_S8_S8_S8_S8_EEEEZZNS1_27merge_sort_block_merge_implIS3_NS6_6detail15normal_iteratorINS6_10device_ptrIjEEEENSD_INSE_IS9_EEEEjNS1_19radix_merge_compareILb0ELb1EjNS0_19identity_decomposerEEEEE10hipError_tT0_T1_T2_jT3_P12ihipStream_tbPNSt15iterator_traitsISN_E10value_typeEPNST_ISO_E10value_typeEPSP_NS1_7vsmem_tEENKUlT_SN_SO_SP_E_clISG_PjSI_PS9_EESM_S12_SN_SO_SP_EUlS12_E0_NS1_11comp_targetILNS1_3genE8ELNS1_11target_archE1030ELNS1_3gpuE2ELNS1_3repE0EEENS1_38merge_mergepath_config_static_selectorELNS0_4arch9wavefront6targetE0EEEvSO_,@function
_ZN7rocprim17ROCPRIM_400000_NS6detail17trampoline_kernelINS0_14default_configENS1_38merge_sort_block_merge_config_selectorIjN6thrust23THRUST_200600_302600_NS5tupleIffNS6_9null_typeES8_S8_S8_S8_S8_S8_S8_EEEEZZNS1_27merge_sort_block_merge_implIS3_NS6_6detail15normal_iteratorINS6_10device_ptrIjEEEENSD_INSE_IS9_EEEEjNS1_19radix_merge_compareILb0ELb1EjNS0_19identity_decomposerEEEEE10hipError_tT0_T1_T2_jT3_P12ihipStream_tbPNSt15iterator_traitsISN_E10value_typeEPNST_ISO_E10value_typeEPSP_NS1_7vsmem_tEENKUlT_SN_SO_SP_E_clISG_PjSI_PS9_EESM_S12_SN_SO_SP_EUlS12_E0_NS1_11comp_targetILNS1_3genE8ELNS1_11target_archE1030ELNS1_3gpuE2ELNS1_3repE0EEENS1_38merge_mergepath_config_static_selectorELNS0_4arch9wavefront6targetE0EEEvSO_: ; @_ZN7rocprim17ROCPRIM_400000_NS6detail17trampoline_kernelINS0_14default_configENS1_38merge_sort_block_merge_config_selectorIjN6thrust23THRUST_200600_302600_NS5tupleIffNS6_9null_typeES8_S8_S8_S8_S8_S8_S8_EEEEZZNS1_27merge_sort_block_merge_implIS3_NS6_6detail15normal_iteratorINS6_10device_ptrIjEEEENSD_INSE_IS9_EEEEjNS1_19radix_merge_compareILb0ELb1EjNS0_19identity_decomposerEEEEE10hipError_tT0_T1_T2_jT3_P12ihipStream_tbPNSt15iterator_traitsISN_E10value_typeEPNST_ISO_E10value_typeEPSP_NS1_7vsmem_tEENKUlT_SN_SO_SP_E_clISG_PjSI_PS9_EESM_S12_SN_SO_SP_EUlS12_E0_NS1_11comp_targetILNS1_3genE8ELNS1_11target_archE1030ELNS1_3gpuE2ELNS1_3repE0EEENS1_38merge_mergepath_config_static_selectorELNS0_4arch9wavefront6targetE0EEEvSO_
; %bb.0:
	.section	.rodata,"a",@progbits
	.p2align	6, 0x0
	.amdhsa_kernel _ZN7rocprim17ROCPRIM_400000_NS6detail17trampoline_kernelINS0_14default_configENS1_38merge_sort_block_merge_config_selectorIjN6thrust23THRUST_200600_302600_NS5tupleIffNS6_9null_typeES8_S8_S8_S8_S8_S8_S8_EEEEZZNS1_27merge_sort_block_merge_implIS3_NS6_6detail15normal_iteratorINS6_10device_ptrIjEEEENSD_INSE_IS9_EEEEjNS1_19radix_merge_compareILb0ELb1EjNS0_19identity_decomposerEEEEE10hipError_tT0_T1_T2_jT3_P12ihipStream_tbPNSt15iterator_traitsISN_E10value_typeEPNST_ISO_E10value_typeEPSP_NS1_7vsmem_tEENKUlT_SN_SO_SP_E_clISG_PjSI_PS9_EESM_S12_SN_SO_SP_EUlS12_E0_NS1_11comp_targetILNS1_3genE8ELNS1_11target_archE1030ELNS1_3gpuE2ELNS1_3repE0EEENS1_38merge_mergepath_config_static_selectorELNS0_4arch9wavefront6targetE0EEEvSO_
		.amdhsa_group_segment_fixed_size 0
		.amdhsa_private_segment_fixed_size 0
		.amdhsa_kernarg_size 64
		.amdhsa_user_sgpr_count 2
		.amdhsa_user_sgpr_dispatch_ptr 0
		.amdhsa_user_sgpr_queue_ptr 0
		.amdhsa_user_sgpr_kernarg_segment_ptr 1
		.amdhsa_user_sgpr_dispatch_id 0
		.amdhsa_user_sgpr_kernarg_preload_length 0
		.amdhsa_user_sgpr_kernarg_preload_offset 0
		.amdhsa_user_sgpr_private_segment_size 0
		.amdhsa_wavefront_size32 1
		.amdhsa_uses_dynamic_stack 0
		.amdhsa_enable_private_segment 0
		.amdhsa_system_sgpr_workgroup_id_x 1
		.amdhsa_system_sgpr_workgroup_id_y 0
		.amdhsa_system_sgpr_workgroup_id_z 0
		.amdhsa_system_sgpr_workgroup_info 0
		.amdhsa_system_vgpr_workitem_id 0
		.amdhsa_next_free_vgpr 1
		.amdhsa_next_free_sgpr 1
		.amdhsa_named_barrier_count 0
		.amdhsa_reserve_vcc 0
		.amdhsa_float_round_mode_32 0
		.amdhsa_float_round_mode_16_64 0
		.amdhsa_float_denorm_mode_32 3
		.amdhsa_float_denorm_mode_16_64 3
		.amdhsa_fp16_overflow 0
		.amdhsa_memory_ordered 1
		.amdhsa_forward_progress 1
		.amdhsa_inst_pref_size 0
		.amdhsa_round_robin_scheduling 0
		.amdhsa_exception_fp_ieee_invalid_op 0
		.amdhsa_exception_fp_denorm_src 0
		.amdhsa_exception_fp_ieee_div_zero 0
		.amdhsa_exception_fp_ieee_overflow 0
		.amdhsa_exception_fp_ieee_underflow 0
		.amdhsa_exception_fp_ieee_inexact 0
		.amdhsa_exception_int_div_zero 0
	.end_amdhsa_kernel
	.section	.text._ZN7rocprim17ROCPRIM_400000_NS6detail17trampoline_kernelINS0_14default_configENS1_38merge_sort_block_merge_config_selectorIjN6thrust23THRUST_200600_302600_NS5tupleIffNS6_9null_typeES8_S8_S8_S8_S8_S8_S8_EEEEZZNS1_27merge_sort_block_merge_implIS3_NS6_6detail15normal_iteratorINS6_10device_ptrIjEEEENSD_INSE_IS9_EEEEjNS1_19radix_merge_compareILb0ELb1EjNS0_19identity_decomposerEEEEE10hipError_tT0_T1_T2_jT3_P12ihipStream_tbPNSt15iterator_traitsISN_E10value_typeEPNST_ISO_E10value_typeEPSP_NS1_7vsmem_tEENKUlT_SN_SO_SP_E_clISG_PjSI_PS9_EESM_S12_SN_SO_SP_EUlS12_E0_NS1_11comp_targetILNS1_3genE8ELNS1_11target_archE1030ELNS1_3gpuE2ELNS1_3repE0EEENS1_38merge_mergepath_config_static_selectorELNS0_4arch9wavefront6targetE0EEEvSO_,"axG",@progbits,_ZN7rocprim17ROCPRIM_400000_NS6detail17trampoline_kernelINS0_14default_configENS1_38merge_sort_block_merge_config_selectorIjN6thrust23THRUST_200600_302600_NS5tupleIffNS6_9null_typeES8_S8_S8_S8_S8_S8_S8_EEEEZZNS1_27merge_sort_block_merge_implIS3_NS6_6detail15normal_iteratorINS6_10device_ptrIjEEEENSD_INSE_IS9_EEEEjNS1_19radix_merge_compareILb0ELb1EjNS0_19identity_decomposerEEEEE10hipError_tT0_T1_T2_jT3_P12ihipStream_tbPNSt15iterator_traitsISN_E10value_typeEPNST_ISO_E10value_typeEPSP_NS1_7vsmem_tEENKUlT_SN_SO_SP_E_clISG_PjSI_PS9_EESM_S12_SN_SO_SP_EUlS12_E0_NS1_11comp_targetILNS1_3genE8ELNS1_11target_archE1030ELNS1_3gpuE2ELNS1_3repE0EEENS1_38merge_mergepath_config_static_selectorELNS0_4arch9wavefront6targetE0EEEvSO_,comdat
.Lfunc_end130:
	.size	_ZN7rocprim17ROCPRIM_400000_NS6detail17trampoline_kernelINS0_14default_configENS1_38merge_sort_block_merge_config_selectorIjN6thrust23THRUST_200600_302600_NS5tupleIffNS6_9null_typeES8_S8_S8_S8_S8_S8_S8_EEEEZZNS1_27merge_sort_block_merge_implIS3_NS6_6detail15normal_iteratorINS6_10device_ptrIjEEEENSD_INSE_IS9_EEEEjNS1_19radix_merge_compareILb0ELb1EjNS0_19identity_decomposerEEEEE10hipError_tT0_T1_T2_jT3_P12ihipStream_tbPNSt15iterator_traitsISN_E10value_typeEPNST_ISO_E10value_typeEPSP_NS1_7vsmem_tEENKUlT_SN_SO_SP_E_clISG_PjSI_PS9_EESM_S12_SN_SO_SP_EUlS12_E0_NS1_11comp_targetILNS1_3genE8ELNS1_11target_archE1030ELNS1_3gpuE2ELNS1_3repE0EEENS1_38merge_mergepath_config_static_selectorELNS0_4arch9wavefront6targetE0EEEvSO_, .Lfunc_end130-_ZN7rocprim17ROCPRIM_400000_NS6detail17trampoline_kernelINS0_14default_configENS1_38merge_sort_block_merge_config_selectorIjN6thrust23THRUST_200600_302600_NS5tupleIffNS6_9null_typeES8_S8_S8_S8_S8_S8_S8_EEEEZZNS1_27merge_sort_block_merge_implIS3_NS6_6detail15normal_iteratorINS6_10device_ptrIjEEEENSD_INSE_IS9_EEEEjNS1_19radix_merge_compareILb0ELb1EjNS0_19identity_decomposerEEEEE10hipError_tT0_T1_T2_jT3_P12ihipStream_tbPNSt15iterator_traitsISN_E10value_typeEPNST_ISO_E10value_typeEPSP_NS1_7vsmem_tEENKUlT_SN_SO_SP_E_clISG_PjSI_PS9_EESM_S12_SN_SO_SP_EUlS12_E0_NS1_11comp_targetILNS1_3genE8ELNS1_11target_archE1030ELNS1_3gpuE2ELNS1_3repE0EEENS1_38merge_mergepath_config_static_selectorELNS0_4arch9wavefront6targetE0EEEvSO_
                                        ; -- End function
	.set _ZN7rocprim17ROCPRIM_400000_NS6detail17trampoline_kernelINS0_14default_configENS1_38merge_sort_block_merge_config_selectorIjN6thrust23THRUST_200600_302600_NS5tupleIffNS6_9null_typeES8_S8_S8_S8_S8_S8_S8_EEEEZZNS1_27merge_sort_block_merge_implIS3_NS6_6detail15normal_iteratorINS6_10device_ptrIjEEEENSD_INSE_IS9_EEEEjNS1_19radix_merge_compareILb0ELb1EjNS0_19identity_decomposerEEEEE10hipError_tT0_T1_T2_jT3_P12ihipStream_tbPNSt15iterator_traitsISN_E10value_typeEPNST_ISO_E10value_typeEPSP_NS1_7vsmem_tEENKUlT_SN_SO_SP_E_clISG_PjSI_PS9_EESM_S12_SN_SO_SP_EUlS12_E0_NS1_11comp_targetILNS1_3genE8ELNS1_11target_archE1030ELNS1_3gpuE2ELNS1_3repE0EEENS1_38merge_mergepath_config_static_selectorELNS0_4arch9wavefront6targetE0EEEvSO_.num_vgpr, 0
	.set _ZN7rocprim17ROCPRIM_400000_NS6detail17trampoline_kernelINS0_14default_configENS1_38merge_sort_block_merge_config_selectorIjN6thrust23THRUST_200600_302600_NS5tupleIffNS6_9null_typeES8_S8_S8_S8_S8_S8_S8_EEEEZZNS1_27merge_sort_block_merge_implIS3_NS6_6detail15normal_iteratorINS6_10device_ptrIjEEEENSD_INSE_IS9_EEEEjNS1_19radix_merge_compareILb0ELb1EjNS0_19identity_decomposerEEEEE10hipError_tT0_T1_T2_jT3_P12ihipStream_tbPNSt15iterator_traitsISN_E10value_typeEPNST_ISO_E10value_typeEPSP_NS1_7vsmem_tEENKUlT_SN_SO_SP_E_clISG_PjSI_PS9_EESM_S12_SN_SO_SP_EUlS12_E0_NS1_11comp_targetILNS1_3genE8ELNS1_11target_archE1030ELNS1_3gpuE2ELNS1_3repE0EEENS1_38merge_mergepath_config_static_selectorELNS0_4arch9wavefront6targetE0EEEvSO_.num_agpr, 0
	.set _ZN7rocprim17ROCPRIM_400000_NS6detail17trampoline_kernelINS0_14default_configENS1_38merge_sort_block_merge_config_selectorIjN6thrust23THRUST_200600_302600_NS5tupleIffNS6_9null_typeES8_S8_S8_S8_S8_S8_S8_EEEEZZNS1_27merge_sort_block_merge_implIS3_NS6_6detail15normal_iteratorINS6_10device_ptrIjEEEENSD_INSE_IS9_EEEEjNS1_19radix_merge_compareILb0ELb1EjNS0_19identity_decomposerEEEEE10hipError_tT0_T1_T2_jT3_P12ihipStream_tbPNSt15iterator_traitsISN_E10value_typeEPNST_ISO_E10value_typeEPSP_NS1_7vsmem_tEENKUlT_SN_SO_SP_E_clISG_PjSI_PS9_EESM_S12_SN_SO_SP_EUlS12_E0_NS1_11comp_targetILNS1_3genE8ELNS1_11target_archE1030ELNS1_3gpuE2ELNS1_3repE0EEENS1_38merge_mergepath_config_static_selectorELNS0_4arch9wavefront6targetE0EEEvSO_.numbered_sgpr, 0
	.set _ZN7rocprim17ROCPRIM_400000_NS6detail17trampoline_kernelINS0_14default_configENS1_38merge_sort_block_merge_config_selectorIjN6thrust23THRUST_200600_302600_NS5tupleIffNS6_9null_typeES8_S8_S8_S8_S8_S8_S8_EEEEZZNS1_27merge_sort_block_merge_implIS3_NS6_6detail15normal_iteratorINS6_10device_ptrIjEEEENSD_INSE_IS9_EEEEjNS1_19radix_merge_compareILb0ELb1EjNS0_19identity_decomposerEEEEE10hipError_tT0_T1_T2_jT3_P12ihipStream_tbPNSt15iterator_traitsISN_E10value_typeEPNST_ISO_E10value_typeEPSP_NS1_7vsmem_tEENKUlT_SN_SO_SP_E_clISG_PjSI_PS9_EESM_S12_SN_SO_SP_EUlS12_E0_NS1_11comp_targetILNS1_3genE8ELNS1_11target_archE1030ELNS1_3gpuE2ELNS1_3repE0EEENS1_38merge_mergepath_config_static_selectorELNS0_4arch9wavefront6targetE0EEEvSO_.num_named_barrier, 0
	.set _ZN7rocprim17ROCPRIM_400000_NS6detail17trampoline_kernelINS0_14default_configENS1_38merge_sort_block_merge_config_selectorIjN6thrust23THRUST_200600_302600_NS5tupleIffNS6_9null_typeES8_S8_S8_S8_S8_S8_S8_EEEEZZNS1_27merge_sort_block_merge_implIS3_NS6_6detail15normal_iteratorINS6_10device_ptrIjEEEENSD_INSE_IS9_EEEEjNS1_19radix_merge_compareILb0ELb1EjNS0_19identity_decomposerEEEEE10hipError_tT0_T1_T2_jT3_P12ihipStream_tbPNSt15iterator_traitsISN_E10value_typeEPNST_ISO_E10value_typeEPSP_NS1_7vsmem_tEENKUlT_SN_SO_SP_E_clISG_PjSI_PS9_EESM_S12_SN_SO_SP_EUlS12_E0_NS1_11comp_targetILNS1_3genE8ELNS1_11target_archE1030ELNS1_3gpuE2ELNS1_3repE0EEENS1_38merge_mergepath_config_static_selectorELNS0_4arch9wavefront6targetE0EEEvSO_.private_seg_size, 0
	.set _ZN7rocprim17ROCPRIM_400000_NS6detail17trampoline_kernelINS0_14default_configENS1_38merge_sort_block_merge_config_selectorIjN6thrust23THRUST_200600_302600_NS5tupleIffNS6_9null_typeES8_S8_S8_S8_S8_S8_S8_EEEEZZNS1_27merge_sort_block_merge_implIS3_NS6_6detail15normal_iteratorINS6_10device_ptrIjEEEENSD_INSE_IS9_EEEEjNS1_19radix_merge_compareILb0ELb1EjNS0_19identity_decomposerEEEEE10hipError_tT0_T1_T2_jT3_P12ihipStream_tbPNSt15iterator_traitsISN_E10value_typeEPNST_ISO_E10value_typeEPSP_NS1_7vsmem_tEENKUlT_SN_SO_SP_E_clISG_PjSI_PS9_EESM_S12_SN_SO_SP_EUlS12_E0_NS1_11comp_targetILNS1_3genE8ELNS1_11target_archE1030ELNS1_3gpuE2ELNS1_3repE0EEENS1_38merge_mergepath_config_static_selectorELNS0_4arch9wavefront6targetE0EEEvSO_.uses_vcc, 0
	.set _ZN7rocprim17ROCPRIM_400000_NS6detail17trampoline_kernelINS0_14default_configENS1_38merge_sort_block_merge_config_selectorIjN6thrust23THRUST_200600_302600_NS5tupleIffNS6_9null_typeES8_S8_S8_S8_S8_S8_S8_EEEEZZNS1_27merge_sort_block_merge_implIS3_NS6_6detail15normal_iteratorINS6_10device_ptrIjEEEENSD_INSE_IS9_EEEEjNS1_19radix_merge_compareILb0ELb1EjNS0_19identity_decomposerEEEEE10hipError_tT0_T1_T2_jT3_P12ihipStream_tbPNSt15iterator_traitsISN_E10value_typeEPNST_ISO_E10value_typeEPSP_NS1_7vsmem_tEENKUlT_SN_SO_SP_E_clISG_PjSI_PS9_EESM_S12_SN_SO_SP_EUlS12_E0_NS1_11comp_targetILNS1_3genE8ELNS1_11target_archE1030ELNS1_3gpuE2ELNS1_3repE0EEENS1_38merge_mergepath_config_static_selectorELNS0_4arch9wavefront6targetE0EEEvSO_.uses_flat_scratch, 0
	.set _ZN7rocprim17ROCPRIM_400000_NS6detail17trampoline_kernelINS0_14default_configENS1_38merge_sort_block_merge_config_selectorIjN6thrust23THRUST_200600_302600_NS5tupleIffNS6_9null_typeES8_S8_S8_S8_S8_S8_S8_EEEEZZNS1_27merge_sort_block_merge_implIS3_NS6_6detail15normal_iteratorINS6_10device_ptrIjEEEENSD_INSE_IS9_EEEEjNS1_19radix_merge_compareILb0ELb1EjNS0_19identity_decomposerEEEEE10hipError_tT0_T1_T2_jT3_P12ihipStream_tbPNSt15iterator_traitsISN_E10value_typeEPNST_ISO_E10value_typeEPSP_NS1_7vsmem_tEENKUlT_SN_SO_SP_E_clISG_PjSI_PS9_EESM_S12_SN_SO_SP_EUlS12_E0_NS1_11comp_targetILNS1_3genE8ELNS1_11target_archE1030ELNS1_3gpuE2ELNS1_3repE0EEENS1_38merge_mergepath_config_static_selectorELNS0_4arch9wavefront6targetE0EEEvSO_.has_dyn_sized_stack, 0
	.set _ZN7rocprim17ROCPRIM_400000_NS6detail17trampoline_kernelINS0_14default_configENS1_38merge_sort_block_merge_config_selectorIjN6thrust23THRUST_200600_302600_NS5tupleIffNS6_9null_typeES8_S8_S8_S8_S8_S8_S8_EEEEZZNS1_27merge_sort_block_merge_implIS3_NS6_6detail15normal_iteratorINS6_10device_ptrIjEEEENSD_INSE_IS9_EEEEjNS1_19radix_merge_compareILb0ELb1EjNS0_19identity_decomposerEEEEE10hipError_tT0_T1_T2_jT3_P12ihipStream_tbPNSt15iterator_traitsISN_E10value_typeEPNST_ISO_E10value_typeEPSP_NS1_7vsmem_tEENKUlT_SN_SO_SP_E_clISG_PjSI_PS9_EESM_S12_SN_SO_SP_EUlS12_E0_NS1_11comp_targetILNS1_3genE8ELNS1_11target_archE1030ELNS1_3gpuE2ELNS1_3repE0EEENS1_38merge_mergepath_config_static_selectorELNS0_4arch9wavefront6targetE0EEEvSO_.has_recursion, 0
	.set _ZN7rocprim17ROCPRIM_400000_NS6detail17trampoline_kernelINS0_14default_configENS1_38merge_sort_block_merge_config_selectorIjN6thrust23THRUST_200600_302600_NS5tupleIffNS6_9null_typeES8_S8_S8_S8_S8_S8_S8_EEEEZZNS1_27merge_sort_block_merge_implIS3_NS6_6detail15normal_iteratorINS6_10device_ptrIjEEEENSD_INSE_IS9_EEEEjNS1_19radix_merge_compareILb0ELb1EjNS0_19identity_decomposerEEEEE10hipError_tT0_T1_T2_jT3_P12ihipStream_tbPNSt15iterator_traitsISN_E10value_typeEPNST_ISO_E10value_typeEPSP_NS1_7vsmem_tEENKUlT_SN_SO_SP_E_clISG_PjSI_PS9_EESM_S12_SN_SO_SP_EUlS12_E0_NS1_11comp_targetILNS1_3genE8ELNS1_11target_archE1030ELNS1_3gpuE2ELNS1_3repE0EEENS1_38merge_mergepath_config_static_selectorELNS0_4arch9wavefront6targetE0EEEvSO_.has_indirect_call, 0
	.section	.AMDGPU.csdata,"",@progbits
; Kernel info:
; codeLenInByte = 0
; TotalNumSgprs: 0
; NumVgprs: 0
; ScratchSize: 0
; MemoryBound: 0
; FloatMode: 240
; IeeeMode: 1
; LDSByteSize: 0 bytes/workgroup (compile time only)
; SGPRBlocks: 0
; VGPRBlocks: 0
; NumSGPRsForWavesPerEU: 1
; NumVGPRsForWavesPerEU: 1
; NamedBarCnt: 0
; Occupancy: 16
; WaveLimiterHint : 0
; COMPUTE_PGM_RSRC2:SCRATCH_EN: 0
; COMPUTE_PGM_RSRC2:USER_SGPR: 2
; COMPUTE_PGM_RSRC2:TRAP_HANDLER: 0
; COMPUTE_PGM_RSRC2:TGID_X_EN: 1
; COMPUTE_PGM_RSRC2:TGID_Y_EN: 0
; COMPUTE_PGM_RSRC2:TGID_Z_EN: 0
; COMPUTE_PGM_RSRC2:TIDIG_COMP_CNT: 0
	.section	.text._ZN7rocprim17ROCPRIM_400000_NS6detail17trampoline_kernelINS0_14default_configENS1_38merge_sort_block_merge_config_selectorIjN6thrust23THRUST_200600_302600_NS5tupleIffNS6_9null_typeES8_S8_S8_S8_S8_S8_S8_EEEEZZNS1_27merge_sort_block_merge_implIS3_NS6_6detail15normal_iteratorINS6_10device_ptrIjEEEENSD_INSE_IS9_EEEEjNS1_19radix_merge_compareILb0ELb1EjNS0_19identity_decomposerEEEEE10hipError_tT0_T1_T2_jT3_P12ihipStream_tbPNSt15iterator_traitsISN_E10value_typeEPNST_ISO_E10value_typeEPSP_NS1_7vsmem_tEENKUlT_SN_SO_SP_E_clISG_PjSI_PS9_EESM_S12_SN_SO_SP_EUlS12_E1_NS1_11comp_targetILNS1_3genE0ELNS1_11target_archE4294967295ELNS1_3gpuE0ELNS1_3repE0EEENS1_36merge_oddeven_config_static_selectorELNS0_4arch9wavefront6targetE0EEEvSO_,"axG",@progbits,_ZN7rocprim17ROCPRIM_400000_NS6detail17trampoline_kernelINS0_14default_configENS1_38merge_sort_block_merge_config_selectorIjN6thrust23THRUST_200600_302600_NS5tupleIffNS6_9null_typeES8_S8_S8_S8_S8_S8_S8_EEEEZZNS1_27merge_sort_block_merge_implIS3_NS6_6detail15normal_iteratorINS6_10device_ptrIjEEEENSD_INSE_IS9_EEEEjNS1_19radix_merge_compareILb0ELb1EjNS0_19identity_decomposerEEEEE10hipError_tT0_T1_T2_jT3_P12ihipStream_tbPNSt15iterator_traitsISN_E10value_typeEPNST_ISO_E10value_typeEPSP_NS1_7vsmem_tEENKUlT_SN_SO_SP_E_clISG_PjSI_PS9_EESM_S12_SN_SO_SP_EUlS12_E1_NS1_11comp_targetILNS1_3genE0ELNS1_11target_archE4294967295ELNS1_3gpuE0ELNS1_3repE0EEENS1_36merge_oddeven_config_static_selectorELNS0_4arch9wavefront6targetE0EEEvSO_,comdat
	.protected	_ZN7rocprim17ROCPRIM_400000_NS6detail17trampoline_kernelINS0_14default_configENS1_38merge_sort_block_merge_config_selectorIjN6thrust23THRUST_200600_302600_NS5tupleIffNS6_9null_typeES8_S8_S8_S8_S8_S8_S8_EEEEZZNS1_27merge_sort_block_merge_implIS3_NS6_6detail15normal_iteratorINS6_10device_ptrIjEEEENSD_INSE_IS9_EEEEjNS1_19radix_merge_compareILb0ELb1EjNS0_19identity_decomposerEEEEE10hipError_tT0_T1_T2_jT3_P12ihipStream_tbPNSt15iterator_traitsISN_E10value_typeEPNST_ISO_E10value_typeEPSP_NS1_7vsmem_tEENKUlT_SN_SO_SP_E_clISG_PjSI_PS9_EESM_S12_SN_SO_SP_EUlS12_E1_NS1_11comp_targetILNS1_3genE0ELNS1_11target_archE4294967295ELNS1_3gpuE0ELNS1_3repE0EEENS1_36merge_oddeven_config_static_selectorELNS0_4arch9wavefront6targetE0EEEvSO_ ; -- Begin function _ZN7rocprim17ROCPRIM_400000_NS6detail17trampoline_kernelINS0_14default_configENS1_38merge_sort_block_merge_config_selectorIjN6thrust23THRUST_200600_302600_NS5tupleIffNS6_9null_typeES8_S8_S8_S8_S8_S8_S8_EEEEZZNS1_27merge_sort_block_merge_implIS3_NS6_6detail15normal_iteratorINS6_10device_ptrIjEEEENSD_INSE_IS9_EEEEjNS1_19radix_merge_compareILb0ELb1EjNS0_19identity_decomposerEEEEE10hipError_tT0_T1_T2_jT3_P12ihipStream_tbPNSt15iterator_traitsISN_E10value_typeEPNST_ISO_E10value_typeEPSP_NS1_7vsmem_tEENKUlT_SN_SO_SP_E_clISG_PjSI_PS9_EESM_S12_SN_SO_SP_EUlS12_E1_NS1_11comp_targetILNS1_3genE0ELNS1_11target_archE4294967295ELNS1_3gpuE0ELNS1_3repE0EEENS1_36merge_oddeven_config_static_selectorELNS0_4arch9wavefront6targetE0EEEvSO_
	.globl	_ZN7rocprim17ROCPRIM_400000_NS6detail17trampoline_kernelINS0_14default_configENS1_38merge_sort_block_merge_config_selectorIjN6thrust23THRUST_200600_302600_NS5tupleIffNS6_9null_typeES8_S8_S8_S8_S8_S8_S8_EEEEZZNS1_27merge_sort_block_merge_implIS3_NS6_6detail15normal_iteratorINS6_10device_ptrIjEEEENSD_INSE_IS9_EEEEjNS1_19radix_merge_compareILb0ELb1EjNS0_19identity_decomposerEEEEE10hipError_tT0_T1_T2_jT3_P12ihipStream_tbPNSt15iterator_traitsISN_E10value_typeEPNST_ISO_E10value_typeEPSP_NS1_7vsmem_tEENKUlT_SN_SO_SP_E_clISG_PjSI_PS9_EESM_S12_SN_SO_SP_EUlS12_E1_NS1_11comp_targetILNS1_3genE0ELNS1_11target_archE4294967295ELNS1_3gpuE0ELNS1_3repE0EEENS1_36merge_oddeven_config_static_selectorELNS0_4arch9wavefront6targetE0EEEvSO_
	.p2align	8
	.type	_ZN7rocprim17ROCPRIM_400000_NS6detail17trampoline_kernelINS0_14default_configENS1_38merge_sort_block_merge_config_selectorIjN6thrust23THRUST_200600_302600_NS5tupleIffNS6_9null_typeES8_S8_S8_S8_S8_S8_S8_EEEEZZNS1_27merge_sort_block_merge_implIS3_NS6_6detail15normal_iteratorINS6_10device_ptrIjEEEENSD_INSE_IS9_EEEEjNS1_19radix_merge_compareILb0ELb1EjNS0_19identity_decomposerEEEEE10hipError_tT0_T1_T2_jT3_P12ihipStream_tbPNSt15iterator_traitsISN_E10value_typeEPNST_ISO_E10value_typeEPSP_NS1_7vsmem_tEENKUlT_SN_SO_SP_E_clISG_PjSI_PS9_EESM_S12_SN_SO_SP_EUlS12_E1_NS1_11comp_targetILNS1_3genE0ELNS1_11target_archE4294967295ELNS1_3gpuE0ELNS1_3repE0EEENS1_36merge_oddeven_config_static_selectorELNS0_4arch9wavefront6targetE0EEEvSO_,@function
_ZN7rocprim17ROCPRIM_400000_NS6detail17trampoline_kernelINS0_14default_configENS1_38merge_sort_block_merge_config_selectorIjN6thrust23THRUST_200600_302600_NS5tupleIffNS6_9null_typeES8_S8_S8_S8_S8_S8_S8_EEEEZZNS1_27merge_sort_block_merge_implIS3_NS6_6detail15normal_iteratorINS6_10device_ptrIjEEEENSD_INSE_IS9_EEEEjNS1_19radix_merge_compareILb0ELb1EjNS0_19identity_decomposerEEEEE10hipError_tT0_T1_T2_jT3_P12ihipStream_tbPNSt15iterator_traitsISN_E10value_typeEPNST_ISO_E10value_typeEPSP_NS1_7vsmem_tEENKUlT_SN_SO_SP_E_clISG_PjSI_PS9_EESM_S12_SN_SO_SP_EUlS12_E1_NS1_11comp_targetILNS1_3genE0ELNS1_11target_archE4294967295ELNS1_3gpuE0ELNS1_3repE0EEENS1_36merge_oddeven_config_static_selectorELNS0_4arch9wavefront6targetE0EEEvSO_: ; @_ZN7rocprim17ROCPRIM_400000_NS6detail17trampoline_kernelINS0_14default_configENS1_38merge_sort_block_merge_config_selectorIjN6thrust23THRUST_200600_302600_NS5tupleIffNS6_9null_typeES8_S8_S8_S8_S8_S8_S8_EEEEZZNS1_27merge_sort_block_merge_implIS3_NS6_6detail15normal_iteratorINS6_10device_ptrIjEEEENSD_INSE_IS9_EEEEjNS1_19radix_merge_compareILb0ELb1EjNS0_19identity_decomposerEEEEE10hipError_tT0_T1_T2_jT3_P12ihipStream_tbPNSt15iterator_traitsISN_E10value_typeEPNST_ISO_E10value_typeEPSP_NS1_7vsmem_tEENKUlT_SN_SO_SP_E_clISG_PjSI_PS9_EESM_S12_SN_SO_SP_EUlS12_E1_NS1_11comp_targetILNS1_3genE0ELNS1_11target_archE4294967295ELNS1_3gpuE0ELNS1_3repE0EEENS1_36merge_oddeven_config_static_selectorELNS0_4arch9wavefront6targetE0EEEvSO_
; %bb.0:
	s_load_b32 s14, s[0:1], 0x20
	s_bfe_u32 s2, ttmp6, 0x4000c
	s_and_b32 s3, ttmp6, 15
	s_add_co_i32 s2, s2, 1
	s_getreg_b32 s4, hwreg(HW_REG_IB_STS2, 6, 4)
	s_mul_i32 s2, ttmp9, s2
	s_mov_b32 s13, 0
	s_add_co_i32 s3, s3, s2
	s_cmp_eq_u32 s4, 0
	s_cselect_b32 s2, ttmp9, s3
	s_delay_alu instid0(SALU_CYCLE_1) | instskip(SKIP_2) | instid1(SALU_CYCLE_1)
	s_lshl_b32 s12, s2, 8
	s_wait_kmcnt 0x0
	s_lshr_b32 s3, s14, 8
	s_cmp_eq_u32 s2, s3
	s_cselect_b32 s15, -1, 0
	s_cmp_lg_u32 s2, s3
	s_cselect_b32 s4, -1, 0
	s_sub_co_i32 s3, s14, s12
	s_delay_alu instid0(SALU_CYCLE_1) | instskip(SKIP_1) | instid1(SALU_CYCLE_1)
	v_cmp_gt_u32_e64 s3, s3, v0
	s_or_b32 s4, s4, s3
	s_and_saveexec_b32 s5, s4
	s_cbranch_execz .LBB131_24
; %bb.1:
	s_load_b256 s[4:11], s[0:1], 0x0
	s_lshl_b64 s[16:17], s[12:13], 2
	s_lshl_b64 s[18:19], s[12:13], 3
	s_wait_kmcnt 0x0
	s_add_nc_u64 s[16:17], s[4:5], s[16:17]
	s_add_nc_u64 s[8:9], s[8:9], s[18:19]
	s_clause 0x1
	global_load_b32 v1, v0, s[16:17] scale_offset
	global_load_b64 v[2:3], v0, s[8:9] scale_offset
	s_wait_xcnt 0x0
	s_load_b32 s9, s[0:1], 0x24
	v_add_nc_u32_e32 v0, s12, v0
	s_mov_b32 s12, -1
	s_wait_kmcnt 0x0
	s_lshr_b32 s8, s9, 8
	s_sub_co_i32 s16, 0, s9
	s_sub_co_i32 s13, 0, s8
	s_delay_alu instid0(SALU_CYCLE_1) | instskip(NEXT) | instid1(SALU_CYCLE_1)
	s_and_b32 s2, s2, s13
	s_and_b32 s8, s2, s8
	s_lshl_b32 s13, s2, 8
	s_cmp_eq_u32 s8, 0
	s_cselect_b32 s2, -1, 0
	s_delay_alu instid0(SALU_CYCLE_1) | instskip(SKIP_1) | instid1(SALU_CYCLE_1)
	s_and_b32 s8, s2, exec_lo
	s_cselect_b32 s8, s9, s16
	s_add_co_i32 s8, s8, s13
	s_delay_alu instid0(SALU_CYCLE_1)
	s_cmp_gt_u32 s14, s8
	s_cbranch_scc1 .LBB131_9
; %bb.2:
	s_and_b32 vcc_lo, exec_lo, s15
	s_cbranch_vccz .LBB131_6
; %bb.3:
	s_mov_b32 s12, exec_lo
	v_cmpx_gt_u32_e64 s14, v0
	s_cbranch_execz .LBB131_5
; %bb.4:
	s_wait_loadcnt 0x1
	global_store_b32 v0, v1, s[6:7] scale_offset
	s_wait_loadcnt 0x0
	global_store_b64 v0, v[2:3], s[10:11] scale_offset
.LBB131_5:
	s_wait_xcnt 0x0
	s_or_b32 exec_lo, exec_lo, s12
	s_mov_b32 s12, 0
.LBB131_6:
	s_delay_alu instid0(SALU_CYCLE_1)
	s_and_not1_b32 vcc_lo, exec_lo, s12
	s_cbranch_vccnz .LBB131_8
; %bb.7:
	s_wait_loadcnt 0x1
	global_store_b32 v0, v1, s[6:7] scale_offset
	s_wait_loadcnt 0x0
	global_store_b64 v0, v[2:3], s[10:11] scale_offset
.LBB131_8:
	s_mov_b32 s12, 0
.LBB131_9:
	s_delay_alu instid0(SALU_CYCLE_1)
	s_and_not1_b32 vcc_lo, exec_lo, s12
	s_cbranch_vccnz .LBB131_24
; %bb.10:
	s_load_b32 s0, s[0:1], 0x28
	s_wait_xcnt 0x0
	s_min_u32 s1, s8, s14
	s_and_b32 vcc_lo, exec_lo, s15
	s_add_co_i32 s12, s13, s1
	s_add_co_i32 s9, s1, s9
	v_subrev_nc_u32_e32 v0, s12, v0
	s_min_u32 s12, s13, s1
	s_min_u32 s9, s9, s14
	s_delay_alu instid0(VALU_DEP_1)
	v_add_nc_u32_e32 v0, s12, v0
	s_mov_b32 s12, -1
	s_wait_loadcnt 0x1
	s_wait_kmcnt 0x0
	v_and_b32_e32 v4, s0, v1
	s_cbranch_vccz .LBB131_18
; %bb.11:
	s_and_saveexec_b32 s12, s3
	s_cbranch_execz .LBB131_17
; %bb.12:
	v_mov_b32_e32 v5, s1
	s_cmp_ge_u32 s8, s9
	s_cbranch_scc1 .LBB131_16
; %bb.13:
	v_dual_mov_b32 v6, s9 :: v_dual_mov_b32 v5, s1
	s_mov_b32 s3, 0
.LBB131_14:                             ; =>This Inner Loop Header: Depth=1
	s_delay_alu instid0(VALU_DEP_1) | instskip(NEXT) | instid1(VALU_DEP_1)
	v_add_nc_u32_e32 v7, v5, v6
	v_lshrrev_b32_e32 v7, 1, v7
	global_load_b32 v8, v7, s[4:5] scale_offset
	s_wait_loadcnt 0x0
	v_and_b32_e32 v8, s0, v8
	s_delay_alu instid0(VALU_DEP_1) | instskip(SKIP_3) | instid1(VALU_DEP_1)
	v_cmp_gt_u32_e32 vcc_lo, v4, v8
	v_cndmask_b32_e64 v9, 0, 1, vcc_lo
	v_cmp_le_u32_e32 vcc_lo, v8, v4
	v_cndmask_b32_e64 v8, 0, 1, vcc_lo
	v_dual_cndmask_b32 v8, v8, v9, s2 :: v_dual_add_nc_u32 v9, 1, v7
	s_delay_alu instid0(VALU_DEP_1) | instskip(NEXT) | instid1(VALU_DEP_1)
	v_and_b32_e32 v8, 1, v8
	v_cmp_eq_u32_e32 vcc_lo, 1, v8
	s_delay_alu instid0(VALU_DEP_3) | instskip(NEXT) | instid1(VALU_DEP_1)
	v_dual_cndmask_b32 v6, v7, v6 :: v_dual_cndmask_b32 v5, v5, v9
	v_cmp_ge_u32_e32 vcc_lo, v5, v6
	s_or_b32 s3, vcc_lo, s3
	s_wait_xcnt 0x0
	s_and_not1_b32 exec_lo, exec_lo, s3
	s_cbranch_execnz .LBB131_14
; %bb.15:
	s_or_b32 exec_lo, exec_lo, s3
.LBB131_16:
	s_delay_alu instid0(VALU_DEP_1)
	v_add_nc_u32_e32 v5, v5, v0
	global_store_b32 v5, v1, s[6:7] scale_offset
	s_wait_loadcnt 0x0
	global_store_b64 v5, v[2:3], s[10:11] scale_offset
.LBB131_17:
	s_wait_xcnt 0x0
	s_or_b32 exec_lo, exec_lo, s12
	s_mov_b32 s12, 0
.LBB131_18:
	s_delay_alu instid0(SALU_CYCLE_1)
	s_and_not1_b32 vcc_lo, exec_lo, s12
	s_cbranch_vccnz .LBB131_24
; %bb.19:
	v_mov_b32_e32 v5, s1
	s_cmp_ge_u32 s8, s9
	s_cbranch_scc1 .LBB131_23
; %bb.20:
	v_dual_mov_b32 v6, s9 :: v_dual_mov_b32 v5, s1
	s_mov_b32 s1, 0
.LBB131_21:                             ; =>This Inner Loop Header: Depth=1
	s_delay_alu instid0(VALU_DEP_1) | instskip(NEXT) | instid1(VALU_DEP_1)
	v_add_nc_u32_e32 v7, v5, v6
	v_lshrrev_b32_e32 v7, 1, v7
	global_load_b32 v8, v7, s[4:5] scale_offset
	s_wait_loadcnt 0x0
	v_and_b32_e32 v8, s0, v8
	s_delay_alu instid0(VALU_DEP_1) | instskip(SKIP_3) | instid1(VALU_DEP_1)
	v_cmp_gt_u32_e32 vcc_lo, v4, v8
	v_cndmask_b32_e64 v9, 0, 1, vcc_lo
	v_cmp_le_u32_e32 vcc_lo, v8, v4
	v_cndmask_b32_e64 v8, 0, 1, vcc_lo
	v_dual_cndmask_b32 v8, v8, v9, s2 :: v_dual_add_nc_u32 v9, 1, v7
	s_delay_alu instid0(VALU_DEP_1) | instskip(NEXT) | instid1(VALU_DEP_1)
	v_and_b32_e32 v8, 1, v8
	v_cmp_eq_u32_e32 vcc_lo, 1, v8
	s_delay_alu instid0(VALU_DEP_3) | instskip(NEXT) | instid1(VALU_DEP_1)
	v_dual_cndmask_b32 v6, v7, v6 :: v_dual_cndmask_b32 v5, v5, v9
	v_cmp_ge_u32_e32 vcc_lo, v5, v6
	s_or_b32 s1, vcc_lo, s1
	s_wait_xcnt 0x0
	s_and_not1_b32 exec_lo, exec_lo, s1
	s_cbranch_execnz .LBB131_21
; %bb.22:
	s_or_b32 exec_lo, exec_lo, s1
.LBB131_23:
	s_delay_alu instid0(VALU_DEP_1)
	v_add_nc_u32_e32 v0, v5, v0
	global_store_b32 v0, v1, s[6:7] scale_offset
	s_wait_loadcnt 0x0
	global_store_b64 v0, v[2:3], s[10:11] scale_offset
.LBB131_24:
	s_endpgm
	.section	.rodata,"a",@progbits
	.p2align	6, 0x0
	.amdhsa_kernel _ZN7rocprim17ROCPRIM_400000_NS6detail17trampoline_kernelINS0_14default_configENS1_38merge_sort_block_merge_config_selectorIjN6thrust23THRUST_200600_302600_NS5tupleIffNS6_9null_typeES8_S8_S8_S8_S8_S8_S8_EEEEZZNS1_27merge_sort_block_merge_implIS3_NS6_6detail15normal_iteratorINS6_10device_ptrIjEEEENSD_INSE_IS9_EEEEjNS1_19radix_merge_compareILb0ELb1EjNS0_19identity_decomposerEEEEE10hipError_tT0_T1_T2_jT3_P12ihipStream_tbPNSt15iterator_traitsISN_E10value_typeEPNST_ISO_E10value_typeEPSP_NS1_7vsmem_tEENKUlT_SN_SO_SP_E_clISG_PjSI_PS9_EESM_S12_SN_SO_SP_EUlS12_E1_NS1_11comp_targetILNS1_3genE0ELNS1_11target_archE4294967295ELNS1_3gpuE0ELNS1_3repE0EEENS1_36merge_oddeven_config_static_selectorELNS0_4arch9wavefront6targetE0EEEvSO_
		.amdhsa_group_segment_fixed_size 0
		.amdhsa_private_segment_fixed_size 0
		.amdhsa_kernarg_size 48
		.amdhsa_user_sgpr_count 2
		.amdhsa_user_sgpr_dispatch_ptr 0
		.amdhsa_user_sgpr_queue_ptr 0
		.amdhsa_user_sgpr_kernarg_segment_ptr 1
		.amdhsa_user_sgpr_dispatch_id 0
		.amdhsa_user_sgpr_kernarg_preload_length 0
		.amdhsa_user_sgpr_kernarg_preload_offset 0
		.amdhsa_user_sgpr_private_segment_size 0
		.amdhsa_wavefront_size32 1
		.amdhsa_uses_dynamic_stack 0
		.amdhsa_enable_private_segment 0
		.amdhsa_system_sgpr_workgroup_id_x 1
		.amdhsa_system_sgpr_workgroup_id_y 0
		.amdhsa_system_sgpr_workgroup_id_z 0
		.amdhsa_system_sgpr_workgroup_info 0
		.amdhsa_system_vgpr_workitem_id 0
		.amdhsa_next_free_vgpr 10
		.amdhsa_next_free_sgpr 20
		.amdhsa_named_barrier_count 0
		.amdhsa_reserve_vcc 1
		.amdhsa_float_round_mode_32 0
		.amdhsa_float_round_mode_16_64 0
		.amdhsa_float_denorm_mode_32 3
		.amdhsa_float_denorm_mode_16_64 3
		.amdhsa_fp16_overflow 0
		.amdhsa_memory_ordered 1
		.amdhsa_forward_progress 1
		.amdhsa_inst_pref_size 7
		.amdhsa_round_robin_scheduling 0
		.amdhsa_exception_fp_ieee_invalid_op 0
		.amdhsa_exception_fp_denorm_src 0
		.amdhsa_exception_fp_ieee_div_zero 0
		.amdhsa_exception_fp_ieee_overflow 0
		.amdhsa_exception_fp_ieee_underflow 0
		.amdhsa_exception_fp_ieee_inexact 0
		.amdhsa_exception_int_div_zero 0
	.end_amdhsa_kernel
	.section	.text._ZN7rocprim17ROCPRIM_400000_NS6detail17trampoline_kernelINS0_14default_configENS1_38merge_sort_block_merge_config_selectorIjN6thrust23THRUST_200600_302600_NS5tupleIffNS6_9null_typeES8_S8_S8_S8_S8_S8_S8_EEEEZZNS1_27merge_sort_block_merge_implIS3_NS6_6detail15normal_iteratorINS6_10device_ptrIjEEEENSD_INSE_IS9_EEEEjNS1_19radix_merge_compareILb0ELb1EjNS0_19identity_decomposerEEEEE10hipError_tT0_T1_T2_jT3_P12ihipStream_tbPNSt15iterator_traitsISN_E10value_typeEPNST_ISO_E10value_typeEPSP_NS1_7vsmem_tEENKUlT_SN_SO_SP_E_clISG_PjSI_PS9_EESM_S12_SN_SO_SP_EUlS12_E1_NS1_11comp_targetILNS1_3genE0ELNS1_11target_archE4294967295ELNS1_3gpuE0ELNS1_3repE0EEENS1_36merge_oddeven_config_static_selectorELNS0_4arch9wavefront6targetE0EEEvSO_,"axG",@progbits,_ZN7rocprim17ROCPRIM_400000_NS6detail17trampoline_kernelINS0_14default_configENS1_38merge_sort_block_merge_config_selectorIjN6thrust23THRUST_200600_302600_NS5tupleIffNS6_9null_typeES8_S8_S8_S8_S8_S8_S8_EEEEZZNS1_27merge_sort_block_merge_implIS3_NS6_6detail15normal_iteratorINS6_10device_ptrIjEEEENSD_INSE_IS9_EEEEjNS1_19radix_merge_compareILb0ELb1EjNS0_19identity_decomposerEEEEE10hipError_tT0_T1_T2_jT3_P12ihipStream_tbPNSt15iterator_traitsISN_E10value_typeEPNST_ISO_E10value_typeEPSP_NS1_7vsmem_tEENKUlT_SN_SO_SP_E_clISG_PjSI_PS9_EESM_S12_SN_SO_SP_EUlS12_E1_NS1_11comp_targetILNS1_3genE0ELNS1_11target_archE4294967295ELNS1_3gpuE0ELNS1_3repE0EEENS1_36merge_oddeven_config_static_selectorELNS0_4arch9wavefront6targetE0EEEvSO_,comdat
.Lfunc_end131:
	.size	_ZN7rocprim17ROCPRIM_400000_NS6detail17trampoline_kernelINS0_14default_configENS1_38merge_sort_block_merge_config_selectorIjN6thrust23THRUST_200600_302600_NS5tupleIffNS6_9null_typeES8_S8_S8_S8_S8_S8_S8_EEEEZZNS1_27merge_sort_block_merge_implIS3_NS6_6detail15normal_iteratorINS6_10device_ptrIjEEEENSD_INSE_IS9_EEEEjNS1_19radix_merge_compareILb0ELb1EjNS0_19identity_decomposerEEEEE10hipError_tT0_T1_T2_jT3_P12ihipStream_tbPNSt15iterator_traitsISN_E10value_typeEPNST_ISO_E10value_typeEPSP_NS1_7vsmem_tEENKUlT_SN_SO_SP_E_clISG_PjSI_PS9_EESM_S12_SN_SO_SP_EUlS12_E1_NS1_11comp_targetILNS1_3genE0ELNS1_11target_archE4294967295ELNS1_3gpuE0ELNS1_3repE0EEENS1_36merge_oddeven_config_static_selectorELNS0_4arch9wavefront6targetE0EEEvSO_, .Lfunc_end131-_ZN7rocprim17ROCPRIM_400000_NS6detail17trampoline_kernelINS0_14default_configENS1_38merge_sort_block_merge_config_selectorIjN6thrust23THRUST_200600_302600_NS5tupleIffNS6_9null_typeES8_S8_S8_S8_S8_S8_S8_EEEEZZNS1_27merge_sort_block_merge_implIS3_NS6_6detail15normal_iteratorINS6_10device_ptrIjEEEENSD_INSE_IS9_EEEEjNS1_19radix_merge_compareILb0ELb1EjNS0_19identity_decomposerEEEEE10hipError_tT0_T1_T2_jT3_P12ihipStream_tbPNSt15iterator_traitsISN_E10value_typeEPNST_ISO_E10value_typeEPSP_NS1_7vsmem_tEENKUlT_SN_SO_SP_E_clISG_PjSI_PS9_EESM_S12_SN_SO_SP_EUlS12_E1_NS1_11comp_targetILNS1_3genE0ELNS1_11target_archE4294967295ELNS1_3gpuE0ELNS1_3repE0EEENS1_36merge_oddeven_config_static_selectorELNS0_4arch9wavefront6targetE0EEEvSO_
                                        ; -- End function
	.set _ZN7rocprim17ROCPRIM_400000_NS6detail17trampoline_kernelINS0_14default_configENS1_38merge_sort_block_merge_config_selectorIjN6thrust23THRUST_200600_302600_NS5tupleIffNS6_9null_typeES8_S8_S8_S8_S8_S8_S8_EEEEZZNS1_27merge_sort_block_merge_implIS3_NS6_6detail15normal_iteratorINS6_10device_ptrIjEEEENSD_INSE_IS9_EEEEjNS1_19radix_merge_compareILb0ELb1EjNS0_19identity_decomposerEEEEE10hipError_tT0_T1_T2_jT3_P12ihipStream_tbPNSt15iterator_traitsISN_E10value_typeEPNST_ISO_E10value_typeEPSP_NS1_7vsmem_tEENKUlT_SN_SO_SP_E_clISG_PjSI_PS9_EESM_S12_SN_SO_SP_EUlS12_E1_NS1_11comp_targetILNS1_3genE0ELNS1_11target_archE4294967295ELNS1_3gpuE0ELNS1_3repE0EEENS1_36merge_oddeven_config_static_selectorELNS0_4arch9wavefront6targetE0EEEvSO_.num_vgpr, 10
	.set _ZN7rocprim17ROCPRIM_400000_NS6detail17trampoline_kernelINS0_14default_configENS1_38merge_sort_block_merge_config_selectorIjN6thrust23THRUST_200600_302600_NS5tupleIffNS6_9null_typeES8_S8_S8_S8_S8_S8_S8_EEEEZZNS1_27merge_sort_block_merge_implIS3_NS6_6detail15normal_iteratorINS6_10device_ptrIjEEEENSD_INSE_IS9_EEEEjNS1_19radix_merge_compareILb0ELb1EjNS0_19identity_decomposerEEEEE10hipError_tT0_T1_T2_jT3_P12ihipStream_tbPNSt15iterator_traitsISN_E10value_typeEPNST_ISO_E10value_typeEPSP_NS1_7vsmem_tEENKUlT_SN_SO_SP_E_clISG_PjSI_PS9_EESM_S12_SN_SO_SP_EUlS12_E1_NS1_11comp_targetILNS1_3genE0ELNS1_11target_archE4294967295ELNS1_3gpuE0ELNS1_3repE0EEENS1_36merge_oddeven_config_static_selectorELNS0_4arch9wavefront6targetE0EEEvSO_.num_agpr, 0
	.set _ZN7rocprim17ROCPRIM_400000_NS6detail17trampoline_kernelINS0_14default_configENS1_38merge_sort_block_merge_config_selectorIjN6thrust23THRUST_200600_302600_NS5tupleIffNS6_9null_typeES8_S8_S8_S8_S8_S8_S8_EEEEZZNS1_27merge_sort_block_merge_implIS3_NS6_6detail15normal_iteratorINS6_10device_ptrIjEEEENSD_INSE_IS9_EEEEjNS1_19radix_merge_compareILb0ELb1EjNS0_19identity_decomposerEEEEE10hipError_tT0_T1_T2_jT3_P12ihipStream_tbPNSt15iterator_traitsISN_E10value_typeEPNST_ISO_E10value_typeEPSP_NS1_7vsmem_tEENKUlT_SN_SO_SP_E_clISG_PjSI_PS9_EESM_S12_SN_SO_SP_EUlS12_E1_NS1_11comp_targetILNS1_3genE0ELNS1_11target_archE4294967295ELNS1_3gpuE0ELNS1_3repE0EEENS1_36merge_oddeven_config_static_selectorELNS0_4arch9wavefront6targetE0EEEvSO_.numbered_sgpr, 20
	.set _ZN7rocprim17ROCPRIM_400000_NS6detail17trampoline_kernelINS0_14default_configENS1_38merge_sort_block_merge_config_selectorIjN6thrust23THRUST_200600_302600_NS5tupleIffNS6_9null_typeES8_S8_S8_S8_S8_S8_S8_EEEEZZNS1_27merge_sort_block_merge_implIS3_NS6_6detail15normal_iteratorINS6_10device_ptrIjEEEENSD_INSE_IS9_EEEEjNS1_19radix_merge_compareILb0ELb1EjNS0_19identity_decomposerEEEEE10hipError_tT0_T1_T2_jT3_P12ihipStream_tbPNSt15iterator_traitsISN_E10value_typeEPNST_ISO_E10value_typeEPSP_NS1_7vsmem_tEENKUlT_SN_SO_SP_E_clISG_PjSI_PS9_EESM_S12_SN_SO_SP_EUlS12_E1_NS1_11comp_targetILNS1_3genE0ELNS1_11target_archE4294967295ELNS1_3gpuE0ELNS1_3repE0EEENS1_36merge_oddeven_config_static_selectorELNS0_4arch9wavefront6targetE0EEEvSO_.num_named_barrier, 0
	.set _ZN7rocprim17ROCPRIM_400000_NS6detail17trampoline_kernelINS0_14default_configENS1_38merge_sort_block_merge_config_selectorIjN6thrust23THRUST_200600_302600_NS5tupleIffNS6_9null_typeES8_S8_S8_S8_S8_S8_S8_EEEEZZNS1_27merge_sort_block_merge_implIS3_NS6_6detail15normal_iteratorINS6_10device_ptrIjEEEENSD_INSE_IS9_EEEEjNS1_19radix_merge_compareILb0ELb1EjNS0_19identity_decomposerEEEEE10hipError_tT0_T1_T2_jT3_P12ihipStream_tbPNSt15iterator_traitsISN_E10value_typeEPNST_ISO_E10value_typeEPSP_NS1_7vsmem_tEENKUlT_SN_SO_SP_E_clISG_PjSI_PS9_EESM_S12_SN_SO_SP_EUlS12_E1_NS1_11comp_targetILNS1_3genE0ELNS1_11target_archE4294967295ELNS1_3gpuE0ELNS1_3repE0EEENS1_36merge_oddeven_config_static_selectorELNS0_4arch9wavefront6targetE0EEEvSO_.private_seg_size, 0
	.set _ZN7rocprim17ROCPRIM_400000_NS6detail17trampoline_kernelINS0_14default_configENS1_38merge_sort_block_merge_config_selectorIjN6thrust23THRUST_200600_302600_NS5tupleIffNS6_9null_typeES8_S8_S8_S8_S8_S8_S8_EEEEZZNS1_27merge_sort_block_merge_implIS3_NS6_6detail15normal_iteratorINS6_10device_ptrIjEEEENSD_INSE_IS9_EEEEjNS1_19radix_merge_compareILb0ELb1EjNS0_19identity_decomposerEEEEE10hipError_tT0_T1_T2_jT3_P12ihipStream_tbPNSt15iterator_traitsISN_E10value_typeEPNST_ISO_E10value_typeEPSP_NS1_7vsmem_tEENKUlT_SN_SO_SP_E_clISG_PjSI_PS9_EESM_S12_SN_SO_SP_EUlS12_E1_NS1_11comp_targetILNS1_3genE0ELNS1_11target_archE4294967295ELNS1_3gpuE0ELNS1_3repE0EEENS1_36merge_oddeven_config_static_selectorELNS0_4arch9wavefront6targetE0EEEvSO_.uses_vcc, 1
	.set _ZN7rocprim17ROCPRIM_400000_NS6detail17trampoline_kernelINS0_14default_configENS1_38merge_sort_block_merge_config_selectorIjN6thrust23THRUST_200600_302600_NS5tupleIffNS6_9null_typeES8_S8_S8_S8_S8_S8_S8_EEEEZZNS1_27merge_sort_block_merge_implIS3_NS6_6detail15normal_iteratorINS6_10device_ptrIjEEEENSD_INSE_IS9_EEEEjNS1_19radix_merge_compareILb0ELb1EjNS0_19identity_decomposerEEEEE10hipError_tT0_T1_T2_jT3_P12ihipStream_tbPNSt15iterator_traitsISN_E10value_typeEPNST_ISO_E10value_typeEPSP_NS1_7vsmem_tEENKUlT_SN_SO_SP_E_clISG_PjSI_PS9_EESM_S12_SN_SO_SP_EUlS12_E1_NS1_11comp_targetILNS1_3genE0ELNS1_11target_archE4294967295ELNS1_3gpuE0ELNS1_3repE0EEENS1_36merge_oddeven_config_static_selectorELNS0_4arch9wavefront6targetE0EEEvSO_.uses_flat_scratch, 0
	.set _ZN7rocprim17ROCPRIM_400000_NS6detail17trampoline_kernelINS0_14default_configENS1_38merge_sort_block_merge_config_selectorIjN6thrust23THRUST_200600_302600_NS5tupleIffNS6_9null_typeES8_S8_S8_S8_S8_S8_S8_EEEEZZNS1_27merge_sort_block_merge_implIS3_NS6_6detail15normal_iteratorINS6_10device_ptrIjEEEENSD_INSE_IS9_EEEEjNS1_19radix_merge_compareILb0ELb1EjNS0_19identity_decomposerEEEEE10hipError_tT0_T1_T2_jT3_P12ihipStream_tbPNSt15iterator_traitsISN_E10value_typeEPNST_ISO_E10value_typeEPSP_NS1_7vsmem_tEENKUlT_SN_SO_SP_E_clISG_PjSI_PS9_EESM_S12_SN_SO_SP_EUlS12_E1_NS1_11comp_targetILNS1_3genE0ELNS1_11target_archE4294967295ELNS1_3gpuE0ELNS1_3repE0EEENS1_36merge_oddeven_config_static_selectorELNS0_4arch9wavefront6targetE0EEEvSO_.has_dyn_sized_stack, 0
	.set _ZN7rocprim17ROCPRIM_400000_NS6detail17trampoline_kernelINS0_14default_configENS1_38merge_sort_block_merge_config_selectorIjN6thrust23THRUST_200600_302600_NS5tupleIffNS6_9null_typeES8_S8_S8_S8_S8_S8_S8_EEEEZZNS1_27merge_sort_block_merge_implIS3_NS6_6detail15normal_iteratorINS6_10device_ptrIjEEEENSD_INSE_IS9_EEEEjNS1_19radix_merge_compareILb0ELb1EjNS0_19identity_decomposerEEEEE10hipError_tT0_T1_T2_jT3_P12ihipStream_tbPNSt15iterator_traitsISN_E10value_typeEPNST_ISO_E10value_typeEPSP_NS1_7vsmem_tEENKUlT_SN_SO_SP_E_clISG_PjSI_PS9_EESM_S12_SN_SO_SP_EUlS12_E1_NS1_11comp_targetILNS1_3genE0ELNS1_11target_archE4294967295ELNS1_3gpuE0ELNS1_3repE0EEENS1_36merge_oddeven_config_static_selectorELNS0_4arch9wavefront6targetE0EEEvSO_.has_recursion, 0
	.set _ZN7rocprim17ROCPRIM_400000_NS6detail17trampoline_kernelINS0_14default_configENS1_38merge_sort_block_merge_config_selectorIjN6thrust23THRUST_200600_302600_NS5tupleIffNS6_9null_typeES8_S8_S8_S8_S8_S8_S8_EEEEZZNS1_27merge_sort_block_merge_implIS3_NS6_6detail15normal_iteratorINS6_10device_ptrIjEEEENSD_INSE_IS9_EEEEjNS1_19radix_merge_compareILb0ELb1EjNS0_19identity_decomposerEEEEE10hipError_tT0_T1_T2_jT3_P12ihipStream_tbPNSt15iterator_traitsISN_E10value_typeEPNST_ISO_E10value_typeEPSP_NS1_7vsmem_tEENKUlT_SN_SO_SP_E_clISG_PjSI_PS9_EESM_S12_SN_SO_SP_EUlS12_E1_NS1_11comp_targetILNS1_3genE0ELNS1_11target_archE4294967295ELNS1_3gpuE0ELNS1_3repE0EEENS1_36merge_oddeven_config_static_selectorELNS0_4arch9wavefront6targetE0EEEvSO_.has_indirect_call, 0
	.section	.AMDGPU.csdata,"",@progbits
; Kernel info:
; codeLenInByte = 844
; TotalNumSgprs: 22
; NumVgprs: 10
; ScratchSize: 0
; MemoryBound: 0
; FloatMode: 240
; IeeeMode: 1
; LDSByteSize: 0 bytes/workgroup (compile time only)
; SGPRBlocks: 0
; VGPRBlocks: 0
; NumSGPRsForWavesPerEU: 22
; NumVGPRsForWavesPerEU: 10
; NamedBarCnt: 0
; Occupancy: 16
; WaveLimiterHint : 0
; COMPUTE_PGM_RSRC2:SCRATCH_EN: 0
; COMPUTE_PGM_RSRC2:USER_SGPR: 2
; COMPUTE_PGM_RSRC2:TRAP_HANDLER: 0
; COMPUTE_PGM_RSRC2:TGID_X_EN: 1
; COMPUTE_PGM_RSRC2:TGID_Y_EN: 0
; COMPUTE_PGM_RSRC2:TGID_Z_EN: 0
; COMPUTE_PGM_RSRC2:TIDIG_COMP_CNT: 0
	.section	.text._ZN7rocprim17ROCPRIM_400000_NS6detail17trampoline_kernelINS0_14default_configENS1_38merge_sort_block_merge_config_selectorIjN6thrust23THRUST_200600_302600_NS5tupleIffNS6_9null_typeES8_S8_S8_S8_S8_S8_S8_EEEEZZNS1_27merge_sort_block_merge_implIS3_NS6_6detail15normal_iteratorINS6_10device_ptrIjEEEENSD_INSE_IS9_EEEEjNS1_19radix_merge_compareILb0ELb1EjNS0_19identity_decomposerEEEEE10hipError_tT0_T1_T2_jT3_P12ihipStream_tbPNSt15iterator_traitsISN_E10value_typeEPNST_ISO_E10value_typeEPSP_NS1_7vsmem_tEENKUlT_SN_SO_SP_E_clISG_PjSI_PS9_EESM_S12_SN_SO_SP_EUlS12_E1_NS1_11comp_targetILNS1_3genE10ELNS1_11target_archE1201ELNS1_3gpuE5ELNS1_3repE0EEENS1_36merge_oddeven_config_static_selectorELNS0_4arch9wavefront6targetE0EEEvSO_,"axG",@progbits,_ZN7rocprim17ROCPRIM_400000_NS6detail17trampoline_kernelINS0_14default_configENS1_38merge_sort_block_merge_config_selectorIjN6thrust23THRUST_200600_302600_NS5tupleIffNS6_9null_typeES8_S8_S8_S8_S8_S8_S8_EEEEZZNS1_27merge_sort_block_merge_implIS3_NS6_6detail15normal_iteratorINS6_10device_ptrIjEEEENSD_INSE_IS9_EEEEjNS1_19radix_merge_compareILb0ELb1EjNS0_19identity_decomposerEEEEE10hipError_tT0_T1_T2_jT3_P12ihipStream_tbPNSt15iterator_traitsISN_E10value_typeEPNST_ISO_E10value_typeEPSP_NS1_7vsmem_tEENKUlT_SN_SO_SP_E_clISG_PjSI_PS9_EESM_S12_SN_SO_SP_EUlS12_E1_NS1_11comp_targetILNS1_3genE10ELNS1_11target_archE1201ELNS1_3gpuE5ELNS1_3repE0EEENS1_36merge_oddeven_config_static_selectorELNS0_4arch9wavefront6targetE0EEEvSO_,comdat
	.protected	_ZN7rocprim17ROCPRIM_400000_NS6detail17trampoline_kernelINS0_14default_configENS1_38merge_sort_block_merge_config_selectorIjN6thrust23THRUST_200600_302600_NS5tupleIffNS6_9null_typeES8_S8_S8_S8_S8_S8_S8_EEEEZZNS1_27merge_sort_block_merge_implIS3_NS6_6detail15normal_iteratorINS6_10device_ptrIjEEEENSD_INSE_IS9_EEEEjNS1_19radix_merge_compareILb0ELb1EjNS0_19identity_decomposerEEEEE10hipError_tT0_T1_T2_jT3_P12ihipStream_tbPNSt15iterator_traitsISN_E10value_typeEPNST_ISO_E10value_typeEPSP_NS1_7vsmem_tEENKUlT_SN_SO_SP_E_clISG_PjSI_PS9_EESM_S12_SN_SO_SP_EUlS12_E1_NS1_11comp_targetILNS1_3genE10ELNS1_11target_archE1201ELNS1_3gpuE5ELNS1_3repE0EEENS1_36merge_oddeven_config_static_selectorELNS0_4arch9wavefront6targetE0EEEvSO_ ; -- Begin function _ZN7rocprim17ROCPRIM_400000_NS6detail17trampoline_kernelINS0_14default_configENS1_38merge_sort_block_merge_config_selectorIjN6thrust23THRUST_200600_302600_NS5tupleIffNS6_9null_typeES8_S8_S8_S8_S8_S8_S8_EEEEZZNS1_27merge_sort_block_merge_implIS3_NS6_6detail15normal_iteratorINS6_10device_ptrIjEEEENSD_INSE_IS9_EEEEjNS1_19radix_merge_compareILb0ELb1EjNS0_19identity_decomposerEEEEE10hipError_tT0_T1_T2_jT3_P12ihipStream_tbPNSt15iterator_traitsISN_E10value_typeEPNST_ISO_E10value_typeEPSP_NS1_7vsmem_tEENKUlT_SN_SO_SP_E_clISG_PjSI_PS9_EESM_S12_SN_SO_SP_EUlS12_E1_NS1_11comp_targetILNS1_3genE10ELNS1_11target_archE1201ELNS1_3gpuE5ELNS1_3repE0EEENS1_36merge_oddeven_config_static_selectorELNS0_4arch9wavefront6targetE0EEEvSO_
	.globl	_ZN7rocprim17ROCPRIM_400000_NS6detail17trampoline_kernelINS0_14default_configENS1_38merge_sort_block_merge_config_selectorIjN6thrust23THRUST_200600_302600_NS5tupleIffNS6_9null_typeES8_S8_S8_S8_S8_S8_S8_EEEEZZNS1_27merge_sort_block_merge_implIS3_NS6_6detail15normal_iteratorINS6_10device_ptrIjEEEENSD_INSE_IS9_EEEEjNS1_19radix_merge_compareILb0ELb1EjNS0_19identity_decomposerEEEEE10hipError_tT0_T1_T2_jT3_P12ihipStream_tbPNSt15iterator_traitsISN_E10value_typeEPNST_ISO_E10value_typeEPSP_NS1_7vsmem_tEENKUlT_SN_SO_SP_E_clISG_PjSI_PS9_EESM_S12_SN_SO_SP_EUlS12_E1_NS1_11comp_targetILNS1_3genE10ELNS1_11target_archE1201ELNS1_3gpuE5ELNS1_3repE0EEENS1_36merge_oddeven_config_static_selectorELNS0_4arch9wavefront6targetE0EEEvSO_
	.p2align	8
	.type	_ZN7rocprim17ROCPRIM_400000_NS6detail17trampoline_kernelINS0_14default_configENS1_38merge_sort_block_merge_config_selectorIjN6thrust23THRUST_200600_302600_NS5tupleIffNS6_9null_typeES8_S8_S8_S8_S8_S8_S8_EEEEZZNS1_27merge_sort_block_merge_implIS3_NS6_6detail15normal_iteratorINS6_10device_ptrIjEEEENSD_INSE_IS9_EEEEjNS1_19radix_merge_compareILb0ELb1EjNS0_19identity_decomposerEEEEE10hipError_tT0_T1_T2_jT3_P12ihipStream_tbPNSt15iterator_traitsISN_E10value_typeEPNST_ISO_E10value_typeEPSP_NS1_7vsmem_tEENKUlT_SN_SO_SP_E_clISG_PjSI_PS9_EESM_S12_SN_SO_SP_EUlS12_E1_NS1_11comp_targetILNS1_3genE10ELNS1_11target_archE1201ELNS1_3gpuE5ELNS1_3repE0EEENS1_36merge_oddeven_config_static_selectorELNS0_4arch9wavefront6targetE0EEEvSO_,@function
_ZN7rocprim17ROCPRIM_400000_NS6detail17trampoline_kernelINS0_14default_configENS1_38merge_sort_block_merge_config_selectorIjN6thrust23THRUST_200600_302600_NS5tupleIffNS6_9null_typeES8_S8_S8_S8_S8_S8_S8_EEEEZZNS1_27merge_sort_block_merge_implIS3_NS6_6detail15normal_iteratorINS6_10device_ptrIjEEEENSD_INSE_IS9_EEEEjNS1_19radix_merge_compareILb0ELb1EjNS0_19identity_decomposerEEEEE10hipError_tT0_T1_T2_jT3_P12ihipStream_tbPNSt15iterator_traitsISN_E10value_typeEPNST_ISO_E10value_typeEPSP_NS1_7vsmem_tEENKUlT_SN_SO_SP_E_clISG_PjSI_PS9_EESM_S12_SN_SO_SP_EUlS12_E1_NS1_11comp_targetILNS1_3genE10ELNS1_11target_archE1201ELNS1_3gpuE5ELNS1_3repE0EEENS1_36merge_oddeven_config_static_selectorELNS0_4arch9wavefront6targetE0EEEvSO_: ; @_ZN7rocprim17ROCPRIM_400000_NS6detail17trampoline_kernelINS0_14default_configENS1_38merge_sort_block_merge_config_selectorIjN6thrust23THRUST_200600_302600_NS5tupleIffNS6_9null_typeES8_S8_S8_S8_S8_S8_S8_EEEEZZNS1_27merge_sort_block_merge_implIS3_NS6_6detail15normal_iteratorINS6_10device_ptrIjEEEENSD_INSE_IS9_EEEEjNS1_19radix_merge_compareILb0ELb1EjNS0_19identity_decomposerEEEEE10hipError_tT0_T1_T2_jT3_P12ihipStream_tbPNSt15iterator_traitsISN_E10value_typeEPNST_ISO_E10value_typeEPSP_NS1_7vsmem_tEENKUlT_SN_SO_SP_E_clISG_PjSI_PS9_EESM_S12_SN_SO_SP_EUlS12_E1_NS1_11comp_targetILNS1_3genE10ELNS1_11target_archE1201ELNS1_3gpuE5ELNS1_3repE0EEENS1_36merge_oddeven_config_static_selectorELNS0_4arch9wavefront6targetE0EEEvSO_
; %bb.0:
	.section	.rodata,"a",@progbits
	.p2align	6, 0x0
	.amdhsa_kernel _ZN7rocprim17ROCPRIM_400000_NS6detail17trampoline_kernelINS0_14default_configENS1_38merge_sort_block_merge_config_selectorIjN6thrust23THRUST_200600_302600_NS5tupleIffNS6_9null_typeES8_S8_S8_S8_S8_S8_S8_EEEEZZNS1_27merge_sort_block_merge_implIS3_NS6_6detail15normal_iteratorINS6_10device_ptrIjEEEENSD_INSE_IS9_EEEEjNS1_19radix_merge_compareILb0ELb1EjNS0_19identity_decomposerEEEEE10hipError_tT0_T1_T2_jT3_P12ihipStream_tbPNSt15iterator_traitsISN_E10value_typeEPNST_ISO_E10value_typeEPSP_NS1_7vsmem_tEENKUlT_SN_SO_SP_E_clISG_PjSI_PS9_EESM_S12_SN_SO_SP_EUlS12_E1_NS1_11comp_targetILNS1_3genE10ELNS1_11target_archE1201ELNS1_3gpuE5ELNS1_3repE0EEENS1_36merge_oddeven_config_static_selectorELNS0_4arch9wavefront6targetE0EEEvSO_
		.amdhsa_group_segment_fixed_size 0
		.amdhsa_private_segment_fixed_size 0
		.amdhsa_kernarg_size 48
		.amdhsa_user_sgpr_count 2
		.amdhsa_user_sgpr_dispatch_ptr 0
		.amdhsa_user_sgpr_queue_ptr 0
		.amdhsa_user_sgpr_kernarg_segment_ptr 1
		.amdhsa_user_sgpr_dispatch_id 0
		.amdhsa_user_sgpr_kernarg_preload_length 0
		.amdhsa_user_sgpr_kernarg_preload_offset 0
		.amdhsa_user_sgpr_private_segment_size 0
		.amdhsa_wavefront_size32 1
		.amdhsa_uses_dynamic_stack 0
		.amdhsa_enable_private_segment 0
		.amdhsa_system_sgpr_workgroup_id_x 1
		.amdhsa_system_sgpr_workgroup_id_y 0
		.amdhsa_system_sgpr_workgroup_id_z 0
		.amdhsa_system_sgpr_workgroup_info 0
		.amdhsa_system_vgpr_workitem_id 0
		.amdhsa_next_free_vgpr 1
		.amdhsa_next_free_sgpr 1
		.amdhsa_named_barrier_count 0
		.amdhsa_reserve_vcc 0
		.amdhsa_float_round_mode_32 0
		.amdhsa_float_round_mode_16_64 0
		.amdhsa_float_denorm_mode_32 3
		.amdhsa_float_denorm_mode_16_64 3
		.amdhsa_fp16_overflow 0
		.amdhsa_memory_ordered 1
		.amdhsa_forward_progress 1
		.amdhsa_inst_pref_size 0
		.amdhsa_round_robin_scheduling 0
		.amdhsa_exception_fp_ieee_invalid_op 0
		.amdhsa_exception_fp_denorm_src 0
		.amdhsa_exception_fp_ieee_div_zero 0
		.amdhsa_exception_fp_ieee_overflow 0
		.amdhsa_exception_fp_ieee_underflow 0
		.amdhsa_exception_fp_ieee_inexact 0
		.amdhsa_exception_int_div_zero 0
	.end_amdhsa_kernel
	.section	.text._ZN7rocprim17ROCPRIM_400000_NS6detail17trampoline_kernelINS0_14default_configENS1_38merge_sort_block_merge_config_selectorIjN6thrust23THRUST_200600_302600_NS5tupleIffNS6_9null_typeES8_S8_S8_S8_S8_S8_S8_EEEEZZNS1_27merge_sort_block_merge_implIS3_NS6_6detail15normal_iteratorINS6_10device_ptrIjEEEENSD_INSE_IS9_EEEEjNS1_19radix_merge_compareILb0ELb1EjNS0_19identity_decomposerEEEEE10hipError_tT0_T1_T2_jT3_P12ihipStream_tbPNSt15iterator_traitsISN_E10value_typeEPNST_ISO_E10value_typeEPSP_NS1_7vsmem_tEENKUlT_SN_SO_SP_E_clISG_PjSI_PS9_EESM_S12_SN_SO_SP_EUlS12_E1_NS1_11comp_targetILNS1_3genE10ELNS1_11target_archE1201ELNS1_3gpuE5ELNS1_3repE0EEENS1_36merge_oddeven_config_static_selectorELNS0_4arch9wavefront6targetE0EEEvSO_,"axG",@progbits,_ZN7rocprim17ROCPRIM_400000_NS6detail17trampoline_kernelINS0_14default_configENS1_38merge_sort_block_merge_config_selectorIjN6thrust23THRUST_200600_302600_NS5tupleIffNS6_9null_typeES8_S8_S8_S8_S8_S8_S8_EEEEZZNS1_27merge_sort_block_merge_implIS3_NS6_6detail15normal_iteratorINS6_10device_ptrIjEEEENSD_INSE_IS9_EEEEjNS1_19radix_merge_compareILb0ELb1EjNS0_19identity_decomposerEEEEE10hipError_tT0_T1_T2_jT3_P12ihipStream_tbPNSt15iterator_traitsISN_E10value_typeEPNST_ISO_E10value_typeEPSP_NS1_7vsmem_tEENKUlT_SN_SO_SP_E_clISG_PjSI_PS9_EESM_S12_SN_SO_SP_EUlS12_E1_NS1_11comp_targetILNS1_3genE10ELNS1_11target_archE1201ELNS1_3gpuE5ELNS1_3repE0EEENS1_36merge_oddeven_config_static_selectorELNS0_4arch9wavefront6targetE0EEEvSO_,comdat
.Lfunc_end132:
	.size	_ZN7rocprim17ROCPRIM_400000_NS6detail17trampoline_kernelINS0_14default_configENS1_38merge_sort_block_merge_config_selectorIjN6thrust23THRUST_200600_302600_NS5tupleIffNS6_9null_typeES8_S8_S8_S8_S8_S8_S8_EEEEZZNS1_27merge_sort_block_merge_implIS3_NS6_6detail15normal_iteratorINS6_10device_ptrIjEEEENSD_INSE_IS9_EEEEjNS1_19radix_merge_compareILb0ELb1EjNS0_19identity_decomposerEEEEE10hipError_tT0_T1_T2_jT3_P12ihipStream_tbPNSt15iterator_traitsISN_E10value_typeEPNST_ISO_E10value_typeEPSP_NS1_7vsmem_tEENKUlT_SN_SO_SP_E_clISG_PjSI_PS9_EESM_S12_SN_SO_SP_EUlS12_E1_NS1_11comp_targetILNS1_3genE10ELNS1_11target_archE1201ELNS1_3gpuE5ELNS1_3repE0EEENS1_36merge_oddeven_config_static_selectorELNS0_4arch9wavefront6targetE0EEEvSO_, .Lfunc_end132-_ZN7rocprim17ROCPRIM_400000_NS6detail17trampoline_kernelINS0_14default_configENS1_38merge_sort_block_merge_config_selectorIjN6thrust23THRUST_200600_302600_NS5tupleIffNS6_9null_typeES8_S8_S8_S8_S8_S8_S8_EEEEZZNS1_27merge_sort_block_merge_implIS3_NS6_6detail15normal_iteratorINS6_10device_ptrIjEEEENSD_INSE_IS9_EEEEjNS1_19radix_merge_compareILb0ELb1EjNS0_19identity_decomposerEEEEE10hipError_tT0_T1_T2_jT3_P12ihipStream_tbPNSt15iterator_traitsISN_E10value_typeEPNST_ISO_E10value_typeEPSP_NS1_7vsmem_tEENKUlT_SN_SO_SP_E_clISG_PjSI_PS9_EESM_S12_SN_SO_SP_EUlS12_E1_NS1_11comp_targetILNS1_3genE10ELNS1_11target_archE1201ELNS1_3gpuE5ELNS1_3repE0EEENS1_36merge_oddeven_config_static_selectorELNS0_4arch9wavefront6targetE0EEEvSO_
                                        ; -- End function
	.set _ZN7rocprim17ROCPRIM_400000_NS6detail17trampoline_kernelINS0_14default_configENS1_38merge_sort_block_merge_config_selectorIjN6thrust23THRUST_200600_302600_NS5tupleIffNS6_9null_typeES8_S8_S8_S8_S8_S8_S8_EEEEZZNS1_27merge_sort_block_merge_implIS3_NS6_6detail15normal_iteratorINS6_10device_ptrIjEEEENSD_INSE_IS9_EEEEjNS1_19radix_merge_compareILb0ELb1EjNS0_19identity_decomposerEEEEE10hipError_tT0_T1_T2_jT3_P12ihipStream_tbPNSt15iterator_traitsISN_E10value_typeEPNST_ISO_E10value_typeEPSP_NS1_7vsmem_tEENKUlT_SN_SO_SP_E_clISG_PjSI_PS9_EESM_S12_SN_SO_SP_EUlS12_E1_NS1_11comp_targetILNS1_3genE10ELNS1_11target_archE1201ELNS1_3gpuE5ELNS1_3repE0EEENS1_36merge_oddeven_config_static_selectorELNS0_4arch9wavefront6targetE0EEEvSO_.num_vgpr, 0
	.set _ZN7rocprim17ROCPRIM_400000_NS6detail17trampoline_kernelINS0_14default_configENS1_38merge_sort_block_merge_config_selectorIjN6thrust23THRUST_200600_302600_NS5tupleIffNS6_9null_typeES8_S8_S8_S8_S8_S8_S8_EEEEZZNS1_27merge_sort_block_merge_implIS3_NS6_6detail15normal_iteratorINS6_10device_ptrIjEEEENSD_INSE_IS9_EEEEjNS1_19radix_merge_compareILb0ELb1EjNS0_19identity_decomposerEEEEE10hipError_tT0_T1_T2_jT3_P12ihipStream_tbPNSt15iterator_traitsISN_E10value_typeEPNST_ISO_E10value_typeEPSP_NS1_7vsmem_tEENKUlT_SN_SO_SP_E_clISG_PjSI_PS9_EESM_S12_SN_SO_SP_EUlS12_E1_NS1_11comp_targetILNS1_3genE10ELNS1_11target_archE1201ELNS1_3gpuE5ELNS1_3repE0EEENS1_36merge_oddeven_config_static_selectorELNS0_4arch9wavefront6targetE0EEEvSO_.num_agpr, 0
	.set _ZN7rocprim17ROCPRIM_400000_NS6detail17trampoline_kernelINS0_14default_configENS1_38merge_sort_block_merge_config_selectorIjN6thrust23THRUST_200600_302600_NS5tupleIffNS6_9null_typeES8_S8_S8_S8_S8_S8_S8_EEEEZZNS1_27merge_sort_block_merge_implIS3_NS6_6detail15normal_iteratorINS6_10device_ptrIjEEEENSD_INSE_IS9_EEEEjNS1_19radix_merge_compareILb0ELb1EjNS0_19identity_decomposerEEEEE10hipError_tT0_T1_T2_jT3_P12ihipStream_tbPNSt15iterator_traitsISN_E10value_typeEPNST_ISO_E10value_typeEPSP_NS1_7vsmem_tEENKUlT_SN_SO_SP_E_clISG_PjSI_PS9_EESM_S12_SN_SO_SP_EUlS12_E1_NS1_11comp_targetILNS1_3genE10ELNS1_11target_archE1201ELNS1_3gpuE5ELNS1_3repE0EEENS1_36merge_oddeven_config_static_selectorELNS0_4arch9wavefront6targetE0EEEvSO_.numbered_sgpr, 0
	.set _ZN7rocprim17ROCPRIM_400000_NS6detail17trampoline_kernelINS0_14default_configENS1_38merge_sort_block_merge_config_selectorIjN6thrust23THRUST_200600_302600_NS5tupleIffNS6_9null_typeES8_S8_S8_S8_S8_S8_S8_EEEEZZNS1_27merge_sort_block_merge_implIS3_NS6_6detail15normal_iteratorINS6_10device_ptrIjEEEENSD_INSE_IS9_EEEEjNS1_19radix_merge_compareILb0ELb1EjNS0_19identity_decomposerEEEEE10hipError_tT0_T1_T2_jT3_P12ihipStream_tbPNSt15iterator_traitsISN_E10value_typeEPNST_ISO_E10value_typeEPSP_NS1_7vsmem_tEENKUlT_SN_SO_SP_E_clISG_PjSI_PS9_EESM_S12_SN_SO_SP_EUlS12_E1_NS1_11comp_targetILNS1_3genE10ELNS1_11target_archE1201ELNS1_3gpuE5ELNS1_3repE0EEENS1_36merge_oddeven_config_static_selectorELNS0_4arch9wavefront6targetE0EEEvSO_.num_named_barrier, 0
	.set _ZN7rocprim17ROCPRIM_400000_NS6detail17trampoline_kernelINS0_14default_configENS1_38merge_sort_block_merge_config_selectorIjN6thrust23THRUST_200600_302600_NS5tupleIffNS6_9null_typeES8_S8_S8_S8_S8_S8_S8_EEEEZZNS1_27merge_sort_block_merge_implIS3_NS6_6detail15normal_iteratorINS6_10device_ptrIjEEEENSD_INSE_IS9_EEEEjNS1_19radix_merge_compareILb0ELb1EjNS0_19identity_decomposerEEEEE10hipError_tT0_T1_T2_jT3_P12ihipStream_tbPNSt15iterator_traitsISN_E10value_typeEPNST_ISO_E10value_typeEPSP_NS1_7vsmem_tEENKUlT_SN_SO_SP_E_clISG_PjSI_PS9_EESM_S12_SN_SO_SP_EUlS12_E1_NS1_11comp_targetILNS1_3genE10ELNS1_11target_archE1201ELNS1_3gpuE5ELNS1_3repE0EEENS1_36merge_oddeven_config_static_selectorELNS0_4arch9wavefront6targetE0EEEvSO_.private_seg_size, 0
	.set _ZN7rocprim17ROCPRIM_400000_NS6detail17trampoline_kernelINS0_14default_configENS1_38merge_sort_block_merge_config_selectorIjN6thrust23THRUST_200600_302600_NS5tupleIffNS6_9null_typeES8_S8_S8_S8_S8_S8_S8_EEEEZZNS1_27merge_sort_block_merge_implIS3_NS6_6detail15normal_iteratorINS6_10device_ptrIjEEEENSD_INSE_IS9_EEEEjNS1_19radix_merge_compareILb0ELb1EjNS0_19identity_decomposerEEEEE10hipError_tT0_T1_T2_jT3_P12ihipStream_tbPNSt15iterator_traitsISN_E10value_typeEPNST_ISO_E10value_typeEPSP_NS1_7vsmem_tEENKUlT_SN_SO_SP_E_clISG_PjSI_PS9_EESM_S12_SN_SO_SP_EUlS12_E1_NS1_11comp_targetILNS1_3genE10ELNS1_11target_archE1201ELNS1_3gpuE5ELNS1_3repE0EEENS1_36merge_oddeven_config_static_selectorELNS0_4arch9wavefront6targetE0EEEvSO_.uses_vcc, 0
	.set _ZN7rocprim17ROCPRIM_400000_NS6detail17trampoline_kernelINS0_14default_configENS1_38merge_sort_block_merge_config_selectorIjN6thrust23THRUST_200600_302600_NS5tupleIffNS6_9null_typeES8_S8_S8_S8_S8_S8_S8_EEEEZZNS1_27merge_sort_block_merge_implIS3_NS6_6detail15normal_iteratorINS6_10device_ptrIjEEEENSD_INSE_IS9_EEEEjNS1_19radix_merge_compareILb0ELb1EjNS0_19identity_decomposerEEEEE10hipError_tT0_T1_T2_jT3_P12ihipStream_tbPNSt15iterator_traitsISN_E10value_typeEPNST_ISO_E10value_typeEPSP_NS1_7vsmem_tEENKUlT_SN_SO_SP_E_clISG_PjSI_PS9_EESM_S12_SN_SO_SP_EUlS12_E1_NS1_11comp_targetILNS1_3genE10ELNS1_11target_archE1201ELNS1_3gpuE5ELNS1_3repE0EEENS1_36merge_oddeven_config_static_selectorELNS0_4arch9wavefront6targetE0EEEvSO_.uses_flat_scratch, 0
	.set _ZN7rocprim17ROCPRIM_400000_NS6detail17trampoline_kernelINS0_14default_configENS1_38merge_sort_block_merge_config_selectorIjN6thrust23THRUST_200600_302600_NS5tupleIffNS6_9null_typeES8_S8_S8_S8_S8_S8_S8_EEEEZZNS1_27merge_sort_block_merge_implIS3_NS6_6detail15normal_iteratorINS6_10device_ptrIjEEEENSD_INSE_IS9_EEEEjNS1_19radix_merge_compareILb0ELb1EjNS0_19identity_decomposerEEEEE10hipError_tT0_T1_T2_jT3_P12ihipStream_tbPNSt15iterator_traitsISN_E10value_typeEPNST_ISO_E10value_typeEPSP_NS1_7vsmem_tEENKUlT_SN_SO_SP_E_clISG_PjSI_PS9_EESM_S12_SN_SO_SP_EUlS12_E1_NS1_11comp_targetILNS1_3genE10ELNS1_11target_archE1201ELNS1_3gpuE5ELNS1_3repE0EEENS1_36merge_oddeven_config_static_selectorELNS0_4arch9wavefront6targetE0EEEvSO_.has_dyn_sized_stack, 0
	.set _ZN7rocprim17ROCPRIM_400000_NS6detail17trampoline_kernelINS0_14default_configENS1_38merge_sort_block_merge_config_selectorIjN6thrust23THRUST_200600_302600_NS5tupleIffNS6_9null_typeES8_S8_S8_S8_S8_S8_S8_EEEEZZNS1_27merge_sort_block_merge_implIS3_NS6_6detail15normal_iteratorINS6_10device_ptrIjEEEENSD_INSE_IS9_EEEEjNS1_19radix_merge_compareILb0ELb1EjNS0_19identity_decomposerEEEEE10hipError_tT0_T1_T2_jT3_P12ihipStream_tbPNSt15iterator_traitsISN_E10value_typeEPNST_ISO_E10value_typeEPSP_NS1_7vsmem_tEENKUlT_SN_SO_SP_E_clISG_PjSI_PS9_EESM_S12_SN_SO_SP_EUlS12_E1_NS1_11comp_targetILNS1_3genE10ELNS1_11target_archE1201ELNS1_3gpuE5ELNS1_3repE0EEENS1_36merge_oddeven_config_static_selectorELNS0_4arch9wavefront6targetE0EEEvSO_.has_recursion, 0
	.set _ZN7rocprim17ROCPRIM_400000_NS6detail17trampoline_kernelINS0_14default_configENS1_38merge_sort_block_merge_config_selectorIjN6thrust23THRUST_200600_302600_NS5tupleIffNS6_9null_typeES8_S8_S8_S8_S8_S8_S8_EEEEZZNS1_27merge_sort_block_merge_implIS3_NS6_6detail15normal_iteratorINS6_10device_ptrIjEEEENSD_INSE_IS9_EEEEjNS1_19radix_merge_compareILb0ELb1EjNS0_19identity_decomposerEEEEE10hipError_tT0_T1_T2_jT3_P12ihipStream_tbPNSt15iterator_traitsISN_E10value_typeEPNST_ISO_E10value_typeEPSP_NS1_7vsmem_tEENKUlT_SN_SO_SP_E_clISG_PjSI_PS9_EESM_S12_SN_SO_SP_EUlS12_E1_NS1_11comp_targetILNS1_3genE10ELNS1_11target_archE1201ELNS1_3gpuE5ELNS1_3repE0EEENS1_36merge_oddeven_config_static_selectorELNS0_4arch9wavefront6targetE0EEEvSO_.has_indirect_call, 0
	.section	.AMDGPU.csdata,"",@progbits
; Kernel info:
; codeLenInByte = 0
; TotalNumSgprs: 0
; NumVgprs: 0
; ScratchSize: 0
; MemoryBound: 0
; FloatMode: 240
; IeeeMode: 1
; LDSByteSize: 0 bytes/workgroup (compile time only)
; SGPRBlocks: 0
; VGPRBlocks: 0
; NumSGPRsForWavesPerEU: 1
; NumVGPRsForWavesPerEU: 1
; NamedBarCnt: 0
; Occupancy: 16
; WaveLimiterHint : 0
; COMPUTE_PGM_RSRC2:SCRATCH_EN: 0
; COMPUTE_PGM_RSRC2:USER_SGPR: 2
; COMPUTE_PGM_RSRC2:TRAP_HANDLER: 0
; COMPUTE_PGM_RSRC2:TGID_X_EN: 1
; COMPUTE_PGM_RSRC2:TGID_Y_EN: 0
; COMPUTE_PGM_RSRC2:TGID_Z_EN: 0
; COMPUTE_PGM_RSRC2:TIDIG_COMP_CNT: 0
	.section	.text._ZN7rocprim17ROCPRIM_400000_NS6detail17trampoline_kernelINS0_14default_configENS1_38merge_sort_block_merge_config_selectorIjN6thrust23THRUST_200600_302600_NS5tupleIffNS6_9null_typeES8_S8_S8_S8_S8_S8_S8_EEEEZZNS1_27merge_sort_block_merge_implIS3_NS6_6detail15normal_iteratorINS6_10device_ptrIjEEEENSD_INSE_IS9_EEEEjNS1_19radix_merge_compareILb0ELb1EjNS0_19identity_decomposerEEEEE10hipError_tT0_T1_T2_jT3_P12ihipStream_tbPNSt15iterator_traitsISN_E10value_typeEPNST_ISO_E10value_typeEPSP_NS1_7vsmem_tEENKUlT_SN_SO_SP_E_clISG_PjSI_PS9_EESM_S12_SN_SO_SP_EUlS12_E1_NS1_11comp_targetILNS1_3genE5ELNS1_11target_archE942ELNS1_3gpuE9ELNS1_3repE0EEENS1_36merge_oddeven_config_static_selectorELNS0_4arch9wavefront6targetE0EEEvSO_,"axG",@progbits,_ZN7rocprim17ROCPRIM_400000_NS6detail17trampoline_kernelINS0_14default_configENS1_38merge_sort_block_merge_config_selectorIjN6thrust23THRUST_200600_302600_NS5tupleIffNS6_9null_typeES8_S8_S8_S8_S8_S8_S8_EEEEZZNS1_27merge_sort_block_merge_implIS3_NS6_6detail15normal_iteratorINS6_10device_ptrIjEEEENSD_INSE_IS9_EEEEjNS1_19radix_merge_compareILb0ELb1EjNS0_19identity_decomposerEEEEE10hipError_tT0_T1_T2_jT3_P12ihipStream_tbPNSt15iterator_traitsISN_E10value_typeEPNST_ISO_E10value_typeEPSP_NS1_7vsmem_tEENKUlT_SN_SO_SP_E_clISG_PjSI_PS9_EESM_S12_SN_SO_SP_EUlS12_E1_NS1_11comp_targetILNS1_3genE5ELNS1_11target_archE942ELNS1_3gpuE9ELNS1_3repE0EEENS1_36merge_oddeven_config_static_selectorELNS0_4arch9wavefront6targetE0EEEvSO_,comdat
	.protected	_ZN7rocprim17ROCPRIM_400000_NS6detail17trampoline_kernelINS0_14default_configENS1_38merge_sort_block_merge_config_selectorIjN6thrust23THRUST_200600_302600_NS5tupleIffNS6_9null_typeES8_S8_S8_S8_S8_S8_S8_EEEEZZNS1_27merge_sort_block_merge_implIS3_NS6_6detail15normal_iteratorINS6_10device_ptrIjEEEENSD_INSE_IS9_EEEEjNS1_19radix_merge_compareILb0ELb1EjNS0_19identity_decomposerEEEEE10hipError_tT0_T1_T2_jT3_P12ihipStream_tbPNSt15iterator_traitsISN_E10value_typeEPNST_ISO_E10value_typeEPSP_NS1_7vsmem_tEENKUlT_SN_SO_SP_E_clISG_PjSI_PS9_EESM_S12_SN_SO_SP_EUlS12_E1_NS1_11comp_targetILNS1_3genE5ELNS1_11target_archE942ELNS1_3gpuE9ELNS1_3repE0EEENS1_36merge_oddeven_config_static_selectorELNS0_4arch9wavefront6targetE0EEEvSO_ ; -- Begin function _ZN7rocprim17ROCPRIM_400000_NS6detail17trampoline_kernelINS0_14default_configENS1_38merge_sort_block_merge_config_selectorIjN6thrust23THRUST_200600_302600_NS5tupleIffNS6_9null_typeES8_S8_S8_S8_S8_S8_S8_EEEEZZNS1_27merge_sort_block_merge_implIS3_NS6_6detail15normal_iteratorINS6_10device_ptrIjEEEENSD_INSE_IS9_EEEEjNS1_19radix_merge_compareILb0ELb1EjNS0_19identity_decomposerEEEEE10hipError_tT0_T1_T2_jT3_P12ihipStream_tbPNSt15iterator_traitsISN_E10value_typeEPNST_ISO_E10value_typeEPSP_NS1_7vsmem_tEENKUlT_SN_SO_SP_E_clISG_PjSI_PS9_EESM_S12_SN_SO_SP_EUlS12_E1_NS1_11comp_targetILNS1_3genE5ELNS1_11target_archE942ELNS1_3gpuE9ELNS1_3repE0EEENS1_36merge_oddeven_config_static_selectorELNS0_4arch9wavefront6targetE0EEEvSO_
	.globl	_ZN7rocprim17ROCPRIM_400000_NS6detail17trampoline_kernelINS0_14default_configENS1_38merge_sort_block_merge_config_selectorIjN6thrust23THRUST_200600_302600_NS5tupleIffNS6_9null_typeES8_S8_S8_S8_S8_S8_S8_EEEEZZNS1_27merge_sort_block_merge_implIS3_NS6_6detail15normal_iteratorINS6_10device_ptrIjEEEENSD_INSE_IS9_EEEEjNS1_19radix_merge_compareILb0ELb1EjNS0_19identity_decomposerEEEEE10hipError_tT0_T1_T2_jT3_P12ihipStream_tbPNSt15iterator_traitsISN_E10value_typeEPNST_ISO_E10value_typeEPSP_NS1_7vsmem_tEENKUlT_SN_SO_SP_E_clISG_PjSI_PS9_EESM_S12_SN_SO_SP_EUlS12_E1_NS1_11comp_targetILNS1_3genE5ELNS1_11target_archE942ELNS1_3gpuE9ELNS1_3repE0EEENS1_36merge_oddeven_config_static_selectorELNS0_4arch9wavefront6targetE0EEEvSO_
	.p2align	8
	.type	_ZN7rocprim17ROCPRIM_400000_NS6detail17trampoline_kernelINS0_14default_configENS1_38merge_sort_block_merge_config_selectorIjN6thrust23THRUST_200600_302600_NS5tupleIffNS6_9null_typeES8_S8_S8_S8_S8_S8_S8_EEEEZZNS1_27merge_sort_block_merge_implIS3_NS6_6detail15normal_iteratorINS6_10device_ptrIjEEEENSD_INSE_IS9_EEEEjNS1_19radix_merge_compareILb0ELb1EjNS0_19identity_decomposerEEEEE10hipError_tT0_T1_T2_jT3_P12ihipStream_tbPNSt15iterator_traitsISN_E10value_typeEPNST_ISO_E10value_typeEPSP_NS1_7vsmem_tEENKUlT_SN_SO_SP_E_clISG_PjSI_PS9_EESM_S12_SN_SO_SP_EUlS12_E1_NS1_11comp_targetILNS1_3genE5ELNS1_11target_archE942ELNS1_3gpuE9ELNS1_3repE0EEENS1_36merge_oddeven_config_static_selectorELNS0_4arch9wavefront6targetE0EEEvSO_,@function
_ZN7rocprim17ROCPRIM_400000_NS6detail17trampoline_kernelINS0_14default_configENS1_38merge_sort_block_merge_config_selectorIjN6thrust23THRUST_200600_302600_NS5tupleIffNS6_9null_typeES8_S8_S8_S8_S8_S8_S8_EEEEZZNS1_27merge_sort_block_merge_implIS3_NS6_6detail15normal_iteratorINS6_10device_ptrIjEEEENSD_INSE_IS9_EEEEjNS1_19radix_merge_compareILb0ELb1EjNS0_19identity_decomposerEEEEE10hipError_tT0_T1_T2_jT3_P12ihipStream_tbPNSt15iterator_traitsISN_E10value_typeEPNST_ISO_E10value_typeEPSP_NS1_7vsmem_tEENKUlT_SN_SO_SP_E_clISG_PjSI_PS9_EESM_S12_SN_SO_SP_EUlS12_E1_NS1_11comp_targetILNS1_3genE5ELNS1_11target_archE942ELNS1_3gpuE9ELNS1_3repE0EEENS1_36merge_oddeven_config_static_selectorELNS0_4arch9wavefront6targetE0EEEvSO_: ; @_ZN7rocprim17ROCPRIM_400000_NS6detail17trampoline_kernelINS0_14default_configENS1_38merge_sort_block_merge_config_selectorIjN6thrust23THRUST_200600_302600_NS5tupleIffNS6_9null_typeES8_S8_S8_S8_S8_S8_S8_EEEEZZNS1_27merge_sort_block_merge_implIS3_NS6_6detail15normal_iteratorINS6_10device_ptrIjEEEENSD_INSE_IS9_EEEEjNS1_19radix_merge_compareILb0ELb1EjNS0_19identity_decomposerEEEEE10hipError_tT0_T1_T2_jT3_P12ihipStream_tbPNSt15iterator_traitsISN_E10value_typeEPNST_ISO_E10value_typeEPSP_NS1_7vsmem_tEENKUlT_SN_SO_SP_E_clISG_PjSI_PS9_EESM_S12_SN_SO_SP_EUlS12_E1_NS1_11comp_targetILNS1_3genE5ELNS1_11target_archE942ELNS1_3gpuE9ELNS1_3repE0EEENS1_36merge_oddeven_config_static_selectorELNS0_4arch9wavefront6targetE0EEEvSO_
; %bb.0:
	.section	.rodata,"a",@progbits
	.p2align	6, 0x0
	.amdhsa_kernel _ZN7rocprim17ROCPRIM_400000_NS6detail17trampoline_kernelINS0_14default_configENS1_38merge_sort_block_merge_config_selectorIjN6thrust23THRUST_200600_302600_NS5tupleIffNS6_9null_typeES8_S8_S8_S8_S8_S8_S8_EEEEZZNS1_27merge_sort_block_merge_implIS3_NS6_6detail15normal_iteratorINS6_10device_ptrIjEEEENSD_INSE_IS9_EEEEjNS1_19radix_merge_compareILb0ELb1EjNS0_19identity_decomposerEEEEE10hipError_tT0_T1_T2_jT3_P12ihipStream_tbPNSt15iterator_traitsISN_E10value_typeEPNST_ISO_E10value_typeEPSP_NS1_7vsmem_tEENKUlT_SN_SO_SP_E_clISG_PjSI_PS9_EESM_S12_SN_SO_SP_EUlS12_E1_NS1_11comp_targetILNS1_3genE5ELNS1_11target_archE942ELNS1_3gpuE9ELNS1_3repE0EEENS1_36merge_oddeven_config_static_selectorELNS0_4arch9wavefront6targetE0EEEvSO_
		.amdhsa_group_segment_fixed_size 0
		.amdhsa_private_segment_fixed_size 0
		.amdhsa_kernarg_size 48
		.amdhsa_user_sgpr_count 2
		.amdhsa_user_sgpr_dispatch_ptr 0
		.amdhsa_user_sgpr_queue_ptr 0
		.amdhsa_user_sgpr_kernarg_segment_ptr 1
		.amdhsa_user_sgpr_dispatch_id 0
		.amdhsa_user_sgpr_kernarg_preload_length 0
		.amdhsa_user_sgpr_kernarg_preload_offset 0
		.amdhsa_user_sgpr_private_segment_size 0
		.amdhsa_wavefront_size32 1
		.amdhsa_uses_dynamic_stack 0
		.amdhsa_enable_private_segment 0
		.amdhsa_system_sgpr_workgroup_id_x 1
		.amdhsa_system_sgpr_workgroup_id_y 0
		.amdhsa_system_sgpr_workgroup_id_z 0
		.amdhsa_system_sgpr_workgroup_info 0
		.amdhsa_system_vgpr_workitem_id 0
		.amdhsa_next_free_vgpr 1
		.amdhsa_next_free_sgpr 1
		.amdhsa_named_barrier_count 0
		.amdhsa_reserve_vcc 0
		.amdhsa_float_round_mode_32 0
		.amdhsa_float_round_mode_16_64 0
		.amdhsa_float_denorm_mode_32 3
		.amdhsa_float_denorm_mode_16_64 3
		.amdhsa_fp16_overflow 0
		.amdhsa_memory_ordered 1
		.amdhsa_forward_progress 1
		.amdhsa_inst_pref_size 0
		.amdhsa_round_robin_scheduling 0
		.amdhsa_exception_fp_ieee_invalid_op 0
		.amdhsa_exception_fp_denorm_src 0
		.amdhsa_exception_fp_ieee_div_zero 0
		.amdhsa_exception_fp_ieee_overflow 0
		.amdhsa_exception_fp_ieee_underflow 0
		.amdhsa_exception_fp_ieee_inexact 0
		.amdhsa_exception_int_div_zero 0
	.end_amdhsa_kernel
	.section	.text._ZN7rocprim17ROCPRIM_400000_NS6detail17trampoline_kernelINS0_14default_configENS1_38merge_sort_block_merge_config_selectorIjN6thrust23THRUST_200600_302600_NS5tupleIffNS6_9null_typeES8_S8_S8_S8_S8_S8_S8_EEEEZZNS1_27merge_sort_block_merge_implIS3_NS6_6detail15normal_iteratorINS6_10device_ptrIjEEEENSD_INSE_IS9_EEEEjNS1_19radix_merge_compareILb0ELb1EjNS0_19identity_decomposerEEEEE10hipError_tT0_T1_T2_jT3_P12ihipStream_tbPNSt15iterator_traitsISN_E10value_typeEPNST_ISO_E10value_typeEPSP_NS1_7vsmem_tEENKUlT_SN_SO_SP_E_clISG_PjSI_PS9_EESM_S12_SN_SO_SP_EUlS12_E1_NS1_11comp_targetILNS1_3genE5ELNS1_11target_archE942ELNS1_3gpuE9ELNS1_3repE0EEENS1_36merge_oddeven_config_static_selectorELNS0_4arch9wavefront6targetE0EEEvSO_,"axG",@progbits,_ZN7rocprim17ROCPRIM_400000_NS6detail17trampoline_kernelINS0_14default_configENS1_38merge_sort_block_merge_config_selectorIjN6thrust23THRUST_200600_302600_NS5tupleIffNS6_9null_typeES8_S8_S8_S8_S8_S8_S8_EEEEZZNS1_27merge_sort_block_merge_implIS3_NS6_6detail15normal_iteratorINS6_10device_ptrIjEEEENSD_INSE_IS9_EEEEjNS1_19radix_merge_compareILb0ELb1EjNS0_19identity_decomposerEEEEE10hipError_tT0_T1_T2_jT3_P12ihipStream_tbPNSt15iterator_traitsISN_E10value_typeEPNST_ISO_E10value_typeEPSP_NS1_7vsmem_tEENKUlT_SN_SO_SP_E_clISG_PjSI_PS9_EESM_S12_SN_SO_SP_EUlS12_E1_NS1_11comp_targetILNS1_3genE5ELNS1_11target_archE942ELNS1_3gpuE9ELNS1_3repE0EEENS1_36merge_oddeven_config_static_selectorELNS0_4arch9wavefront6targetE0EEEvSO_,comdat
.Lfunc_end133:
	.size	_ZN7rocprim17ROCPRIM_400000_NS6detail17trampoline_kernelINS0_14default_configENS1_38merge_sort_block_merge_config_selectorIjN6thrust23THRUST_200600_302600_NS5tupleIffNS6_9null_typeES8_S8_S8_S8_S8_S8_S8_EEEEZZNS1_27merge_sort_block_merge_implIS3_NS6_6detail15normal_iteratorINS6_10device_ptrIjEEEENSD_INSE_IS9_EEEEjNS1_19radix_merge_compareILb0ELb1EjNS0_19identity_decomposerEEEEE10hipError_tT0_T1_T2_jT3_P12ihipStream_tbPNSt15iterator_traitsISN_E10value_typeEPNST_ISO_E10value_typeEPSP_NS1_7vsmem_tEENKUlT_SN_SO_SP_E_clISG_PjSI_PS9_EESM_S12_SN_SO_SP_EUlS12_E1_NS1_11comp_targetILNS1_3genE5ELNS1_11target_archE942ELNS1_3gpuE9ELNS1_3repE0EEENS1_36merge_oddeven_config_static_selectorELNS0_4arch9wavefront6targetE0EEEvSO_, .Lfunc_end133-_ZN7rocprim17ROCPRIM_400000_NS6detail17trampoline_kernelINS0_14default_configENS1_38merge_sort_block_merge_config_selectorIjN6thrust23THRUST_200600_302600_NS5tupleIffNS6_9null_typeES8_S8_S8_S8_S8_S8_S8_EEEEZZNS1_27merge_sort_block_merge_implIS3_NS6_6detail15normal_iteratorINS6_10device_ptrIjEEEENSD_INSE_IS9_EEEEjNS1_19radix_merge_compareILb0ELb1EjNS0_19identity_decomposerEEEEE10hipError_tT0_T1_T2_jT3_P12ihipStream_tbPNSt15iterator_traitsISN_E10value_typeEPNST_ISO_E10value_typeEPSP_NS1_7vsmem_tEENKUlT_SN_SO_SP_E_clISG_PjSI_PS9_EESM_S12_SN_SO_SP_EUlS12_E1_NS1_11comp_targetILNS1_3genE5ELNS1_11target_archE942ELNS1_3gpuE9ELNS1_3repE0EEENS1_36merge_oddeven_config_static_selectorELNS0_4arch9wavefront6targetE0EEEvSO_
                                        ; -- End function
	.set _ZN7rocprim17ROCPRIM_400000_NS6detail17trampoline_kernelINS0_14default_configENS1_38merge_sort_block_merge_config_selectorIjN6thrust23THRUST_200600_302600_NS5tupleIffNS6_9null_typeES8_S8_S8_S8_S8_S8_S8_EEEEZZNS1_27merge_sort_block_merge_implIS3_NS6_6detail15normal_iteratorINS6_10device_ptrIjEEEENSD_INSE_IS9_EEEEjNS1_19radix_merge_compareILb0ELb1EjNS0_19identity_decomposerEEEEE10hipError_tT0_T1_T2_jT3_P12ihipStream_tbPNSt15iterator_traitsISN_E10value_typeEPNST_ISO_E10value_typeEPSP_NS1_7vsmem_tEENKUlT_SN_SO_SP_E_clISG_PjSI_PS9_EESM_S12_SN_SO_SP_EUlS12_E1_NS1_11comp_targetILNS1_3genE5ELNS1_11target_archE942ELNS1_3gpuE9ELNS1_3repE0EEENS1_36merge_oddeven_config_static_selectorELNS0_4arch9wavefront6targetE0EEEvSO_.num_vgpr, 0
	.set _ZN7rocprim17ROCPRIM_400000_NS6detail17trampoline_kernelINS0_14default_configENS1_38merge_sort_block_merge_config_selectorIjN6thrust23THRUST_200600_302600_NS5tupleIffNS6_9null_typeES8_S8_S8_S8_S8_S8_S8_EEEEZZNS1_27merge_sort_block_merge_implIS3_NS6_6detail15normal_iteratorINS6_10device_ptrIjEEEENSD_INSE_IS9_EEEEjNS1_19radix_merge_compareILb0ELb1EjNS0_19identity_decomposerEEEEE10hipError_tT0_T1_T2_jT3_P12ihipStream_tbPNSt15iterator_traitsISN_E10value_typeEPNST_ISO_E10value_typeEPSP_NS1_7vsmem_tEENKUlT_SN_SO_SP_E_clISG_PjSI_PS9_EESM_S12_SN_SO_SP_EUlS12_E1_NS1_11comp_targetILNS1_3genE5ELNS1_11target_archE942ELNS1_3gpuE9ELNS1_3repE0EEENS1_36merge_oddeven_config_static_selectorELNS0_4arch9wavefront6targetE0EEEvSO_.num_agpr, 0
	.set _ZN7rocprim17ROCPRIM_400000_NS6detail17trampoline_kernelINS0_14default_configENS1_38merge_sort_block_merge_config_selectorIjN6thrust23THRUST_200600_302600_NS5tupleIffNS6_9null_typeES8_S8_S8_S8_S8_S8_S8_EEEEZZNS1_27merge_sort_block_merge_implIS3_NS6_6detail15normal_iteratorINS6_10device_ptrIjEEEENSD_INSE_IS9_EEEEjNS1_19radix_merge_compareILb0ELb1EjNS0_19identity_decomposerEEEEE10hipError_tT0_T1_T2_jT3_P12ihipStream_tbPNSt15iterator_traitsISN_E10value_typeEPNST_ISO_E10value_typeEPSP_NS1_7vsmem_tEENKUlT_SN_SO_SP_E_clISG_PjSI_PS9_EESM_S12_SN_SO_SP_EUlS12_E1_NS1_11comp_targetILNS1_3genE5ELNS1_11target_archE942ELNS1_3gpuE9ELNS1_3repE0EEENS1_36merge_oddeven_config_static_selectorELNS0_4arch9wavefront6targetE0EEEvSO_.numbered_sgpr, 0
	.set _ZN7rocprim17ROCPRIM_400000_NS6detail17trampoline_kernelINS0_14default_configENS1_38merge_sort_block_merge_config_selectorIjN6thrust23THRUST_200600_302600_NS5tupleIffNS6_9null_typeES8_S8_S8_S8_S8_S8_S8_EEEEZZNS1_27merge_sort_block_merge_implIS3_NS6_6detail15normal_iteratorINS6_10device_ptrIjEEEENSD_INSE_IS9_EEEEjNS1_19radix_merge_compareILb0ELb1EjNS0_19identity_decomposerEEEEE10hipError_tT0_T1_T2_jT3_P12ihipStream_tbPNSt15iterator_traitsISN_E10value_typeEPNST_ISO_E10value_typeEPSP_NS1_7vsmem_tEENKUlT_SN_SO_SP_E_clISG_PjSI_PS9_EESM_S12_SN_SO_SP_EUlS12_E1_NS1_11comp_targetILNS1_3genE5ELNS1_11target_archE942ELNS1_3gpuE9ELNS1_3repE0EEENS1_36merge_oddeven_config_static_selectorELNS0_4arch9wavefront6targetE0EEEvSO_.num_named_barrier, 0
	.set _ZN7rocprim17ROCPRIM_400000_NS6detail17trampoline_kernelINS0_14default_configENS1_38merge_sort_block_merge_config_selectorIjN6thrust23THRUST_200600_302600_NS5tupleIffNS6_9null_typeES8_S8_S8_S8_S8_S8_S8_EEEEZZNS1_27merge_sort_block_merge_implIS3_NS6_6detail15normal_iteratorINS6_10device_ptrIjEEEENSD_INSE_IS9_EEEEjNS1_19radix_merge_compareILb0ELb1EjNS0_19identity_decomposerEEEEE10hipError_tT0_T1_T2_jT3_P12ihipStream_tbPNSt15iterator_traitsISN_E10value_typeEPNST_ISO_E10value_typeEPSP_NS1_7vsmem_tEENKUlT_SN_SO_SP_E_clISG_PjSI_PS9_EESM_S12_SN_SO_SP_EUlS12_E1_NS1_11comp_targetILNS1_3genE5ELNS1_11target_archE942ELNS1_3gpuE9ELNS1_3repE0EEENS1_36merge_oddeven_config_static_selectorELNS0_4arch9wavefront6targetE0EEEvSO_.private_seg_size, 0
	.set _ZN7rocprim17ROCPRIM_400000_NS6detail17trampoline_kernelINS0_14default_configENS1_38merge_sort_block_merge_config_selectorIjN6thrust23THRUST_200600_302600_NS5tupleIffNS6_9null_typeES8_S8_S8_S8_S8_S8_S8_EEEEZZNS1_27merge_sort_block_merge_implIS3_NS6_6detail15normal_iteratorINS6_10device_ptrIjEEEENSD_INSE_IS9_EEEEjNS1_19radix_merge_compareILb0ELb1EjNS0_19identity_decomposerEEEEE10hipError_tT0_T1_T2_jT3_P12ihipStream_tbPNSt15iterator_traitsISN_E10value_typeEPNST_ISO_E10value_typeEPSP_NS1_7vsmem_tEENKUlT_SN_SO_SP_E_clISG_PjSI_PS9_EESM_S12_SN_SO_SP_EUlS12_E1_NS1_11comp_targetILNS1_3genE5ELNS1_11target_archE942ELNS1_3gpuE9ELNS1_3repE0EEENS1_36merge_oddeven_config_static_selectorELNS0_4arch9wavefront6targetE0EEEvSO_.uses_vcc, 0
	.set _ZN7rocprim17ROCPRIM_400000_NS6detail17trampoline_kernelINS0_14default_configENS1_38merge_sort_block_merge_config_selectorIjN6thrust23THRUST_200600_302600_NS5tupleIffNS6_9null_typeES8_S8_S8_S8_S8_S8_S8_EEEEZZNS1_27merge_sort_block_merge_implIS3_NS6_6detail15normal_iteratorINS6_10device_ptrIjEEEENSD_INSE_IS9_EEEEjNS1_19radix_merge_compareILb0ELb1EjNS0_19identity_decomposerEEEEE10hipError_tT0_T1_T2_jT3_P12ihipStream_tbPNSt15iterator_traitsISN_E10value_typeEPNST_ISO_E10value_typeEPSP_NS1_7vsmem_tEENKUlT_SN_SO_SP_E_clISG_PjSI_PS9_EESM_S12_SN_SO_SP_EUlS12_E1_NS1_11comp_targetILNS1_3genE5ELNS1_11target_archE942ELNS1_3gpuE9ELNS1_3repE0EEENS1_36merge_oddeven_config_static_selectorELNS0_4arch9wavefront6targetE0EEEvSO_.uses_flat_scratch, 0
	.set _ZN7rocprim17ROCPRIM_400000_NS6detail17trampoline_kernelINS0_14default_configENS1_38merge_sort_block_merge_config_selectorIjN6thrust23THRUST_200600_302600_NS5tupleIffNS6_9null_typeES8_S8_S8_S8_S8_S8_S8_EEEEZZNS1_27merge_sort_block_merge_implIS3_NS6_6detail15normal_iteratorINS6_10device_ptrIjEEEENSD_INSE_IS9_EEEEjNS1_19radix_merge_compareILb0ELb1EjNS0_19identity_decomposerEEEEE10hipError_tT0_T1_T2_jT3_P12ihipStream_tbPNSt15iterator_traitsISN_E10value_typeEPNST_ISO_E10value_typeEPSP_NS1_7vsmem_tEENKUlT_SN_SO_SP_E_clISG_PjSI_PS9_EESM_S12_SN_SO_SP_EUlS12_E1_NS1_11comp_targetILNS1_3genE5ELNS1_11target_archE942ELNS1_3gpuE9ELNS1_3repE0EEENS1_36merge_oddeven_config_static_selectorELNS0_4arch9wavefront6targetE0EEEvSO_.has_dyn_sized_stack, 0
	.set _ZN7rocprim17ROCPRIM_400000_NS6detail17trampoline_kernelINS0_14default_configENS1_38merge_sort_block_merge_config_selectorIjN6thrust23THRUST_200600_302600_NS5tupleIffNS6_9null_typeES8_S8_S8_S8_S8_S8_S8_EEEEZZNS1_27merge_sort_block_merge_implIS3_NS6_6detail15normal_iteratorINS6_10device_ptrIjEEEENSD_INSE_IS9_EEEEjNS1_19radix_merge_compareILb0ELb1EjNS0_19identity_decomposerEEEEE10hipError_tT0_T1_T2_jT3_P12ihipStream_tbPNSt15iterator_traitsISN_E10value_typeEPNST_ISO_E10value_typeEPSP_NS1_7vsmem_tEENKUlT_SN_SO_SP_E_clISG_PjSI_PS9_EESM_S12_SN_SO_SP_EUlS12_E1_NS1_11comp_targetILNS1_3genE5ELNS1_11target_archE942ELNS1_3gpuE9ELNS1_3repE0EEENS1_36merge_oddeven_config_static_selectorELNS0_4arch9wavefront6targetE0EEEvSO_.has_recursion, 0
	.set _ZN7rocprim17ROCPRIM_400000_NS6detail17trampoline_kernelINS0_14default_configENS1_38merge_sort_block_merge_config_selectorIjN6thrust23THRUST_200600_302600_NS5tupleIffNS6_9null_typeES8_S8_S8_S8_S8_S8_S8_EEEEZZNS1_27merge_sort_block_merge_implIS3_NS6_6detail15normal_iteratorINS6_10device_ptrIjEEEENSD_INSE_IS9_EEEEjNS1_19radix_merge_compareILb0ELb1EjNS0_19identity_decomposerEEEEE10hipError_tT0_T1_T2_jT3_P12ihipStream_tbPNSt15iterator_traitsISN_E10value_typeEPNST_ISO_E10value_typeEPSP_NS1_7vsmem_tEENKUlT_SN_SO_SP_E_clISG_PjSI_PS9_EESM_S12_SN_SO_SP_EUlS12_E1_NS1_11comp_targetILNS1_3genE5ELNS1_11target_archE942ELNS1_3gpuE9ELNS1_3repE0EEENS1_36merge_oddeven_config_static_selectorELNS0_4arch9wavefront6targetE0EEEvSO_.has_indirect_call, 0
	.section	.AMDGPU.csdata,"",@progbits
; Kernel info:
; codeLenInByte = 0
; TotalNumSgprs: 0
; NumVgprs: 0
; ScratchSize: 0
; MemoryBound: 0
; FloatMode: 240
; IeeeMode: 1
; LDSByteSize: 0 bytes/workgroup (compile time only)
; SGPRBlocks: 0
; VGPRBlocks: 0
; NumSGPRsForWavesPerEU: 1
; NumVGPRsForWavesPerEU: 1
; NamedBarCnt: 0
; Occupancy: 16
; WaveLimiterHint : 0
; COMPUTE_PGM_RSRC2:SCRATCH_EN: 0
; COMPUTE_PGM_RSRC2:USER_SGPR: 2
; COMPUTE_PGM_RSRC2:TRAP_HANDLER: 0
; COMPUTE_PGM_RSRC2:TGID_X_EN: 1
; COMPUTE_PGM_RSRC2:TGID_Y_EN: 0
; COMPUTE_PGM_RSRC2:TGID_Z_EN: 0
; COMPUTE_PGM_RSRC2:TIDIG_COMP_CNT: 0
	.section	.text._ZN7rocprim17ROCPRIM_400000_NS6detail17trampoline_kernelINS0_14default_configENS1_38merge_sort_block_merge_config_selectorIjN6thrust23THRUST_200600_302600_NS5tupleIffNS6_9null_typeES8_S8_S8_S8_S8_S8_S8_EEEEZZNS1_27merge_sort_block_merge_implIS3_NS6_6detail15normal_iteratorINS6_10device_ptrIjEEEENSD_INSE_IS9_EEEEjNS1_19radix_merge_compareILb0ELb1EjNS0_19identity_decomposerEEEEE10hipError_tT0_T1_T2_jT3_P12ihipStream_tbPNSt15iterator_traitsISN_E10value_typeEPNST_ISO_E10value_typeEPSP_NS1_7vsmem_tEENKUlT_SN_SO_SP_E_clISG_PjSI_PS9_EESM_S12_SN_SO_SP_EUlS12_E1_NS1_11comp_targetILNS1_3genE4ELNS1_11target_archE910ELNS1_3gpuE8ELNS1_3repE0EEENS1_36merge_oddeven_config_static_selectorELNS0_4arch9wavefront6targetE0EEEvSO_,"axG",@progbits,_ZN7rocprim17ROCPRIM_400000_NS6detail17trampoline_kernelINS0_14default_configENS1_38merge_sort_block_merge_config_selectorIjN6thrust23THRUST_200600_302600_NS5tupleIffNS6_9null_typeES8_S8_S8_S8_S8_S8_S8_EEEEZZNS1_27merge_sort_block_merge_implIS3_NS6_6detail15normal_iteratorINS6_10device_ptrIjEEEENSD_INSE_IS9_EEEEjNS1_19radix_merge_compareILb0ELb1EjNS0_19identity_decomposerEEEEE10hipError_tT0_T1_T2_jT3_P12ihipStream_tbPNSt15iterator_traitsISN_E10value_typeEPNST_ISO_E10value_typeEPSP_NS1_7vsmem_tEENKUlT_SN_SO_SP_E_clISG_PjSI_PS9_EESM_S12_SN_SO_SP_EUlS12_E1_NS1_11comp_targetILNS1_3genE4ELNS1_11target_archE910ELNS1_3gpuE8ELNS1_3repE0EEENS1_36merge_oddeven_config_static_selectorELNS0_4arch9wavefront6targetE0EEEvSO_,comdat
	.protected	_ZN7rocprim17ROCPRIM_400000_NS6detail17trampoline_kernelINS0_14default_configENS1_38merge_sort_block_merge_config_selectorIjN6thrust23THRUST_200600_302600_NS5tupleIffNS6_9null_typeES8_S8_S8_S8_S8_S8_S8_EEEEZZNS1_27merge_sort_block_merge_implIS3_NS6_6detail15normal_iteratorINS6_10device_ptrIjEEEENSD_INSE_IS9_EEEEjNS1_19radix_merge_compareILb0ELb1EjNS0_19identity_decomposerEEEEE10hipError_tT0_T1_T2_jT3_P12ihipStream_tbPNSt15iterator_traitsISN_E10value_typeEPNST_ISO_E10value_typeEPSP_NS1_7vsmem_tEENKUlT_SN_SO_SP_E_clISG_PjSI_PS9_EESM_S12_SN_SO_SP_EUlS12_E1_NS1_11comp_targetILNS1_3genE4ELNS1_11target_archE910ELNS1_3gpuE8ELNS1_3repE0EEENS1_36merge_oddeven_config_static_selectorELNS0_4arch9wavefront6targetE0EEEvSO_ ; -- Begin function _ZN7rocprim17ROCPRIM_400000_NS6detail17trampoline_kernelINS0_14default_configENS1_38merge_sort_block_merge_config_selectorIjN6thrust23THRUST_200600_302600_NS5tupleIffNS6_9null_typeES8_S8_S8_S8_S8_S8_S8_EEEEZZNS1_27merge_sort_block_merge_implIS3_NS6_6detail15normal_iteratorINS6_10device_ptrIjEEEENSD_INSE_IS9_EEEEjNS1_19radix_merge_compareILb0ELb1EjNS0_19identity_decomposerEEEEE10hipError_tT0_T1_T2_jT3_P12ihipStream_tbPNSt15iterator_traitsISN_E10value_typeEPNST_ISO_E10value_typeEPSP_NS1_7vsmem_tEENKUlT_SN_SO_SP_E_clISG_PjSI_PS9_EESM_S12_SN_SO_SP_EUlS12_E1_NS1_11comp_targetILNS1_3genE4ELNS1_11target_archE910ELNS1_3gpuE8ELNS1_3repE0EEENS1_36merge_oddeven_config_static_selectorELNS0_4arch9wavefront6targetE0EEEvSO_
	.globl	_ZN7rocprim17ROCPRIM_400000_NS6detail17trampoline_kernelINS0_14default_configENS1_38merge_sort_block_merge_config_selectorIjN6thrust23THRUST_200600_302600_NS5tupleIffNS6_9null_typeES8_S8_S8_S8_S8_S8_S8_EEEEZZNS1_27merge_sort_block_merge_implIS3_NS6_6detail15normal_iteratorINS6_10device_ptrIjEEEENSD_INSE_IS9_EEEEjNS1_19radix_merge_compareILb0ELb1EjNS0_19identity_decomposerEEEEE10hipError_tT0_T1_T2_jT3_P12ihipStream_tbPNSt15iterator_traitsISN_E10value_typeEPNST_ISO_E10value_typeEPSP_NS1_7vsmem_tEENKUlT_SN_SO_SP_E_clISG_PjSI_PS9_EESM_S12_SN_SO_SP_EUlS12_E1_NS1_11comp_targetILNS1_3genE4ELNS1_11target_archE910ELNS1_3gpuE8ELNS1_3repE0EEENS1_36merge_oddeven_config_static_selectorELNS0_4arch9wavefront6targetE0EEEvSO_
	.p2align	8
	.type	_ZN7rocprim17ROCPRIM_400000_NS6detail17trampoline_kernelINS0_14default_configENS1_38merge_sort_block_merge_config_selectorIjN6thrust23THRUST_200600_302600_NS5tupleIffNS6_9null_typeES8_S8_S8_S8_S8_S8_S8_EEEEZZNS1_27merge_sort_block_merge_implIS3_NS6_6detail15normal_iteratorINS6_10device_ptrIjEEEENSD_INSE_IS9_EEEEjNS1_19radix_merge_compareILb0ELb1EjNS0_19identity_decomposerEEEEE10hipError_tT0_T1_T2_jT3_P12ihipStream_tbPNSt15iterator_traitsISN_E10value_typeEPNST_ISO_E10value_typeEPSP_NS1_7vsmem_tEENKUlT_SN_SO_SP_E_clISG_PjSI_PS9_EESM_S12_SN_SO_SP_EUlS12_E1_NS1_11comp_targetILNS1_3genE4ELNS1_11target_archE910ELNS1_3gpuE8ELNS1_3repE0EEENS1_36merge_oddeven_config_static_selectorELNS0_4arch9wavefront6targetE0EEEvSO_,@function
_ZN7rocprim17ROCPRIM_400000_NS6detail17trampoline_kernelINS0_14default_configENS1_38merge_sort_block_merge_config_selectorIjN6thrust23THRUST_200600_302600_NS5tupleIffNS6_9null_typeES8_S8_S8_S8_S8_S8_S8_EEEEZZNS1_27merge_sort_block_merge_implIS3_NS6_6detail15normal_iteratorINS6_10device_ptrIjEEEENSD_INSE_IS9_EEEEjNS1_19radix_merge_compareILb0ELb1EjNS0_19identity_decomposerEEEEE10hipError_tT0_T1_T2_jT3_P12ihipStream_tbPNSt15iterator_traitsISN_E10value_typeEPNST_ISO_E10value_typeEPSP_NS1_7vsmem_tEENKUlT_SN_SO_SP_E_clISG_PjSI_PS9_EESM_S12_SN_SO_SP_EUlS12_E1_NS1_11comp_targetILNS1_3genE4ELNS1_11target_archE910ELNS1_3gpuE8ELNS1_3repE0EEENS1_36merge_oddeven_config_static_selectorELNS0_4arch9wavefront6targetE0EEEvSO_: ; @_ZN7rocprim17ROCPRIM_400000_NS6detail17trampoline_kernelINS0_14default_configENS1_38merge_sort_block_merge_config_selectorIjN6thrust23THRUST_200600_302600_NS5tupleIffNS6_9null_typeES8_S8_S8_S8_S8_S8_S8_EEEEZZNS1_27merge_sort_block_merge_implIS3_NS6_6detail15normal_iteratorINS6_10device_ptrIjEEEENSD_INSE_IS9_EEEEjNS1_19radix_merge_compareILb0ELb1EjNS0_19identity_decomposerEEEEE10hipError_tT0_T1_T2_jT3_P12ihipStream_tbPNSt15iterator_traitsISN_E10value_typeEPNST_ISO_E10value_typeEPSP_NS1_7vsmem_tEENKUlT_SN_SO_SP_E_clISG_PjSI_PS9_EESM_S12_SN_SO_SP_EUlS12_E1_NS1_11comp_targetILNS1_3genE4ELNS1_11target_archE910ELNS1_3gpuE8ELNS1_3repE0EEENS1_36merge_oddeven_config_static_selectorELNS0_4arch9wavefront6targetE0EEEvSO_
; %bb.0:
	.section	.rodata,"a",@progbits
	.p2align	6, 0x0
	.amdhsa_kernel _ZN7rocprim17ROCPRIM_400000_NS6detail17trampoline_kernelINS0_14default_configENS1_38merge_sort_block_merge_config_selectorIjN6thrust23THRUST_200600_302600_NS5tupleIffNS6_9null_typeES8_S8_S8_S8_S8_S8_S8_EEEEZZNS1_27merge_sort_block_merge_implIS3_NS6_6detail15normal_iteratorINS6_10device_ptrIjEEEENSD_INSE_IS9_EEEEjNS1_19radix_merge_compareILb0ELb1EjNS0_19identity_decomposerEEEEE10hipError_tT0_T1_T2_jT3_P12ihipStream_tbPNSt15iterator_traitsISN_E10value_typeEPNST_ISO_E10value_typeEPSP_NS1_7vsmem_tEENKUlT_SN_SO_SP_E_clISG_PjSI_PS9_EESM_S12_SN_SO_SP_EUlS12_E1_NS1_11comp_targetILNS1_3genE4ELNS1_11target_archE910ELNS1_3gpuE8ELNS1_3repE0EEENS1_36merge_oddeven_config_static_selectorELNS0_4arch9wavefront6targetE0EEEvSO_
		.amdhsa_group_segment_fixed_size 0
		.amdhsa_private_segment_fixed_size 0
		.amdhsa_kernarg_size 48
		.amdhsa_user_sgpr_count 2
		.amdhsa_user_sgpr_dispatch_ptr 0
		.amdhsa_user_sgpr_queue_ptr 0
		.amdhsa_user_sgpr_kernarg_segment_ptr 1
		.amdhsa_user_sgpr_dispatch_id 0
		.amdhsa_user_sgpr_kernarg_preload_length 0
		.amdhsa_user_sgpr_kernarg_preload_offset 0
		.amdhsa_user_sgpr_private_segment_size 0
		.amdhsa_wavefront_size32 1
		.amdhsa_uses_dynamic_stack 0
		.amdhsa_enable_private_segment 0
		.amdhsa_system_sgpr_workgroup_id_x 1
		.amdhsa_system_sgpr_workgroup_id_y 0
		.amdhsa_system_sgpr_workgroup_id_z 0
		.amdhsa_system_sgpr_workgroup_info 0
		.amdhsa_system_vgpr_workitem_id 0
		.amdhsa_next_free_vgpr 1
		.amdhsa_next_free_sgpr 1
		.amdhsa_named_barrier_count 0
		.amdhsa_reserve_vcc 0
		.amdhsa_float_round_mode_32 0
		.amdhsa_float_round_mode_16_64 0
		.amdhsa_float_denorm_mode_32 3
		.amdhsa_float_denorm_mode_16_64 3
		.amdhsa_fp16_overflow 0
		.amdhsa_memory_ordered 1
		.amdhsa_forward_progress 1
		.amdhsa_inst_pref_size 0
		.amdhsa_round_robin_scheduling 0
		.amdhsa_exception_fp_ieee_invalid_op 0
		.amdhsa_exception_fp_denorm_src 0
		.amdhsa_exception_fp_ieee_div_zero 0
		.amdhsa_exception_fp_ieee_overflow 0
		.amdhsa_exception_fp_ieee_underflow 0
		.amdhsa_exception_fp_ieee_inexact 0
		.amdhsa_exception_int_div_zero 0
	.end_amdhsa_kernel
	.section	.text._ZN7rocprim17ROCPRIM_400000_NS6detail17trampoline_kernelINS0_14default_configENS1_38merge_sort_block_merge_config_selectorIjN6thrust23THRUST_200600_302600_NS5tupleIffNS6_9null_typeES8_S8_S8_S8_S8_S8_S8_EEEEZZNS1_27merge_sort_block_merge_implIS3_NS6_6detail15normal_iteratorINS6_10device_ptrIjEEEENSD_INSE_IS9_EEEEjNS1_19radix_merge_compareILb0ELb1EjNS0_19identity_decomposerEEEEE10hipError_tT0_T1_T2_jT3_P12ihipStream_tbPNSt15iterator_traitsISN_E10value_typeEPNST_ISO_E10value_typeEPSP_NS1_7vsmem_tEENKUlT_SN_SO_SP_E_clISG_PjSI_PS9_EESM_S12_SN_SO_SP_EUlS12_E1_NS1_11comp_targetILNS1_3genE4ELNS1_11target_archE910ELNS1_3gpuE8ELNS1_3repE0EEENS1_36merge_oddeven_config_static_selectorELNS0_4arch9wavefront6targetE0EEEvSO_,"axG",@progbits,_ZN7rocprim17ROCPRIM_400000_NS6detail17trampoline_kernelINS0_14default_configENS1_38merge_sort_block_merge_config_selectorIjN6thrust23THRUST_200600_302600_NS5tupleIffNS6_9null_typeES8_S8_S8_S8_S8_S8_S8_EEEEZZNS1_27merge_sort_block_merge_implIS3_NS6_6detail15normal_iteratorINS6_10device_ptrIjEEEENSD_INSE_IS9_EEEEjNS1_19radix_merge_compareILb0ELb1EjNS0_19identity_decomposerEEEEE10hipError_tT0_T1_T2_jT3_P12ihipStream_tbPNSt15iterator_traitsISN_E10value_typeEPNST_ISO_E10value_typeEPSP_NS1_7vsmem_tEENKUlT_SN_SO_SP_E_clISG_PjSI_PS9_EESM_S12_SN_SO_SP_EUlS12_E1_NS1_11comp_targetILNS1_3genE4ELNS1_11target_archE910ELNS1_3gpuE8ELNS1_3repE0EEENS1_36merge_oddeven_config_static_selectorELNS0_4arch9wavefront6targetE0EEEvSO_,comdat
.Lfunc_end134:
	.size	_ZN7rocprim17ROCPRIM_400000_NS6detail17trampoline_kernelINS0_14default_configENS1_38merge_sort_block_merge_config_selectorIjN6thrust23THRUST_200600_302600_NS5tupleIffNS6_9null_typeES8_S8_S8_S8_S8_S8_S8_EEEEZZNS1_27merge_sort_block_merge_implIS3_NS6_6detail15normal_iteratorINS6_10device_ptrIjEEEENSD_INSE_IS9_EEEEjNS1_19radix_merge_compareILb0ELb1EjNS0_19identity_decomposerEEEEE10hipError_tT0_T1_T2_jT3_P12ihipStream_tbPNSt15iterator_traitsISN_E10value_typeEPNST_ISO_E10value_typeEPSP_NS1_7vsmem_tEENKUlT_SN_SO_SP_E_clISG_PjSI_PS9_EESM_S12_SN_SO_SP_EUlS12_E1_NS1_11comp_targetILNS1_3genE4ELNS1_11target_archE910ELNS1_3gpuE8ELNS1_3repE0EEENS1_36merge_oddeven_config_static_selectorELNS0_4arch9wavefront6targetE0EEEvSO_, .Lfunc_end134-_ZN7rocprim17ROCPRIM_400000_NS6detail17trampoline_kernelINS0_14default_configENS1_38merge_sort_block_merge_config_selectorIjN6thrust23THRUST_200600_302600_NS5tupleIffNS6_9null_typeES8_S8_S8_S8_S8_S8_S8_EEEEZZNS1_27merge_sort_block_merge_implIS3_NS6_6detail15normal_iteratorINS6_10device_ptrIjEEEENSD_INSE_IS9_EEEEjNS1_19radix_merge_compareILb0ELb1EjNS0_19identity_decomposerEEEEE10hipError_tT0_T1_T2_jT3_P12ihipStream_tbPNSt15iterator_traitsISN_E10value_typeEPNST_ISO_E10value_typeEPSP_NS1_7vsmem_tEENKUlT_SN_SO_SP_E_clISG_PjSI_PS9_EESM_S12_SN_SO_SP_EUlS12_E1_NS1_11comp_targetILNS1_3genE4ELNS1_11target_archE910ELNS1_3gpuE8ELNS1_3repE0EEENS1_36merge_oddeven_config_static_selectorELNS0_4arch9wavefront6targetE0EEEvSO_
                                        ; -- End function
	.set _ZN7rocprim17ROCPRIM_400000_NS6detail17trampoline_kernelINS0_14default_configENS1_38merge_sort_block_merge_config_selectorIjN6thrust23THRUST_200600_302600_NS5tupleIffNS6_9null_typeES8_S8_S8_S8_S8_S8_S8_EEEEZZNS1_27merge_sort_block_merge_implIS3_NS6_6detail15normal_iteratorINS6_10device_ptrIjEEEENSD_INSE_IS9_EEEEjNS1_19radix_merge_compareILb0ELb1EjNS0_19identity_decomposerEEEEE10hipError_tT0_T1_T2_jT3_P12ihipStream_tbPNSt15iterator_traitsISN_E10value_typeEPNST_ISO_E10value_typeEPSP_NS1_7vsmem_tEENKUlT_SN_SO_SP_E_clISG_PjSI_PS9_EESM_S12_SN_SO_SP_EUlS12_E1_NS1_11comp_targetILNS1_3genE4ELNS1_11target_archE910ELNS1_3gpuE8ELNS1_3repE0EEENS1_36merge_oddeven_config_static_selectorELNS0_4arch9wavefront6targetE0EEEvSO_.num_vgpr, 0
	.set _ZN7rocprim17ROCPRIM_400000_NS6detail17trampoline_kernelINS0_14default_configENS1_38merge_sort_block_merge_config_selectorIjN6thrust23THRUST_200600_302600_NS5tupleIffNS6_9null_typeES8_S8_S8_S8_S8_S8_S8_EEEEZZNS1_27merge_sort_block_merge_implIS3_NS6_6detail15normal_iteratorINS6_10device_ptrIjEEEENSD_INSE_IS9_EEEEjNS1_19radix_merge_compareILb0ELb1EjNS0_19identity_decomposerEEEEE10hipError_tT0_T1_T2_jT3_P12ihipStream_tbPNSt15iterator_traitsISN_E10value_typeEPNST_ISO_E10value_typeEPSP_NS1_7vsmem_tEENKUlT_SN_SO_SP_E_clISG_PjSI_PS9_EESM_S12_SN_SO_SP_EUlS12_E1_NS1_11comp_targetILNS1_3genE4ELNS1_11target_archE910ELNS1_3gpuE8ELNS1_3repE0EEENS1_36merge_oddeven_config_static_selectorELNS0_4arch9wavefront6targetE0EEEvSO_.num_agpr, 0
	.set _ZN7rocprim17ROCPRIM_400000_NS6detail17trampoline_kernelINS0_14default_configENS1_38merge_sort_block_merge_config_selectorIjN6thrust23THRUST_200600_302600_NS5tupleIffNS6_9null_typeES8_S8_S8_S8_S8_S8_S8_EEEEZZNS1_27merge_sort_block_merge_implIS3_NS6_6detail15normal_iteratorINS6_10device_ptrIjEEEENSD_INSE_IS9_EEEEjNS1_19radix_merge_compareILb0ELb1EjNS0_19identity_decomposerEEEEE10hipError_tT0_T1_T2_jT3_P12ihipStream_tbPNSt15iterator_traitsISN_E10value_typeEPNST_ISO_E10value_typeEPSP_NS1_7vsmem_tEENKUlT_SN_SO_SP_E_clISG_PjSI_PS9_EESM_S12_SN_SO_SP_EUlS12_E1_NS1_11comp_targetILNS1_3genE4ELNS1_11target_archE910ELNS1_3gpuE8ELNS1_3repE0EEENS1_36merge_oddeven_config_static_selectorELNS0_4arch9wavefront6targetE0EEEvSO_.numbered_sgpr, 0
	.set _ZN7rocprim17ROCPRIM_400000_NS6detail17trampoline_kernelINS0_14default_configENS1_38merge_sort_block_merge_config_selectorIjN6thrust23THRUST_200600_302600_NS5tupleIffNS6_9null_typeES8_S8_S8_S8_S8_S8_S8_EEEEZZNS1_27merge_sort_block_merge_implIS3_NS6_6detail15normal_iteratorINS6_10device_ptrIjEEEENSD_INSE_IS9_EEEEjNS1_19radix_merge_compareILb0ELb1EjNS0_19identity_decomposerEEEEE10hipError_tT0_T1_T2_jT3_P12ihipStream_tbPNSt15iterator_traitsISN_E10value_typeEPNST_ISO_E10value_typeEPSP_NS1_7vsmem_tEENKUlT_SN_SO_SP_E_clISG_PjSI_PS9_EESM_S12_SN_SO_SP_EUlS12_E1_NS1_11comp_targetILNS1_3genE4ELNS1_11target_archE910ELNS1_3gpuE8ELNS1_3repE0EEENS1_36merge_oddeven_config_static_selectorELNS0_4arch9wavefront6targetE0EEEvSO_.num_named_barrier, 0
	.set _ZN7rocprim17ROCPRIM_400000_NS6detail17trampoline_kernelINS0_14default_configENS1_38merge_sort_block_merge_config_selectorIjN6thrust23THRUST_200600_302600_NS5tupleIffNS6_9null_typeES8_S8_S8_S8_S8_S8_S8_EEEEZZNS1_27merge_sort_block_merge_implIS3_NS6_6detail15normal_iteratorINS6_10device_ptrIjEEEENSD_INSE_IS9_EEEEjNS1_19radix_merge_compareILb0ELb1EjNS0_19identity_decomposerEEEEE10hipError_tT0_T1_T2_jT3_P12ihipStream_tbPNSt15iterator_traitsISN_E10value_typeEPNST_ISO_E10value_typeEPSP_NS1_7vsmem_tEENKUlT_SN_SO_SP_E_clISG_PjSI_PS9_EESM_S12_SN_SO_SP_EUlS12_E1_NS1_11comp_targetILNS1_3genE4ELNS1_11target_archE910ELNS1_3gpuE8ELNS1_3repE0EEENS1_36merge_oddeven_config_static_selectorELNS0_4arch9wavefront6targetE0EEEvSO_.private_seg_size, 0
	.set _ZN7rocprim17ROCPRIM_400000_NS6detail17trampoline_kernelINS0_14default_configENS1_38merge_sort_block_merge_config_selectorIjN6thrust23THRUST_200600_302600_NS5tupleIffNS6_9null_typeES8_S8_S8_S8_S8_S8_S8_EEEEZZNS1_27merge_sort_block_merge_implIS3_NS6_6detail15normal_iteratorINS6_10device_ptrIjEEEENSD_INSE_IS9_EEEEjNS1_19radix_merge_compareILb0ELb1EjNS0_19identity_decomposerEEEEE10hipError_tT0_T1_T2_jT3_P12ihipStream_tbPNSt15iterator_traitsISN_E10value_typeEPNST_ISO_E10value_typeEPSP_NS1_7vsmem_tEENKUlT_SN_SO_SP_E_clISG_PjSI_PS9_EESM_S12_SN_SO_SP_EUlS12_E1_NS1_11comp_targetILNS1_3genE4ELNS1_11target_archE910ELNS1_3gpuE8ELNS1_3repE0EEENS1_36merge_oddeven_config_static_selectorELNS0_4arch9wavefront6targetE0EEEvSO_.uses_vcc, 0
	.set _ZN7rocprim17ROCPRIM_400000_NS6detail17trampoline_kernelINS0_14default_configENS1_38merge_sort_block_merge_config_selectorIjN6thrust23THRUST_200600_302600_NS5tupleIffNS6_9null_typeES8_S8_S8_S8_S8_S8_S8_EEEEZZNS1_27merge_sort_block_merge_implIS3_NS6_6detail15normal_iteratorINS6_10device_ptrIjEEEENSD_INSE_IS9_EEEEjNS1_19radix_merge_compareILb0ELb1EjNS0_19identity_decomposerEEEEE10hipError_tT0_T1_T2_jT3_P12ihipStream_tbPNSt15iterator_traitsISN_E10value_typeEPNST_ISO_E10value_typeEPSP_NS1_7vsmem_tEENKUlT_SN_SO_SP_E_clISG_PjSI_PS9_EESM_S12_SN_SO_SP_EUlS12_E1_NS1_11comp_targetILNS1_3genE4ELNS1_11target_archE910ELNS1_3gpuE8ELNS1_3repE0EEENS1_36merge_oddeven_config_static_selectorELNS0_4arch9wavefront6targetE0EEEvSO_.uses_flat_scratch, 0
	.set _ZN7rocprim17ROCPRIM_400000_NS6detail17trampoline_kernelINS0_14default_configENS1_38merge_sort_block_merge_config_selectorIjN6thrust23THRUST_200600_302600_NS5tupleIffNS6_9null_typeES8_S8_S8_S8_S8_S8_S8_EEEEZZNS1_27merge_sort_block_merge_implIS3_NS6_6detail15normal_iteratorINS6_10device_ptrIjEEEENSD_INSE_IS9_EEEEjNS1_19radix_merge_compareILb0ELb1EjNS0_19identity_decomposerEEEEE10hipError_tT0_T1_T2_jT3_P12ihipStream_tbPNSt15iterator_traitsISN_E10value_typeEPNST_ISO_E10value_typeEPSP_NS1_7vsmem_tEENKUlT_SN_SO_SP_E_clISG_PjSI_PS9_EESM_S12_SN_SO_SP_EUlS12_E1_NS1_11comp_targetILNS1_3genE4ELNS1_11target_archE910ELNS1_3gpuE8ELNS1_3repE0EEENS1_36merge_oddeven_config_static_selectorELNS0_4arch9wavefront6targetE0EEEvSO_.has_dyn_sized_stack, 0
	.set _ZN7rocprim17ROCPRIM_400000_NS6detail17trampoline_kernelINS0_14default_configENS1_38merge_sort_block_merge_config_selectorIjN6thrust23THRUST_200600_302600_NS5tupleIffNS6_9null_typeES8_S8_S8_S8_S8_S8_S8_EEEEZZNS1_27merge_sort_block_merge_implIS3_NS6_6detail15normal_iteratorINS6_10device_ptrIjEEEENSD_INSE_IS9_EEEEjNS1_19radix_merge_compareILb0ELb1EjNS0_19identity_decomposerEEEEE10hipError_tT0_T1_T2_jT3_P12ihipStream_tbPNSt15iterator_traitsISN_E10value_typeEPNST_ISO_E10value_typeEPSP_NS1_7vsmem_tEENKUlT_SN_SO_SP_E_clISG_PjSI_PS9_EESM_S12_SN_SO_SP_EUlS12_E1_NS1_11comp_targetILNS1_3genE4ELNS1_11target_archE910ELNS1_3gpuE8ELNS1_3repE0EEENS1_36merge_oddeven_config_static_selectorELNS0_4arch9wavefront6targetE0EEEvSO_.has_recursion, 0
	.set _ZN7rocprim17ROCPRIM_400000_NS6detail17trampoline_kernelINS0_14default_configENS1_38merge_sort_block_merge_config_selectorIjN6thrust23THRUST_200600_302600_NS5tupleIffNS6_9null_typeES8_S8_S8_S8_S8_S8_S8_EEEEZZNS1_27merge_sort_block_merge_implIS3_NS6_6detail15normal_iteratorINS6_10device_ptrIjEEEENSD_INSE_IS9_EEEEjNS1_19radix_merge_compareILb0ELb1EjNS0_19identity_decomposerEEEEE10hipError_tT0_T1_T2_jT3_P12ihipStream_tbPNSt15iterator_traitsISN_E10value_typeEPNST_ISO_E10value_typeEPSP_NS1_7vsmem_tEENKUlT_SN_SO_SP_E_clISG_PjSI_PS9_EESM_S12_SN_SO_SP_EUlS12_E1_NS1_11comp_targetILNS1_3genE4ELNS1_11target_archE910ELNS1_3gpuE8ELNS1_3repE0EEENS1_36merge_oddeven_config_static_selectorELNS0_4arch9wavefront6targetE0EEEvSO_.has_indirect_call, 0
	.section	.AMDGPU.csdata,"",@progbits
; Kernel info:
; codeLenInByte = 0
; TotalNumSgprs: 0
; NumVgprs: 0
; ScratchSize: 0
; MemoryBound: 0
; FloatMode: 240
; IeeeMode: 1
; LDSByteSize: 0 bytes/workgroup (compile time only)
; SGPRBlocks: 0
; VGPRBlocks: 0
; NumSGPRsForWavesPerEU: 1
; NumVGPRsForWavesPerEU: 1
; NamedBarCnt: 0
; Occupancy: 16
; WaveLimiterHint : 0
; COMPUTE_PGM_RSRC2:SCRATCH_EN: 0
; COMPUTE_PGM_RSRC2:USER_SGPR: 2
; COMPUTE_PGM_RSRC2:TRAP_HANDLER: 0
; COMPUTE_PGM_RSRC2:TGID_X_EN: 1
; COMPUTE_PGM_RSRC2:TGID_Y_EN: 0
; COMPUTE_PGM_RSRC2:TGID_Z_EN: 0
; COMPUTE_PGM_RSRC2:TIDIG_COMP_CNT: 0
	.section	.text._ZN7rocprim17ROCPRIM_400000_NS6detail17trampoline_kernelINS0_14default_configENS1_38merge_sort_block_merge_config_selectorIjN6thrust23THRUST_200600_302600_NS5tupleIffNS6_9null_typeES8_S8_S8_S8_S8_S8_S8_EEEEZZNS1_27merge_sort_block_merge_implIS3_NS6_6detail15normal_iteratorINS6_10device_ptrIjEEEENSD_INSE_IS9_EEEEjNS1_19radix_merge_compareILb0ELb1EjNS0_19identity_decomposerEEEEE10hipError_tT0_T1_T2_jT3_P12ihipStream_tbPNSt15iterator_traitsISN_E10value_typeEPNST_ISO_E10value_typeEPSP_NS1_7vsmem_tEENKUlT_SN_SO_SP_E_clISG_PjSI_PS9_EESM_S12_SN_SO_SP_EUlS12_E1_NS1_11comp_targetILNS1_3genE3ELNS1_11target_archE908ELNS1_3gpuE7ELNS1_3repE0EEENS1_36merge_oddeven_config_static_selectorELNS0_4arch9wavefront6targetE0EEEvSO_,"axG",@progbits,_ZN7rocprim17ROCPRIM_400000_NS6detail17trampoline_kernelINS0_14default_configENS1_38merge_sort_block_merge_config_selectorIjN6thrust23THRUST_200600_302600_NS5tupleIffNS6_9null_typeES8_S8_S8_S8_S8_S8_S8_EEEEZZNS1_27merge_sort_block_merge_implIS3_NS6_6detail15normal_iteratorINS6_10device_ptrIjEEEENSD_INSE_IS9_EEEEjNS1_19radix_merge_compareILb0ELb1EjNS0_19identity_decomposerEEEEE10hipError_tT0_T1_T2_jT3_P12ihipStream_tbPNSt15iterator_traitsISN_E10value_typeEPNST_ISO_E10value_typeEPSP_NS1_7vsmem_tEENKUlT_SN_SO_SP_E_clISG_PjSI_PS9_EESM_S12_SN_SO_SP_EUlS12_E1_NS1_11comp_targetILNS1_3genE3ELNS1_11target_archE908ELNS1_3gpuE7ELNS1_3repE0EEENS1_36merge_oddeven_config_static_selectorELNS0_4arch9wavefront6targetE0EEEvSO_,comdat
	.protected	_ZN7rocprim17ROCPRIM_400000_NS6detail17trampoline_kernelINS0_14default_configENS1_38merge_sort_block_merge_config_selectorIjN6thrust23THRUST_200600_302600_NS5tupleIffNS6_9null_typeES8_S8_S8_S8_S8_S8_S8_EEEEZZNS1_27merge_sort_block_merge_implIS3_NS6_6detail15normal_iteratorINS6_10device_ptrIjEEEENSD_INSE_IS9_EEEEjNS1_19radix_merge_compareILb0ELb1EjNS0_19identity_decomposerEEEEE10hipError_tT0_T1_T2_jT3_P12ihipStream_tbPNSt15iterator_traitsISN_E10value_typeEPNST_ISO_E10value_typeEPSP_NS1_7vsmem_tEENKUlT_SN_SO_SP_E_clISG_PjSI_PS9_EESM_S12_SN_SO_SP_EUlS12_E1_NS1_11comp_targetILNS1_3genE3ELNS1_11target_archE908ELNS1_3gpuE7ELNS1_3repE0EEENS1_36merge_oddeven_config_static_selectorELNS0_4arch9wavefront6targetE0EEEvSO_ ; -- Begin function _ZN7rocprim17ROCPRIM_400000_NS6detail17trampoline_kernelINS0_14default_configENS1_38merge_sort_block_merge_config_selectorIjN6thrust23THRUST_200600_302600_NS5tupleIffNS6_9null_typeES8_S8_S8_S8_S8_S8_S8_EEEEZZNS1_27merge_sort_block_merge_implIS3_NS6_6detail15normal_iteratorINS6_10device_ptrIjEEEENSD_INSE_IS9_EEEEjNS1_19radix_merge_compareILb0ELb1EjNS0_19identity_decomposerEEEEE10hipError_tT0_T1_T2_jT3_P12ihipStream_tbPNSt15iterator_traitsISN_E10value_typeEPNST_ISO_E10value_typeEPSP_NS1_7vsmem_tEENKUlT_SN_SO_SP_E_clISG_PjSI_PS9_EESM_S12_SN_SO_SP_EUlS12_E1_NS1_11comp_targetILNS1_3genE3ELNS1_11target_archE908ELNS1_3gpuE7ELNS1_3repE0EEENS1_36merge_oddeven_config_static_selectorELNS0_4arch9wavefront6targetE0EEEvSO_
	.globl	_ZN7rocprim17ROCPRIM_400000_NS6detail17trampoline_kernelINS0_14default_configENS1_38merge_sort_block_merge_config_selectorIjN6thrust23THRUST_200600_302600_NS5tupleIffNS6_9null_typeES8_S8_S8_S8_S8_S8_S8_EEEEZZNS1_27merge_sort_block_merge_implIS3_NS6_6detail15normal_iteratorINS6_10device_ptrIjEEEENSD_INSE_IS9_EEEEjNS1_19radix_merge_compareILb0ELb1EjNS0_19identity_decomposerEEEEE10hipError_tT0_T1_T2_jT3_P12ihipStream_tbPNSt15iterator_traitsISN_E10value_typeEPNST_ISO_E10value_typeEPSP_NS1_7vsmem_tEENKUlT_SN_SO_SP_E_clISG_PjSI_PS9_EESM_S12_SN_SO_SP_EUlS12_E1_NS1_11comp_targetILNS1_3genE3ELNS1_11target_archE908ELNS1_3gpuE7ELNS1_3repE0EEENS1_36merge_oddeven_config_static_selectorELNS0_4arch9wavefront6targetE0EEEvSO_
	.p2align	8
	.type	_ZN7rocprim17ROCPRIM_400000_NS6detail17trampoline_kernelINS0_14default_configENS1_38merge_sort_block_merge_config_selectorIjN6thrust23THRUST_200600_302600_NS5tupleIffNS6_9null_typeES8_S8_S8_S8_S8_S8_S8_EEEEZZNS1_27merge_sort_block_merge_implIS3_NS6_6detail15normal_iteratorINS6_10device_ptrIjEEEENSD_INSE_IS9_EEEEjNS1_19radix_merge_compareILb0ELb1EjNS0_19identity_decomposerEEEEE10hipError_tT0_T1_T2_jT3_P12ihipStream_tbPNSt15iterator_traitsISN_E10value_typeEPNST_ISO_E10value_typeEPSP_NS1_7vsmem_tEENKUlT_SN_SO_SP_E_clISG_PjSI_PS9_EESM_S12_SN_SO_SP_EUlS12_E1_NS1_11comp_targetILNS1_3genE3ELNS1_11target_archE908ELNS1_3gpuE7ELNS1_3repE0EEENS1_36merge_oddeven_config_static_selectorELNS0_4arch9wavefront6targetE0EEEvSO_,@function
_ZN7rocprim17ROCPRIM_400000_NS6detail17trampoline_kernelINS0_14default_configENS1_38merge_sort_block_merge_config_selectorIjN6thrust23THRUST_200600_302600_NS5tupleIffNS6_9null_typeES8_S8_S8_S8_S8_S8_S8_EEEEZZNS1_27merge_sort_block_merge_implIS3_NS6_6detail15normal_iteratorINS6_10device_ptrIjEEEENSD_INSE_IS9_EEEEjNS1_19radix_merge_compareILb0ELb1EjNS0_19identity_decomposerEEEEE10hipError_tT0_T1_T2_jT3_P12ihipStream_tbPNSt15iterator_traitsISN_E10value_typeEPNST_ISO_E10value_typeEPSP_NS1_7vsmem_tEENKUlT_SN_SO_SP_E_clISG_PjSI_PS9_EESM_S12_SN_SO_SP_EUlS12_E1_NS1_11comp_targetILNS1_3genE3ELNS1_11target_archE908ELNS1_3gpuE7ELNS1_3repE0EEENS1_36merge_oddeven_config_static_selectorELNS0_4arch9wavefront6targetE0EEEvSO_: ; @_ZN7rocprim17ROCPRIM_400000_NS6detail17trampoline_kernelINS0_14default_configENS1_38merge_sort_block_merge_config_selectorIjN6thrust23THRUST_200600_302600_NS5tupleIffNS6_9null_typeES8_S8_S8_S8_S8_S8_S8_EEEEZZNS1_27merge_sort_block_merge_implIS3_NS6_6detail15normal_iteratorINS6_10device_ptrIjEEEENSD_INSE_IS9_EEEEjNS1_19radix_merge_compareILb0ELb1EjNS0_19identity_decomposerEEEEE10hipError_tT0_T1_T2_jT3_P12ihipStream_tbPNSt15iterator_traitsISN_E10value_typeEPNST_ISO_E10value_typeEPSP_NS1_7vsmem_tEENKUlT_SN_SO_SP_E_clISG_PjSI_PS9_EESM_S12_SN_SO_SP_EUlS12_E1_NS1_11comp_targetILNS1_3genE3ELNS1_11target_archE908ELNS1_3gpuE7ELNS1_3repE0EEENS1_36merge_oddeven_config_static_selectorELNS0_4arch9wavefront6targetE0EEEvSO_
; %bb.0:
	.section	.rodata,"a",@progbits
	.p2align	6, 0x0
	.amdhsa_kernel _ZN7rocprim17ROCPRIM_400000_NS6detail17trampoline_kernelINS0_14default_configENS1_38merge_sort_block_merge_config_selectorIjN6thrust23THRUST_200600_302600_NS5tupleIffNS6_9null_typeES8_S8_S8_S8_S8_S8_S8_EEEEZZNS1_27merge_sort_block_merge_implIS3_NS6_6detail15normal_iteratorINS6_10device_ptrIjEEEENSD_INSE_IS9_EEEEjNS1_19radix_merge_compareILb0ELb1EjNS0_19identity_decomposerEEEEE10hipError_tT0_T1_T2_jT3_P12ihipStream_tbPNSt15iterator_traitsISN_E10value_typeEPNST_ISO_E10value_typeEPSP_NS1_7vsmem_tEENKUlT_SN_SO_SP_E_clISG_PjSI_PS9_EESM_S12_SN_SO_SP_EUlS12_E1_NS1_11comp_targetILNS1_3genE3ELNS1_11target_archE908ELNS1_3gpuE7ELNS1_3repE0EEENS1_36merge_oddeven_config_static_selectorELNS0_4arch9wavefront6targetE0EEEvSO_
		.amdhsa_group_segment_fixed_size 0
		.amdhsa_private_segment_fixed_size 0
		.amdhsa_kernarg_size 48
		.amdhsa_user_sgpr_count 2
		.amdhsa_user_sgpr_dispatch_ptr 0
		.amdhsa_user_sgpr_queue_ptr 0
		.amdhsa_user_sgpr_kernarg_segment_ptr 1
		.amdhsa_user_sgpr_dispatch_id 0
		.amdhsa_user_sgpr_kernarg_preload_length 0
		.amdhsa_user_sgpr_kernarg_preload_offset 0
		.amdhsa_user_sgpr_private_segment_size 0
		.amdhsa_wavefront_size32 1
		.amdhsa_uses_dynamic_stack 0
		.amdhsa_enable_private_segment 0
		.amdhsa_system_sgpr_workgroup_id_x 1
		.amdhsa_system_sgpr_workgroup_id_y 0
		.amdhsa_system_sgpr_workgroup_id_z 0
		.amdhsa_system_sgpr_workgroup_info 0
		.amdhsa_system_vgpr_workitem_id 0
		.amdhsa_next_free_vgpr 1
		.amdhsa_next_free_sgpr 1
		.amdhsa_named_barrier_count 0
		.amdhsa_reserve_vcc 0
		.amdhsa_float_round_mode_32 0
		.amdhsa_float_round_mode_16_64 0
		.amdhsa_float_denorm_mode_32 3
		.amdhsa_float_denorm_mode_16_64 3
		.amdhsa_fp16_overflow 0
		.amdhsa_memory_ordered 1
		.amdhsa_forward_progress 1
		.amdhsa_inst_pref_size 0
		.amdhsa_round_robin_scheduling 0
		.amdhsa_exception_fp_ieee_invalid_op 0
		.amdhsa_exception_fp_denorm_src 0
		.amdhsa_exception_fp_ieee_div_zero 0
		.amdhsa_exception_fp_ieee_overflow 0
		.amdhsa_exception_fp_ieee_underflow 0
		.amdhsa_exception_fp_ieee_inexact 0
		.amdhsa_exception_int_div_zero 0
	.end_amdhsa_kernel
	.section	.text._ZN7rocprim17ROCPRIM_400000_NS6detail17trampoline_kernelINS0_14default_configENS1_38merge_sort_block_merge_config_selectorIjN6thrust23THRUST_200600_302600_NS5tupleIffNS6_9null_typeES8_S8_S8_S8_S8_S8_S8_EEEEZZNS1_27merge_sort_block_merge_implIS3_NS6_6detail15normal_iteratorINS6_10device_ptrIjEEEENSD_INSE_IS9_EEEEjNS1_19radix_merge_compareILb0ELb1EjNS0_19identity_decomposerEEEEE10hipError_tT0_T1_T2_jT3_P12ihipStream_tbPNSt15iterator_traitsISN_E10value_typeEPNST_ISO_E10value_typeEPSP_NS1_7vsmem_tEENKUlT_SN_SO_SP_E_clISG_PjSI_PS9_EESM_S12_SN_SO_SP_EUlS12_E1_NS1_11comp_targetILNS1_3genE3ELNS1_11target_archE908ELNS1_3gpuE7ELNS1_3repE0EEENS1_36merge_oddeven_config_static_selectorELNS0_4arch9wavefront6targetE0EEEvSO_,"axG",@progbits,_ZN7rocprim17ROCPRIM_400000_NS6detail17trampoline_kernelINS0_14default_configENS1_38merge_sort_block_merge_config_selectorIjN6thrust23THRUST_200600_302600_NS5tupleIffNS6_9null_typeES8_S8_S8_S8_S8_S8_S8_EEEEZZNS1_27merge_sort_block_merge_implIS3_NS6_6detail15normal_iteratorINS6_10device_ptrIjEEEENSD_INSE_IS9_EEEEjNS1_19radix_merge_compareILb0ELb1EjNS0_19identity_decomposerEEEEE10hipError_tT0_T1_T2_jT3_P12ihipStream_tbPNSt15iterator_traitsISN_E10value_typeEPNST_ISO_E10value_typeEPSP_NS1_7vsmem_tEENKUlT_SN_SO_SP_E_clISG_PjSI_PS9_EESM_S12_SN_SO_SP_EUlS12_E1_NS1_11comp_targetILNS1_3genE3ELNS1_11target_archE908ELNS1_3gpuE7ELNS1_3repE0EEENS1_36merge_oddeven_config_static_selectorELNS0_4arch9wavefront6targetE0EEEvSO_,comdat
.Lfunc_end135:
	.size	_ZN7rocprim17ROCPRIM_400000_NS6detail17trampoline_kernelINS0_14default_configENS1_38merge_sort_block_merge_config_selectorIjN6thrust23THRUST_200600_302600_NS5tupleIffNS6_9null_typeES8_S8_S8_S8_S8_S8_S8_EEEEZZNS1_27merge_sort_block_merge_implIS3_NS6_6detail15normal_iteratorINS6_10device_ptrIjEEEENSD_INSE_IS9_EEEEjNS1_19radix_merge_compareILb0ELb1EjNS0_19identity_decomposerEEEEE10hipError_tT0_T1_T2_jT3_P12ihipStream_tbPNSt15iterator_traitsISN_E10value_typeEPNST_ISO_E10value_typeEPSP_NS1_7vsmem_tEENKUlT_SN_SO_SP_E_clISG_PjSI_PS9_EESM_S12_SN_SO_SP_EUlS12_E1_NS1_11comp_targetILNS1_3genE3ELNS1_11target_archE908ELNS1_3gpuE7ELNS1_3repE0EEENS1_36merge_oddeven_config_static_selectorELNS0_4arch9wavefront6targetE0EEEvSO_, .Lfunc_end135-_ZN7rocprim17ROCPRIM_400000_NS6detail17trampoline_kernelINS0_14default_configENS1_38merge_sort_block_merge_config_selectorIjN6thrust23THRUST_200600_302600_NS5tupleIffNS6_9null_typeES8_S8_S8_S8_S8_S8_S8_EEEEZZNS1_27merge_sort_block_merge_implIS3_NS6_6detail15normal_iteratorINS6_10device_ptrIjEEEENSD_INSE_IS9_EEEEjNS1_19radix_merge_compareILb0ELb1EjNS0_19identity_decomposerEEEEE10hipError_tT0_T1_T2_jT3_P12ihipStream_tbPNSt15iterator_traitsISN_E10value_typeEPNST_ISO_E10value_typeEPSP_NS1_7vsmem_tEENKUlT_SN_SO_SP_E_clISG_PjSI_PS9_EESM_S12_SN_SO_SP_EUlS12_E1_NS1_11comp_targetILNS1_3genE3ELNS1_11target_archE908ELNS1_3gpuE7ELNS1_3repE0EEENS1_36merge_oddeven_config_static_selectorELNS0_4arch9wavefront6targetE0EEEvSO_
                                        ; -- End function
	.set _ZN7rocprim17ROCPRIM_400000_NS6detail17trampoline_kernelINS0_14default_configENS1_38merge_sort_block_merge_config_selectorIjN6thrust23THRUST_200600_302600_NS5tupleIffNS6_9null_typeES8_S8_S8_S8_S8_S8_S8_EEEEZZNS1_27merge_sort_block_merge_implIS3_NS6_6detail15normal_iteratorINS6_10device_ptrIjEEEENSD_INSE_IS9_EEEEjNS1_19radix_merge_compareILb0ELb1EjNS0_19identity_decomposerEEEEE10hipError_tT0_T1_T2_jT3_P12ihipStream_tbPNSt15iterator_traitsISN_E10value_typeEPNST_ISO_E10value_typeEPSP_NS1_7vsmem_tEENKUlT_SN_SO_SP_E_clISG_PjSI_PS9_EESM_S12_SN_SO_SP_EUlS12_E1_NS1_11comp_targetILNS1_3genE3ELNS1_11target_archE908ELNS1_3gpuE7ELNS1_3repE0EEENS1_36merge_oddeven_config_static_selectorELNS0_4arch9wavefront6targetE0EEEvSO_.num_vgpr, 0
	.set _ZN7rocprim17ROCPRIM_400000_NS6detail17trampoline_kernelINS0_14default_configENS1_38merge_sort_block_merge_config_selectorIjN6thrust23THRUST_200600_302600_NS5tupleIffNS6_9null_typeES8_S8_S8_S8_S8_S8_S8_EEEEZZNS1_27merge_sort_block_merge_implIS3_NS6_6detail15normal_iteratorINS6_10device_ptrIjEEEENSD_INSE_IS9_EEEEjNS1_19radix_merge_compareILb0ELb1EjNS0_19identity_decomposerEEEEE10hipError_tT0_T1_T2_jT3_P12ihipStream_tbPNSt15iterator_traitsISN_E10value_typeEPNST_ISO_E10value_typeEPSP_NS1_7vsmem_tEENKUlT_SN_SO_SP_E_clISG_PjSI_PS9_EESM_S12_SN_SO_SP_EUlS12_E1_NS1_11comp_targetILNS1_3genE3ELNS1_11target_archE908ELNS1_3gpuE7ELNS1_3repE0EEENS1_36merge_oddeven_config_static_selectorELNS0_4arch9wavefront6targetE0EEEvSO_.num_agpr, 0
	.set _ZN7rocprim17ROCPRIM_400000_NS6detail17trampoline_kernelINS0_14default_configENS1_38merge_sort_block_merge_config_selectorIjN6thrust23THRUST_200600_302600_NS5tupleIffNS6_9null_typeES8_S8_S8_S8_S8_S8_S8_EEEEZZNS1_27merge_sort_block_merge_implIS3_NS6_6detail15normal_iteratorINS6_10device_ptrIjEEEENSD_INSE_IS9_EEEEjNS1_19radix_merge_compareILb0ELb1EjNS0_19identity_decomposerEEEEE10hipError_tT0_T1_T2_jT3_P12ihipStream_tbPNSt15iterator_traitsISN_E10value_typeEPNST_ISO_E10value_typeEPSP_NS1_7vsmem_tEENKUlT_SN_SO_SP_E_clISG_PjSI_PS9_EESM_S12_SN_SO_SP_EUlS12_E1_NS1_11comp_targetILNS1_3genE3ELNS1_11target_archE908ELNS1_3gpuE7ELNS1_3repE0EEENS1_36merge_oddeven_config_static_selectorELNS0_4arch9wavefront6targetE0EEEvSO_.numbered_sgpr, 0
	.set _ZN7rocprim17ROCPRIM_400000_NS6detail17trampoline_kernelINS0_14default_configENS1_38merge_sort_block_merge_config_selectorIjN6thrust23THRUST_200600_302600_NS5tupleIffNS6_9null_typeES8_S8_S8_S8_S8_S8_S8_EEEEZZNS1_27merge_sort_block_merge_implIS3_NS6_6detail15normal_iteratorINS6_10device_ptrIjEEEENSD_INSE_IS9_EEEEjNS1_19radix_merge_compareILb0ELb1EjNS0_19identity_decomposerEEEEE10hipError_tT0_T1_T2_jT3_P12ihipStream_tbPNSt15iterator_traitsISN_E10value_typeEPNST_ISO_E10value_typeEPSP_NS1_7vsmem_tEENKUlT_SN_SO_SP_E_clISG_PjSI_PS9_EESM_S12_SN_SO_SP_EUlS12_E1_NS1_11comp_targetILNS1_3genE3ELNS1_11target_archE908ELNS1_3gpuE7ELNS1_3repE0EEENS1_36merge_oddeven_config_static_selectorELNS0_4arch9wavefront6targetE0EEEvSO_.num_named_barrier, 0
	.set _ZN7rocprim17ROCPRIM_400000_NS6detail17trampoline_kernelINS0_14default_configENS1_38merge_sort_block_merge_config_selectorIjN6thrust23THRUST_200600_302600_NS5tupleIffNS6_9null_typeES8_S8_S8_S8_S8_S8_S8_EEEEZZNS1_27merge_sort_block_merge_implIS3_NS6_6detail15normal_iteratorINS6_10device_ptrIjEEEENSD_INSE_IS9_EEEEjNS1_19radix_merge_compareILb0ELb1EjNS0_19identity_decomposerEEEEE10hipError_tT0_T1_T2_jT3_P12ihipStream_tbPNSt15iterator_traitsISN_E10value_typeEPNST_ISO_E10value_typeEPSP_NS1_7vsmem_tEENKUlT_SN_SO_SP_E_clISG_PjSI_PS9_EESM_S12_SN_SO_SP_EUlS12_E1_NS1_11comp_targetILNS1_3genE3ELNS1_11target_archE908ELNS1_3gpuE7ELNS1_3repE0EEENS1_36merge_oddeven_config_static_selectorELNS0_4arch9wavefront6targetE0EEEvSO_.private_seg_size, 0
	.set _ZN7rocprim17ROCPRIM_400000_NS6detail17trampoline_kernelINS0_14default_configENS1_38merge_sort_block_merge_config_selectorIjN6thrust23THRUST_200600_302600_NS5tupleIffNS6_9null_typeES8_S8_S8_S8_S8_S8_S8_EEEEZZNS1_27merge_sort_block_merge_implIS3_NS6_6detail15normal_iteratorINS6_10device_ptrIjEEEENSD_INSE_IS9_EEEEjNS1_19radix_merge_compareILb0ELb1EjNS0_19identity_decomposerEEEEE10hipError_tT0_T1_T2_jT3_P12ihipStream_tbPNSt15iterator_traitsISN_E10value_typeEPNST_ISO_E10value_typeEPSP_NS1_7vsmem_tEENKUlT_SN_SO_SP_E_clISG_PjSI_PS9_EESM_S12_SN_SO_SP_EUlS12_E1_NS1_11comp_targetILNS1_3genE3ELNS1_11target_archE908ELNS1_3gpuE7ELNS1_3repE0EEENS1_36merge_oddeven_config_static_selectorELNS0_4arch9wavefront6targetE0EEEvSO_.uses_vcc, 0
	.set _ZN7rocprim17ROCPRIM_400000_NS6detail17trampoline_kernelINS0_14default_configENS1_38merge_sort_block_merge_config_selectorIjN6thrust23THRUST_200600_302600_NS5tupleIffNS6_9null_typeES8_S8_S8_S8_S8_S8_S8_EEEEZZNS1_27merge_sort_block_merge_implIS3_NS6_6detail15normal_iteratorINS6_10device_ptrIjEEEENSD_INSE_IS9_EEEEjNS1_19radix_merge_compareILb0ELb1EjNS0_19identity_decomposerEEEEE10hipError_tT0_T1_T2_jT3_P12ihipStream_tbPNSt15iterator_traitsISN_E10value_typeEPNST_ISO_E10value_typeEPSP_NS1_7vsmem_tEENKUlT_SN_SO_SP_E_clISG_PjSI_PS9_EESM_S12_SN_SO_SP_EUlS12_E1_NS1_11comp_targetILNS1_3genE3ELNS1_11target_archE908ELNS1_3gpuE7ELNS1_3repE0EEENS1_36merge_oddeven_config_static_selectorELNS0_4arch9wavefront6targetE0EEEvSO_.uses_flat_scratch, 0
	.set _ZN7rocprim17ROCPRIM_400000_NS6detail17trampoline_kernelINS0_14default_configENS1_38merge_sort_block_merge_config_selectorIjN6thrust23THRUST_200600_302600_NS5tupleIffNS6_9null_typeES8_S8_S8_S8_S8_S8_S8_EEEEZZNS1_27merge_sort_block_merge_implIS3_NS6_6detail15normal_iteratorINS6_10device_ptrIjEEEENSD_INSE_IS9_EEEEjNS1_19radix_merge_compareILb0ELb1EjNS0_19identity_decomposerEEEEE10hipError_tT0_T1_T2_jT3_P12ihipStream_tbPNSt15iterator_traitsISN_E10value_typeEPNST_ISO_E10value_typeEPSP_NS1_7vsmem_tEENKUlT_SN_SO_SP_E_clISG_PjSI_PS9_EESM_S12_SN_SO_SP_EUlS12_E1_NS1_11comp_targetILNS1_3genE3ELNS1_11target_archE908ELNS1_3gpuE7ELNS1_3repE0EEENS1_36merge_oddeven_config_static_selectorELNS0_4arch9wavefront6targetE0EEEvSO_.has_dyn_sized_stack, 0
	.set _ZN7rocprim17ROCPRIM_400000_NS6detail17trampoline_kernelINS0_14default_configENS1_38merge_sort_block_merge_config_selectorIjN6thrust23THRUST_200600_302600_NS5tupleIffNS6_9null_typeES8_S8_S8_S8_S8_S8_S8_EEEEZZNS1_27merge_sort_block_merge_implIS3_NS6_6detail15normal_iteratorINS6_10device_ptrIjEEEENSD_INSE_IS9_EEEEjNS1_19radix_merge_compareILb0ELb1EjNS0_19identity_decomposerEEEEE10hipError_tT0_T1_T2_jT3_P12ihipStream_tbPNSt15iterator_traitsISN_E10value_typeEPNST_ISO_E10value_typeEPSP_NS1_7vsmem_tEENKUlT_SN_SO_SP_E_clISG_PjSI_PS9_EESM_S12_SN_SO_SP_EUlS12_E1_NS1_11comp_targetILNS1_3genE3ELNS1_11target_archE908ELNS1_3gpuE7ELNS1_3repE0EEENS1_36merge_oddeven_config_static_selectorELNS0_4arch9wavefront6targetE0EEEvSO_.has_recursion, 0
	.set _ZN7rocprim17ROCPRIM_400000_NS6detail17trampoline_kernelINS0_14default_configENS1_38merge_sort_block_merge_config_selectorIjN6thrust23THRUST_200600_302600_NS5tupleIffNS6_9null_typeES8_S8_S8_S8_S8_S8_S8_EEEEZZNS1_27merge_sort_block_merge_implIS3_NS6_6detail15normal_iteratorINS6_10device_ptrIjEEEENSD_INSE_IS9_EEEEjNS1_19radix_merge_compareILb0ELb1EjNS0_19identity_decomposerEEEEE10hipError_tT0_T1_T2_jT3_P12ihipStream_tbPNSt15iterator_traitsISN_E10value_typeEPNST_ISO_E10value_typeEPSP_NS1_7vsmem_tEENKUlT_SN_SO_SP_E_clISG_PjSI_PS9_EESM_S12_SN_SO_SP_EUlS12_E1_NS1_11comp_targetILNS1_3genE3ELNS1_11target_archE908ELNS1_3gpuE7ELNS1_3repE0EEENS1_36merge_oddeven_config_static_selectorELNS0_4arch9wavefront6targetE0EEEvSO_.has_indirect_call, 0
	.section	.AMDGPU.csdata,"",@progbits
; Kernel info:
; codeLenInByte = 0
; TotalNumSgprs: 0
; NumVgprs: 0
; ScratchSize: 0
; MemoryBound: 0
; FloatMode: 240
; IeeeMode: 1
; LDSByteSize: 0 bytes/workgroup (compile time only)
; SGPRBlocks: 0
; VGPRBlocks: 0
; NumSGPRsForWavesPerEU: 1
; NumVGPRsForWavesPerEU: 1
; NamedBarCnt: 0
; Occupancy: 16
; WaveLimiterHint : 0
; COMPUTE_PGM_RSRC2:SCRATCH_EN: 0
; COMPUTE_PGM_RSRC2:USER_SGPR: 2
; COMPUTE_PGM_RSRC2:TRAP_HANDLER: 0
; COMPUTE_PGM_RSRC2:TGID_X_EN: 1
; COMPUTE_PGM_RSRC2:TGID_Y_EN: 0
; COMPUTE_PGM_RSRC2:TGID_Z_EN: 0
; COMPUTE_PGM_RSRC2:TIDIG_COMP_CNT: 0
	.section	.text._ZN7rocprim17ROCPRIM_400000_NS6detail17trampoline_kernelINS0_14default_configENS1_38merge_sort_block_merge_config_selectorIjN6thrust23THRUST_200600_302600_NS5tupleIffNS6_9null_typeES8_S8_S8_S8_S8_S8_S8_EEEEZZNS1_27merge_sort_block_merge_implIS3_NS6_6detail15normal_iteratorINS6_10device_ptrIjEEEENSD_INSE_IS9_EEEEjNS1_19radix_merge_compareILb0ELb1EjNS0_19identity_decomposerEEEEE10hipError_tT0_T1_T2_jT3_P12ihipStream_tbPNSt15iterator_traitsISN_E10value_typeEPNST_ISO_E10value_typeEPSP_NS1_7vsmem_tEENKUlT_SN_SO_SP_E_clISG_PjSI_PS9_EESM_S12_SN_SO_SP_EUlS12_E1_NS1_11comp_targetILNS1_3genE2ELNS1_11target_archE906ELNS1_3gpuE6ELNS1_3repE0EEENS1_36merge_oddeven_config_static_selectorELNS0_4arch9wavefront6targetE0EEEvSO_,"axG",@progbits,_ZN7rocprim17ROCPRIM_400000_NS6detail17trampoline_kernelINS0_14default_configENS1_38merge_sort_block_merge_config_selectorIjN6thrust23THRUST_200600_302600_NS5tupleIffNS6_9null_typeES8_S8_S8_S8_S8_S8_S8_EEEEZZNS1_27merge_sort_block_merge_implIS3_NS6_6detail15normal_iteratorINS6_10device_ptrIjEEEENSD_INSE_IS9_EEEEjNS1_19radix_merge_compareILb0ELb1EjNS0_19identity_decomposerEEEEE10hipError_tT0_T1_T2_jT3_P12ihipStream_tbPNSt15iterator_traitsISN_E10value_typeEPNST_ISO_E10value_typeEPSP_NS1_7vsmem_tEENKUlT_SN_SO_SP_E_clISG_PjSI_PS9_EESM_S12_SN_SO_SP_EUlS12_E1_NS1_11comp_targetILNS1_3genE2ELNS1_11target_archE906ELNS1_3gpuE6ELNS1_3repE0EEENS1_36merge_oddeven_config_static_selectorELNS0_4arch9wavefront6targetE0EEEvSO_,comdat
	.protected	_ZN7rocprim17ROCPRIM_400000_NS6detail17trampoline_kernelINS0_14default_configENS1_38merge_sort_block_merge_config_selectorIjN6thrust23THRUST_200600_302600_NS5tupleIffNS6_9null_typeES8_S8_S8_S8_S8_S8_S8_EEEEZZNS1_27merge_sort_block_merge_implIS3_NS6_6detail15normal_iteratorINS6_10device_ptrIjEEEENSD_INSE_IS9_EEEEjNS1_19radix_merge_compareILb0ELb1EjNS0_19identity_decomposerEEEEE10hipError_tT0_T1_T2_jT3_P12ihipStream_tbPNSt15iterator_traitsISN_E10value_typeEPNST_ISO_E10value_typeEPSP_NS1_7vsmem_tEENKUlT_SN_SO_SP_E_clISG_PjSI_PS9_EESM_S12_SN_SO_SP_EUlS12_E1_NS1_11comp_targetILNS1_3genE2ELNS1_11target_archE906ELNS1_3gpuE6ELNS1_3repE0EEENS1_36merge_oddeven_config_static_selectorELNS0_4arch9wavefront6targetE0EEEvSO_ ; -- Begin function _ZN7rocprim17ROCPRIM_400000_NS6detail17trampoline_kernelINS0_14default_configENS1_38merge_sort_block_merge_config_selectorIjN6thrust23THRUST_200600_302600_NS5tupleIffNS6_9null_typeES8_S8_S8_S8_S8_S8_S8_EEEEZZNS1_27merge_sort_block_merge_implIS3_NS6_6detail15normal_iteratorINS6_10device_ptrIjEEEENSD_INSE_IS9_EEEEjNS1_19radix_merge_compareILb0ELb1EjNS0_19identity_decomposerEEEEE10hipError_tT0_T1_T2_jT3_P12ihipStream_tbPNSt15iterator_traitsISN_E10value_typeEPNST_ISO_E10value_typeEPSP_NS1_7vsmem_tEENKUlT_SN_SO_SP_E_clISG_PjSI_PS9_EESM_S12_SN_SO_SP_EUlS12_E1_NS1_11comp_targetILNS1_3genE2ELNS1_11target_archE906ELNS1_3gpuE6ELNS1_3repE0EEENS1_36merge_oddeven_config_static_selectorELNS0_4arch9wavefront6targetE0EEEvSO_
	.globl	_ZN7rocprim17ROCPRIM_400000_NS6detail17trampoline_kernelINS0_14default_configENS1_38merge_sort_block_merge_config_selectorIjN6thrust23THRUST_200600_302600_NS5tupleIffNS6_9null_typeES8_S8_S8_S8_S8_S8_S8_EEEEZZNS1_27merge_sort_block_merge_implIS3_NS6_6detail15normal_iteratorINS6_10device_ptrIjEEEENSD_INSE_IS9_EEEEjNS1_19radix_merge_compareILb0ELb1EjNS0_19identity_decomposerEEEEE10hipError_tT0_T1_T2_jT3_P12ihipStream_tbPNSt15iterator_traitsISN_E10value_typeEPNST_ISO_E10value_typeEPSP_NS1_7vsmem_tEENKUlT_SN_SO_SP_E_clISG_PjSI_PS9_EESM_S12_SN_SO_SP_EUlS12_E1_NS1_11comp_targetILNS1_3genE2ELNS1_11target_archE906ELNS1_3gpuE6ELNS1_3repE0EEENS1_36merge_oddeven_config_static_selectorELNS0_4arch9wavefront6targetE0EEEvSO_
	.p2align	8
	.type	_ZN7rocprim17ROCPRIM_400000_NS6detail17trampoline_kernelINS0_14default_configENS1_38merge_sort_block_merge_config_selectorIjN6thrust23THRUST_200600_302600_NS5tupleIffNS6_9null_typeES8_S8_S8_S8_S8_S8_S8_EEEEZZNS1_27merge_sort_block_merge_implIS3_NS6_6detail15normal_iteratorINS6_10device_ptrIjEEEENSD_INSE_IS9_EEEEjNS1_19radix_merge_compareILb0ELb1EjNS0_19identity_decomposerEEEEE10hipError_tT0_T1_T2_jT3_P12ihipStream_tbPNSt15iterator_traitsISN_E10value_typeEPNST_ISO_E10value_typeEPSP_NS1_7vsmem_tEENKUlT_SN_SO_SP_E_clISG_PjSI_PS9_EESM_S12_SN_SO_SP_EUlS12_E1_NS1_11comp_targetILNS1_3genE2ELNS1_11target_archE906ELNS1_3gpuE6ELNS1_3repE0EEENS1_36merge_oddeven_config_static_selectorELNS0_4arch9wavefront6targetE0EEEvSO_,@function
_ZN7rocprim17ROCPRIM_400000_NS6detail17trampoline_kernelINS0_14default_configENS1_38merge_sort_block_merge_config_selectorIjN6thrust23THRUST_200600_302600_NS5tupleIffNS6_9null_typeES8_S8_S8_S8_S8_S8_S8_EEEEZZNS1_27merge_sort_block_merge_implIS3_NS6_6detail15normal_iteratorINS6_10device_ptrIjEEEENSD_INSE_IS9_EEEEjNS1_19radix_merge_compareILb0ELb1EjNS0_19identity_decomposerEEEEE10hipError_tT0_T1_T2_jT3_P12ihipStream_tbPNSt15iterator_traitsISN_E10value_typeEPNST_ISO_E10value_typeEPSP_NS1_7vsmem_tEENKUlT_SN_SO_SP_E_clISG_PjSI_PS9_EESM_S12_SN_SO_SP_EUlS12_E1_NS1_11comp_targetILNS1_3genE2ELNS1_11target_archE906ELNS1_3gpuE6ELNS1_3repE0EEENS1_36merge_oddeven_config_static_selectorELNS0_4arch9wavefront6targetE0EEEvSO_: ; @_ZN7rocprim17ROCPRIM_400000_NS6detail17trampoline_kernelINS0_14default_configENS1_38merge_sort_block_merge_config_selectorIjN6thrust23THRUST_200600_302600_NS5tupleIffNS6_9null_typeES8_S8_S8_S8_S8_S8_S8_EEEEZZNS1_27merge_sort_block_merge_implIS3_NS6_6detail15normal_iteratorINS6_10device_ptrIjEEEENSD_INSE_IS9_EEEEjNS1_19radix_merge_compareILb0ELb1EjNS0_19identity_decomposerEEEEE10hipError_tT0_T1_T2_jT3_P12ihipStream_tbPNSt15iterator_traitsISN_E10value_typeEPNST_ISO_E10value_typeEPSP_NS1_7vsmem_tEENKUlT_SN_SO_SP_E_clISG_PjSI_PS9_EESM_S12_SN_SO_SP_EUlS12_E1_NS1_11comp_targetILNS1_3genE2ELNS1_11target_archE906ELNS1_3gpuE6ELNS1_3repE0EEENS1_36merge_oddeven_config_static_selectorELNS0_4arch9wavefront6targetE0EEEvSO_
; %bb.0:
	.section	.rodata,"a",@progbits
	.p2align	6, 0x0
	.amdhsa_kernel _ZN7rocprim17ROCPRIM_400000_NS6detail17trampoline_kernelINS0_14default_configENS1_38merge_sort_block_merge_config_selectorIjN6thrust23THRUST_200600_302600_NS5tupleIffNS6_9null_typeES8_S8_S8_S8_S8_S8_S8_EEEEZZNS1_27merge_sort_block_merge_implIS3_NS6_6detail15normal_iteratorINS6_10device_ptrIjEEEENSD_INSE_IS9_EEEEjNS1_19radix_merge_compareILb0ELb1EjNS0_19identity_decomposerEEEEE10hipError_tT0_T1_T2_jT3_P12ihipStream_tbPNSt15iterator_traitsISN_E10value_typeEPNST_ISO_E10value_typeEPSP_NS1_7vsmem_tEENKUlT_SN_SO_SP_E_clISG_PjSI_PS9_EESM_S12_SN_SO_SP_EUlS12_E1_NS1_11comp_targetILNS1_3genE2ELNS1_11target_archE906ELNS1_3gpuE6ELNS1_3repE0EEENS1_36merge_oddeven_config_static_selectorELNS0_4arch9wavefront6targetE0EEEvSO_
		.amdhsa_group_segment_fixed_size 0
		.amdhsa_private_segment_fixed_size 0
		.amdhsa_kernarg_size 48
		.amdhsa_user_sgpr_count 2
		.amdhsa_user_sgpr_dispatch_ptr 0
		.amdhsa_user_sgpr_queue_ptr 0
		.amdhsa_user_sgpr_kernarg_segment_ptr 1
		.amdhsa_user_sgpr_dispatch_id 0
		.amdhsa_user_sgpr_kernarg_preload_length 0
		.amdhsa_user_sgpr_kernarg_preload_offset 0
		.amdhsa_user_sgpr_private_segment_size 0
		.amdhsa_wavefront_size32 1
		.amdhsa_uses_dynamic_stack 0
		.amdhsa_enable_private_segment 0
		.amdhsa_system_sgpr_workgroup_id_x 1
		.amdhsa_system_sgpr_workgroup_id_y 0
		.amdhsa_system_sgpr_workgroup_id_z 0
		.amdhsa_system_sgpr_workgroup_info 0
		.amdhsa_system_vgpr_workitem_id 0
		.amdhsa_next_free_vgpr 1
		.amdhsa_next_free_sgpr 1
		.amdhsa_named_barrier_count 0
		.amdhsa_reserve_vcc 0
		.amdhsa_float_round_mode_32 0
		.amdhsa_float_round_mode_16_64 0
		.amdhsa_float_denorm_mode_32 3
		.amdhsa_float_denorm_mode_16_64 3
		.amdhsa_fp16_overflow 0
		.amdhsa_memory_ordered 1
		.amdhsa_forward_progress 1
		.amdhsa_inst_pref_size 0
		.amdhsa_round_robin_scheduling 0
		.amdhsa_exception_fp_ieee_invalid_op 0
		.amdhsa_exception_fp_denorm_src 0
		.amdhsa_exception_fp_ieee_div_zero 0
		.amdhsa_exception_fp_ieee_overflow 0
		.amdhsa_exception_fp_ieee_underflow 0
		.amdhsa_exception_fp_ieee_inexact 0
		.amdhsa_exception_int_div_zero 0
	.end_amdhsa_kernel
	.section	.text._ZN7rocprim17ROCPRIM_400000_NS6detail17trampoline_kernelINS0_14default_configENS1_38merge_sort_block_merge_config_selectorIjN6thrust23THRUST_200600_302600_NS5tupleIffNS6_9null_typeES8_S8_S8_S8_S8_S8_S8_EEEEZZNS1_27merge_sort_block_merge_implIS3_NS6_6detail15normal_iteratorINS6_10device_ptrIjEEEENSD_INSE_IS9_EEEEjNS1_19radix_merge_compareILb0ELb1EjNS0_19identity_decomposerEEEEE10hipError_tT0_T1_T2_jT3_P12ihipStream_tbPNSt15iterator_traitsISN_E10value_typeEPNST_ISO_E10value_typeEPSP_NS1_7vsmem_tEENKUlT_SN_SO_SP_E_clISG_PjSI_PS9_EESM_S12_SN_SO_SP_EUlS12_E1_NS1_11comp_targetILNS1_3genE2ELNS1_11target_archE906ELNS1_3gpuE6ELNS1_3repE0EEENS1_36merge_oddeven_config_static_selectorELNS0_4arch9wavefront6targetE0EEEvSO_,"axG",@progbits,_ZN7rocprim17ROCPRIM_400000_NS6detail17trampoline_kernelINS0_14default_configENS1_38merge_sort_block_merge_config_selectorIjN6thrust23THRUST_200600_302600_NS5tupleIffNS6_9null_typeES8_S8_S8_S8_S8_S8_S8_EEEEZZNS1_27merge_sort_block_merge_implIS3_NS6_6detail15normal_iteratorINS6_10device_ptrIjEEEENSD_INSE_IS9_EEEEjNS1_19radix_merge_compareILb0ELb1EjNS0_19identity_decomposerEEEEE10hipError_tT0_T1_T2_jT3_P12ihipStream_tbPNSt15iterator_traitsISN_E10value_typeEPNST_ISO_E10value_typeEPSP_NS1_7vsmem_tEENKUlT_SN_SO_SP_E_clISG_PjSI_PS9_EESM_S12_SN_SO_SP_EUlS12_E1_NS1_11comp_targetILNS1_3genE2ELNS1_11target_archE906ELNS1_3gpuE6ELNS1_3repE0EEENS1_36merge_oddeven_config_static_selectorELNS0_4arch9wavefront6targetE0EEEvSO_,comdat
.Lfunc_end136:
	.size	_ZN7rocprim17ROCPRIM_400000_NS6detail17trampoline_kernelINS0_14default_configENS1_38merge_sort_block_merge_config_selectorIjN6thrust23THRUST_200600_302600_NS5tupleIffNS6_9null_typeES8_S8_S8_S8_S8_S8_S8_EEEEZZNS1_27merge_sort_block_merge_implIS3_NS6_6detail15normal_iteratorINS6_10device_ptrIjEEEENSD_INSE_IS9_EEEEjNS1_19radix_merge_compareILb0ELb1EjNS0_19identity_decomposerEEEEE10hipError_tT0_T1_T2_jT3_P12ihipStream_tbPNSt15iterator_traitsISN_E10value_typeEPNST_ISO_E10value_typeEPSP_NS1_7vsmem_tEENKUlT_SN_SO_SP_E_clISG_PjSI_PS9_EESM_S12_SN_SO_SP_EUlS12_E1_NS1_11comp_targetILNS1_3genE2ELNS1_11target_archE906ELNS1_3gpuE6ELNS1_3repE0EEENS1_36merge_oddeven_config_static_selectorELNS0_4arch9wavefront6targetE0EEEvSO_, .Lfunc_end136-_ZN7rocprim17ROCPRIM_400000_NS6detail17trampoline_kernelINS0_14default_configENS1_38merge_sort_block_merge_config_selectorIjN6thrust23THRUST_200600_302600_NS5tupleIffNS6_9null_typeES8_S8_S8_S8_S8_S8_S8_EEEEZZNS1_27merge_sort_block_merge_implIS3_NS6_6detail15normal_iteratorINS6_10device_ptrIjEEEENSD_INSE_IS9_EEEEjNS1_19radix_merge_compareILb0ELb1EjNS0_19identity_decomposerEEEEE10hipError_tT0_T1_T2_jT3_P12ihipStream_tbPNSt15iterator_traitsISN_E10value_typeEPNST_ISO_E10value_typeEPSP_NS1_7vsmem_tEENKUlT_SN_SO_SP_E_clISG_PjSI_PS9_EESM_S12_SN_SO_SP_EUlS12_E1_NS1_11comp_targetILNS1_3genE2ELNS1_11target_archE906ELNS1_3gpuE6ELNS1_3repE0EEENS1_36merge_oddeven_config_static_selectorELNS0_4arch9wavefront6targetE0EEEvSO_
                                        ; -- End function
	.set _ZN7rocprim17ROCPRIM_400000_NS6detail17trampoline_kernelINS0_14default_configENS1_38merge_sort_block_merge_config_selectorIjN6thrust23THRUST_200600_302600_NS5tupleIffNS6_9null_typeES8_S8_S8_S8_S8_S8_S8_EEEEZZNS1_27merge_sort_block_merge_implIS3_NS6_6detail15normal_iteratorINS6_10device_ptrIjEEEENSD_INSE_IS9_EEEEjNS1_19radix_merge_compareILb0ELb1EjNS0_19identity_decomposerEEEEE10hipError_tT0_T1_T2_jT3_P12ihipStream_tbPNSt15iterator_traitsISN_E10value_typeEPNST_ISO_E10value_typeEPSP_NS1_7vsmem_tEENKUlT_SN_SO_SP_E_clISG_PjSI_PS9_EESM_S12_SN_SO_SP_EUlS12_E1_NS1_11comp_targetILNS1_3genE2ELNS1_11target_archE906ELNS1_3gpuE6ELNS1_3repE0EEENS1_36merge_oddeven_config_static_selectorELNS0_4arch9wavefront6targetE0EEEvSO_.num_vgpr, 0
	.set _ZN7rocprim17ROCPRIM_400000_NS6detail17trampoline_kernelINS0_14default_configENS1_38merge_sort_block_merge_config_selectorIjN6thrust23THRUST_200600_302600_NS5tupleIffNS6_9null_typeES8_S8_S8_S8_S8_S8_S8_EEEEZZNS1_27merge_sort_block_merge_implIS3_NS6_6detail15normal_iteratorINS6_10device_ptrIjEEEENSD_INSE_IS9_EEEEjNS1_19radix_merge_compareILb0ELb1EjNS0_19identity_decomposerEEEEE10hipError_tT0_T1_T2_jT3_P12ihipStream_tbPNSt15iterator_traitsISN_E10value_typeEPNST_ISO_E10value_typeEPSP_NS1_7vsmem_tEENKUlT_SN_SO_SP_E_clISG_PjSI_PS9_EESM_S12_SN_SO_SP_EUlS12_E1_NS1_11comp_targetILNS1_3genE2ELNS1_11target_archE906ELNS1_3gpuE6ELNS1_3repE0EEENS1_36merge_oddeven_config_static_selectorELNS0_4arch9wavefront6targetE0EEEvSO_.num_agpr, 0
	.set _ZN7rocprim17ROCPRIM_400000_NS6detail17trampoline_kernelINS0_14default_configENS1_38merge_sort_block_merge_config_selectorIjN6thrust23THRUST_200600_302600_NS5tupleIffNS6_9null_typeES8_S8_S8_S8_S8_S8_S8_EEEEZZNS1_27merge_sort_block_merge_implIS3_NS6_6detail15normal_iteratorINS6_10device_ptrIjEEEENSD_INSE_IS9_EEEEjNS1_19radix_merge_compareILb0ELb1EjNS0_19identity_decomposerEEEEE10hipError_tT0_T1_T2_jT3_P12ihipStream_tbPNSt15iterator_traitsISN_E10value_typeEPNST_ISO_E10value_typeEPSP_NS1_7vsmem_tEENKUlT_SN_SO_SP_E_clISG_PjSI_PS9_EESM_S12_SN_SO_SP_EUlS12_E1_NS1_11comp_targetILNS1_3genE2ELNS1_11target_archE906ELNS1_3gpuE6ELNS1_3repE0EEENS1_36merge_oddeven_config_static_selectorELNS0_4arch9wavefront6targetE0EEEvSO_.numbered_sgpr, 0
	.set _ZN7rocprim17ROCPRIM_400000_NS6detail17trampoline_kernelINS0_14default_configENS1_38merge_sort_block_merge_config_selectorIjN6thrust23THRUST_200600_302600_NS5tupleIffNS6_9null_typeES8_S8_S8_S8_S8_S8_S8_EEEEZZNS1_27merge_sort_block_merge_implIS3_NS6_6detail15normal_iteratorINS6_10device_ptrIjEEEENSD_INSE_IS9_EEEEjNS1_19radix_merge_compareILb0ELb1EjNS0_19identity_decomposerEEEEE10hipError_tT0_T1_T2_jT3_P12ihipStream_tbPNSt15iterator_traitsISN_E10value_typeEPNST_ISO_E10value_typeEPSP_NS1_7vsmem_tEENKUlT_SN_SO_SP_E_clISG_PjSI_PS9_EESM_S12_SN_SO_SP_EUlS12_E1_NS1_11comp_targetILNS1_3genE2ELNS1_11target_archE906ELNS1_3gpuE6ELNS1_3repE0EEENS1_36merge_oddeven_config_static_selectorELNS0_4arch9wavefront6targetE0EEEvSO_.num_named_barrier, 0
	.set _ZN7rocprim17ROCPRIM_400000_NS6detail17trampoline_kernelINS0_14default_configENS1_38merge_sort_block_merge_config_selectorIjN6thrust23THRUST_200600_302600_NS5tupleIffNS6_9null_typeES8_S8_S8_S8_S8_S8_S8_EEEEZZNS1_27merge_sort_block_merge_implIS3_NS6_6detail15normal_iteratorINS6_10device_ptrIjEEEENSD_INSE_IS9_EEEEjNS1_19radix_merge_compareILb0ELb1EjNS0_19identity_decomposerEEEEE10hipError_tT0_T1_T2_jT3_P12ihipStream_tbPNSt15iterator_traitsISN_E10value_typeEPNST_ISO_E10value_typeEPSP_NS1_7vsmem_tEENKUlT_SN_SO_SP_E_clISG_PjSI_PS9_EESM_S12_SN_SO_SP_EUlS12_E1_NS1_11comp_targetILNS1_3genE2ELNS1_11target_archE906ELNS1_3gpuE6ELNS1_3repE0EEENS1_36merge_oddeven_config_static_selectorELNS0_4arch9wavefront6targetE0EEEvSO_.private_seg_size, 0
	.set _ZN7rocprim17ROCPRIM_400000_NS6detail17trampoline_kernelINS0_14default_configENS1_38merge_sort_block_merge_config_selectorIjN6thrust23THRUST_200600_302600_NS5tupleIffNS6_9null_typeES8_S8_S8_S8_S8_S8_S8_EEEEZZNS1_27merge_sort_block_merge_implIS3_NS6_6detail15normal_iteratorINS6_10device_ptrIjEEEENSD_INSE_IS9_EEEEjNS1_19radix_merge_compareILb0ELb1EjNS0_19identity_decomposerEEEEE10hipError_tT0_T1_T2_jT3_P12ihipStream_tbPNSt15iterator_traitsISN_E10value_typeEPNST_ISO_E10value_typeEPSP_NS1_7vsmem_tEENKUlT_SN_SO_SP_E_clISG_PjSI_PS9_EESM_S12_SN_SO_SP_EUlS12_E1_NS1_11comp_targetILNS1_3genE2ELNS1_11target_archE906ELNS1_3gpuE6ELNS1_3repE0EEENS1_36merge_oddeven_config_static_selectorELNS0_4arch9wavefront6targetE0EEEvSO_.uses_vcc, 0
	.set _ZN7rocprim17ROCPRIM_400000_NS6detail17trampoline_kernelINS0_14default_configENS1_38merge_sort_block_merge_config_selectorIjN6thrust23THRUST_200600_302600_NS5tupleIffNS6_9null_typeES8_S8_S8_S8_S8_S8_S8_EEEEZZNS1_27merge_sort_block_merge_implIS3_NS6_6detail15normal_iteratorINS6_10device_ptrIjEEEENSD_INSE_IS9_EEEEjNS1_19radix_merge_compareILb0ELb1EjNS0_19identity_decomposerEEEEE10hipError_tT0_T1_T2_jT3_P12ihipStream_tbPNSt15iterator_traitsISN_E10value_typeEPNST_ISO_E10value_typeEPSP_NS1_7vsmem_tEENKUlT_SN_SO_SP_E_clISG_PjSI_PS9_EESM_S12_SN_SO_SP_EUlS12_E1_NS1_11comp_targetILNS1_3genE2ELNS1_11target_archE906ELNS1_3gpuE6ELNS1_3repE0EEENS1_36merge_oddeven_config_static_selectorELNS0_4arch9wavefront6targetE0EEEvSO_.uses_flat_scratch, 0
	.set _ZN7rocprim17ROCPRIM_400000_NS6detail17trampoline_kernelINS0_14default_configENS1_38merge_sort_block_merge_config_selectorIjN6thrust23THRUST_200600_302600_NS5tupleIffNS6_9null_typeES8_S8_S8_S8_S8_S8_S8_EEEEZZNS1_27merge_sort_block_merge_implIS3_NS6_6detail15normal_iteratorINS6_10device_ptrIjEEEENSD_INSE_IS9_EEEEjNS1_19radix_merge_compareILb0ELb1EjNS0_19identity_decomposerEEEEE10hipError_tT0_T1_T2_jT3_P12ihipStream_tbPNSt15iterator_traitsISN_E10value_typeEPNST_ISO_E10value_typeEPSP_NS1_7vsmem_tEENKUlT_SN_SO_SP_E_clISG_PjSI_PS9_EESM_S12_SN_SO_SP_EUlS12_E1_NS1_11comp_targetILNS1_3genE2ELNS1_11target_archE906ELNS1_3gpuE6ELNS1_3repE0EEENS1_36merge_oddeven_config_static_selectorELNS0_4arch9wavefront6targetE0EEEvSO_.has_dyn_sized_stack, 0
	.set _ZN7rocprim17ROCPRIM_400000_NS6detail17trampoline_kernelINS0_14default_configENS1_38merge_sort_block_merge_config_selectorIjN6thrust23THRUST_200600_302600_NS5tupleIffNS6_9null_typeES8_S8_S8_S8_S8_S8_S8_EEEEZZNS1_27merge_sort_block_merge_implIS3_NS6_6detail15normal_iteratorINS6_10device_ptrIjEEEENSD_INSE_IS9_EEEEjNS1_19radix_merge_compareILb0ELb1EjNS0_19identity_decomposerEEEEE10hipError_tT0_T1_T2_jT3_P12ihipStream_tbPNSt15iterator_traitsISN_E10value_typeEPNST_ISO_E10value_typeEPSP_NS1_7vsmem_tEENKUlT_SN_SO_SP_E_clISG_PjSI_PS9_EESM_S12_SN_SO_SP_EUlS12_E1_NS1_11comp_targetILNS1_3genE2ELNS1_11target_archE906ELNS1_3gpuE6ELNS1_3repE0EEENS1_36merge_oddeven_config_static_selectorELNS0_4arch9wavefront6targetE0EEEvSO_.has_recursion, 0
	.set _ZN7rocprim17ROCPRIM_400000_NS6detail17trampoline_kernelINS0_14default_configENS1_38merge_sort_block_merge_config_selectorIjN6thrust23THRUST_200600_302600_NS5tupleIffNS6_9null_typeES8_S8_S8_S8_S8_S8_S8_EEEEZZNS1_27merge_sort_block_merge_implIS3_NS6_6detail15normal_iteratorINS6_10device_ptrIjEEEENSD_INSE_IS9_EEEEjNS1_19radix_merge_compareILb0ELb1EjNS0_19identity_decomposerEEEEE10hipError_tT0_T1_T2_jT3_P12ihipStream_tbPNSt15iterator_traitsISN_E10value_typeEPNST_ISO_E10value_typeEPSP_NS1_7vsmem_tEENKUlT_SN_SO_SP_E_clISG_PjSI_PS9_EESM_S12_SN_SO_SP_EUlS12_E1_NS1_11comp_targetILNS1_3genE2ELNS1_11target_archE906ELNS1_3gpuE6ELNS1_3repE0EEENS1_36merge_oddeven_config_static_selectorELNS0_4arch9wavefront6targetE0EEEvSO_.has_indirect_call, 0
	.section	.AMDGPU.csdata,"",@progbits
; Kernel info:
; codeLenInByte = 0
; TotalNumSgprs: 0
; NumVgprs: 0
; ScratchSize: 0
; MemoryBound: 0
; FloatMode: 240
; IeeeMode: 1
; LDSByteSize: 0 bytes/workgroup (compile time only)
; SGPRBlocks: 0
; VGPRBlocks: 0
; NumSGPRsForWavesPerEU: 1
; NumVGPRsForWavesPerEU: 1
; NamedBarCnt: 0
; Occupancy: 16
; WaveLimiterHint : 0
; COMPUTE_PGM_RSRC2:SCRATCH_EN: 0
; COMPUTE_PGM_RSRC2:USER_SGPR: 2
; COMPUTE_PGM_RSRC2:TRAP_HANDLER: 0
; COMPUTE_PGM_RSRC2:TGID_X_EN: 1
; COMPUTE_PGM_RSRC2:TGID_Y_EN: 0
; COMPUTE_PGM_RSRC2:TGID_Z_EN: 0
; COMPUTE_PGM_RSRC2:TIDIG_COMP_CNT: 0
	.section	.text._ZN7rocprim17ROCPRIM_400000_NS6detail17trampoline_kernelINS0_14default_configENS1_38merge_sort_block_merge_config_selectorIjN6thrust23THRUST_200600_302600_NS5tupleIffNS6_9null_typeES8_S8_S8_S8_S8_S8_S8_EEEEZZNS1_27merge_sort_block_merge_implIS3_NS6_6detail15normal_iteratorINS6_10device_ptrIjEEEENSD_INSE_IS9_EEEEjNS1_19radix_merge_compareILb0ELb1EjNS0_19identity_decomposerEEEEE10hipError_tT0_T1_T2_jT3_P12ihipStream_tbPNSt15iterator_traitsISN_E10value_typeEPNST_ISO_E10value_typeEPSP_NS1_7vsmem_tEENKUlT_SN_SO_SP_E_clISG_PjSI_PS9_EESM_S12_SN_SO_SP_EUlS12_E1_NS1_11comp_targetILNS1_3genE9ELNS1_11target_archE1100ELNS1_3gpuE3ELNS1_3repE0EEENS1_36merge_oddeven_config_static_selectorELNS0_4arch9wavefront6targetE0EEEvSO_,"axG",@progbits,_ZN7rocprim17ROCPRIM_400000_NS6detail17trampoline_kernelINS0_14default_configENS1_38merge_sort_block_merge_config_selectorIjN6thrust23THRUST_200600_302600_NS5tupleIffNS6_9null_typeES8_S8_S8_S8_S8_S8_S8_EEEEZZNS1_27merge_sort_block_merge_implIS3_NS6_6detail15normal_iteratorINS6_10device_ptrIjEEEENSD_INSE_IS9_EEEEjNS1_19radix_merge_compareILb0ELb1EjNS0_19identity_decomposerEEEEE10hipError_tT0_T1_T2_jT3_P12ihipStream_tbPNSt15iterator_traitsISN_E10value_typeEPNST_ISO_E10value_typeEPSP_NS1_7vsmem_tEENKUlT_SN_SO_SP_E_clISG_PjSI_PS9_EESM_S12_SN_SO_SP_EUlS12_E1_NS1_11comp_targetILNS1_3genE9ELNS1_11target_archE1100ELNS1_3gpuE3ELNS1_3repE0EEENS1_36merge_oddeven_config_static_selectorELNS0_4arch9wavefront6targetE0EEEvSO_,comdat
	.protected	_ZN7rocprim17ROCPRIM_400000_NS6detail17trampoline_kernelINS0_14default_configENS1_38merge_sort_block_merge_config_selectorIjN6thrust23THRUST_200600_302600_NS5tupleIffNS6_9null_typeES8_S8_S8_S8_S8_S8_S8_EEEEZZNS1_27merge_sort_block_merge_implIS3_NS6_6detail15normal_iteratorINS6_10device_ptrIjEEEENSD_INSE_IS9_EEEEjNS1_19radix_merge_compareILb0ELb1EjNS0_19identity_decomposerEEEEE10hipError_tT0_T1_T2_jT3_P12ihipStream_tbPNSt15iterator_traitsISN_E10value_typeEPNST_ISO_E10value_typeEPSP_NS1_7vsmem_tEENKUlT_SN_SO_SP_E_clISG_PjSI_PS9_EESM_S12_SN_SO_SP_EUlS12_E1_NS1_11comp_targetILNS1_3genE9ELNS1_11target_archE1100ELNS1_3gpuE3ELNS1_3repE0EEENS1_36merge_oddeven_config_static_selectorELNS0_4arch9wavefront6targetE0EEEvSO_ ; -- Begin function _ZN7rocprim17ROCPRIM_400000_NS6detail17trampoline_kernelINS0_14default_configENS1_38merge_sort_block_merge_config_selectorIjN6thrust23THRUST_200600_302600_NS5tupleIffNS6_9null_typeES8_S8_S8_S8_S8_S8_S8_EEEEZZNS1_27merge_sort_block_merge_implIS3_NS6_6detail15normal_iteratorINS6_10device_ptrIjEEEENSD_INSE_IS9_EEEEjNS1_19radix_merge_compareILb0ELb1EjNS0_19identity_decomposerEEEEE10hipError_tT0_T1_T2_jT3_P12ihipStream_tbPNSt15iterator_traitsISN_E10value_typeEPNST_ISO_E10value_typeEPSP_NS1_7vsmem_tEENKUlT_SN_SO_SP_E_clISG_PjSI_PS9_EESM_S12_SN_SO_SP_EUlS12_E1_NS1_11comp_targetILNS1_3genE9ELNS1_11target_archE1100ELNS1_3gpuE3ELNS1_3repE0EEENS1_36merge_oddeven_config_static_selectorELNS0_4arch9wavefront6targetE0EEEvSO_
	.globl	_ZN7rocprim17ROCPRIM_400000_NS6detail17trampoline_kernelINS0_14default_configENS1_38merge_sort_block_merge_config_selectorIjN6thrust23THRUST_200600_302600_NS5tupleIffNS6_9null_typeES8_S8_S8_S8_S8_S8_S8_EEEEZZNS1_27merge_sort_block_merge_implIS3_NS6_6detail15normal_iteratorINS6_10device_ptrIjEEEENSD_INSE_IS9_EEEEjNS1_19radix_merge_compareILb0ELb1EjNS0_19identity_decomposerEEEEE10hipError_tT0_T1_T2_jT3_P12ihipStream_tbPNSt15iterator_traitsISN_E10value_typeEPNST_ISO_E10value_typeEPSP_NS1_7vsmem_tEENKUlT_SN_SO_SP_E_clISG_PjSI_PS9_EESM_S12_SN_SO_SP_EUlS12_E1_NS1_11comp_targetILNS1_3genE9ELNS1_11target_archE1100ELNS1_3gpuE3ELNS1_3repE0EEENS1_36merge_oddeven_config_static_selectorELNS0_4arch9wavefront6targetE0EEEvSO_
	.p2align	8
	.type	_ZN7rocprim17ROCPRIM_400000_NS6detail17trampoline_kernelINS0_14default_configENS1_38merge_sort_block_merge_config_selectorIjN6thrust23THRUST_200600_302600_NS5tupleIffNS6_9null_typeES8_S8_S8_S8_S8_S8_S8_EEEEZZNS1_27merge_sort_block_merge_implIS3_NS6_6detail15normal_iteratorINS6_10device_ptrIjEEEENSD_INSE_IS9_EEEEjNS1_19radix_merge_compareILb0ELb1EjNS0_19identity_decomposerEEEEE10hipError_tT0_T1_T2_jT3_P12ihipStream_tbPNSt15iterator_traitsISN_E10value_typeEPNST_ISO_E10value_typeEPSP_NS1_7vsmem_tEENKUlT_SN_SO_SP_E_clISG_PjSI_PS9_EESM_S12_SN_SO_SP_EUlS12_E1_NS1_11comp_targetILNS1_3genE9ELNS1_11target_archE1100ELNS1_3gpuE3ELNS1_3repE0EEENS1_36merge_oddeven_config_static_selectorELNS0_4arch9wavefront6targetE0EEEvSO_,@function
_ZN7rocprim17ROCPRIM_400000_NS6detail17trampoline_kernelINS0_14default_configENS1_38merge_sort_block_merge_config_selectorIjN6thrust23THRUST_200600_302600_NS5tupleIffNS6_9null_typeES8_S8_S8_S8_S8_S8_S8_EEEEZZNS1_27merge_sort_block_merge_implIS3_NS6_6detail15normal_iteratorINS6_10device_ptrIjEEEENSD_INSE_IS9_EEEEjNS1_19radix_merge_compareILb0ELb1EjNS0_19identity_decomposerEEEEE10hipError_tT0_T1_T2_jT3_P12ihipStream_tbPNSt15iterator_traitsISN_E10value_typeEPNST_ISO_E10value_typeEPSP_NS1_7vsmem_tEENKUlT_SN_SO_SP_E_clISG_PjSI_PS9_EESM_S12_SN_SO_SP_EUlS12_E1_NS1_11comp_targetILNS1_3genE9ELNS1_11target_archE1100ELNS1_3gpuE3ELNS1_3repE0EEENS1_36merge_oddeven_config_static_selectorELNS0_4arch9wavefront6targetE0EEEvSO_: ; @_ZN7rocprim17ROCPRIM_400000_NS6detail17trampoline_kernelINS0_14default_configENS1_38merge_sort_block_merge_config_selectorIjN6thrust23THRUST_200600_302600_NS5tupleIffNS6_9null_typeES8_S8_S8_S8_S8_S8_S8_EEEEZZNS1_27merge_sort_block_merge_implIS3_NS6_6detail15normal_iteratorINS6_10device_ptrIjEEEENSD_INSE_IS9_EEEEjNS1_19radix_merge_compareILb0ELb1EjNS0_19identity_decomposerEEEEE10hipError_tT0_T1_T2_jT3_P12ihipStream_tbPNSt15iterator_traitsISN_E10value_typeEPNST_ISO_E10value_typeEPSP_NS1_7vsmem_tEENKUlT_SN_SO_SP_E_clISG_PjSI_PS9_EESM_S12_SN_SO_SP_EUlS12_E1_NS1_11comp_targetILNS1_3genE9ELNS1_11target_archE1100ELNS1_3gpuE3ELNS1_3repE0EEENS1_36merge_oddeven_config_static_selectorELNS0_4arch9wavefront6targetE0EEEvSO_
; %bb.0:
	.section	.rodata,"a",@progbits
	.p2align	6, 0x0
	.amdhsa_kernel _ZN7rocprim17ROCPRIM_400000_NS6detail17trampoline_kernelINS0_14default_configENS1_38merge_sort_block_merge_config_selectorIjN6thrust23THRUST_200600_302600_NS5tupleIffNS6_9null_typeES8_S8_S8_S8_S8_S8_S8_EEEEZZNS1_27merge_sort_block_merge_implIS3_NS6_6detail15normal_iteratorINS6_10device_ptrIjEEEENSD_INSE_IS9_EEEEjNS1_19radix_merge_compareILb0ELb1EjNS0_19identity_decomposerEEEEE10hipError_tT0_T1_T2_jT3_P12ihipStream_tbPNSt15iterator_traitsISN_E10value_typeEPNST_ISO_E10value_typeEPSP_NS1_7vsmem_tEENKUlT_SN_SO_SP_E_clISG_PjSI_PS9_EESM_S12_SN_SO_SP_EUlS12_E1_NS1_11comp_targetILNS1_3genE9ELNS1_11target_archE1100ELNS1_3gpuE3ELNS1_3repE0EEENS1_36merge_oddeven_config_static_selectorELNS0_4arch9wavefront6targetE0EEEvSO_
		.amdhsa_group_segment_fixed_size 0
		.amdhsa_private_segment_fixed_size 0
		.amdhsa_kernarg_size 48
		.amdhsa_user_sgpr_count 2
		.amdhsa_user_sgpr_dispatch_ptr 0
		.amdhsa_user_sgpr_queue_ptr 0
		.amdhsa_user_sgpr_kernarg_segment_ptr 1
		.amdhsa_user_sgpr_dispatch_id 0
		.amdhsa_user_sgpr_kernarg_preload_length 0
		.amdhsa_user_sgpr_kernarg_preload_offset 0
		.amdhsa_user_sgpr_private_segment_size 0
		.amdhsa_wavefront_size32 1
		.amdhsa_uses_dynamic_stack 0
		.amdhsa_enable_private_segment 0
		.amdhsa_system_sgpr_workgroup_id_x 1
		.amdhsa_system_sgpr_workgroup_id_y 0
		.amdhsa_system_sgpr_workgroup_id_z 0
		.amdhsa_system_sgpr_workgroup_info 0
		.amdhsa_system_vgpr_workitem_id 0
		.amdhsa_next_free_vgpr 1
		.amdhsa_next_free_sgpr 1
		.amdhsa_named_barrier_count 0
		.amdhsa_reserve_vcc 0
		.amdhsa_float_round_mode_32 0
		.amdhsa_float_round_mode_16_64 0
		.amdhsa_float_denorm_mode_32 3
		.amdhsa_float_denorm_mode_16_64 3
		.amdhsa_fp16_overflow 0
		.amdhsa_memory_ordered 1
		.amdhsa_forward_progress 1
		.amdhsa_inst_pref_size 0
		.amdhsa_round_robin_scheduling 0
		.amdhsa_exception_fp_ieee_invalid_op 0
		.amdhsa_exception_fp_denorm_src 0
		.amdhsa_exception_fp_ieee_div_zero 0
		.amdhsa_exception_fp_ieee_overflow 0
		.amdhsa_exception_fp_ieee_underflow 0
		.amdhsa_exception_fp_ieee_inexact 0
		.amdhsa_exception_int_div_zero 0
	.end_amdhsa_kernel
	.section	.text._ZN7rocprim17ROCPRIM_400000_NS6detail17trampoline_kernelINS0_14default_configENS1_38merge_sort_block_merge_config_selectorIjN6thrust23THRUST_200600_302600_NS5tupleIffNS6_9null_typeES8_S8_S8_S8_S8_S8_S8_EEEEZZNS1_27merge_sort_block_merge_implIS3_NS6_6detail15normal_iteratorINS6_10device_ptrIjEEEENSD_INSE_IS9_EEEEjNS1_19radix_merge_compareILb0ELb1EjNS0_19identity_decomposerEEEEE10hipError_tT0_T1_T2_jT3_P12ihipStream_tbPNSt15iterator_traitsISN_E10value_typeEPNST_ISO_E10value_typeEPSP_NS1_7vsmem_tEENKUlT_SN_SO_SP_E_clISG_PjSI_PS9_EESM_S12_SN_SO_SP_EUlS12_E1_NS1_11comp_targetILNS1_3genE9ELNS1_11target_archE1100ELNS1_3gpuE3ELNS1_3repE0EEENS1_36merge_oddeven_config_static_selectorELNS0_4arch9wavefront6targetE0EEEvSO_,"axG",@progbits,_ZN7rocprim17ROCPRIM_400000_NS6detail17trampoline_kernelINS0_14default_configENS1_38merge_sort_block_merge_config_selectorIjN6thrust23THRUST_200600_302600_NS5tupleIffNS6_9null_typeES8_S8_S8_S8_S8_S8_S8_EEEEZZNS1_27merge_sort_block_merge_implIS3_NS6_6detail15normal_iteratorINS6_10device_ptrIjEEEENSD_INSE_IS9_EEEEjNS1_19radix_merge_compareILb0ELb1EjNS0_19identity_decomposerEEEEE10hipError_tT0_T1_T2_jT3_P12ihipStream_tbPNSt15iterator_traitsISN_E10value_typeEPNST_ISO_E10value_typeEPSP_NS1_7vsmem_tEENKUlT_SN_SO_SP_E_clISG_PjSI_PS9_EESM_S12_SN_SO_SP_EUlS12_E1_NS1_11comp_targetILNS1_3genE9ELNS1_11target_archE1100ELNS1_3gpuE3ELNS1_3repE0EEENS1_36merge_oddeven_config_static_selectorELNS0_4arch9wavefront6targetE0EEEvSO_,comdat
.Lfunc_end137:
	.size	_ZN7rocprim17ROCPRIM_400000_NS6detail17trampoline_kernelINS0_14default_configENS1_38merge_sort_block_merge_config_selectorIjN6thrust23THRUST_200600_302600_NS5tupleIffNS6_9null_typeES8_S8_S8_S8_S8_S8_S8_EEEEZZNS1_27merge_sort_block_merge_implIS3_NS6_6detail15normal_iteratorINS6_10device_ptrIjEEEENSD_INSE_IS9_EEEEjNS1_19radix_merge_compareILb0ELb1EjNS0_19identity_decomposerEEEEE10hipError_tT0_T1_T2_jT3_P12ihipStream_tbPNSt15iterator_traitsISN_E10value_typeEPNST_ISO_E10value_typeEPSP_NS1_7vsmem_tEENKUlT_SN_SO_SP_E_clISG_PjSI_PS9_EESM_S12_SN_SO_SP_EUlS12_E1_NS1_11comp_targetILNS1_3genE9ELNS1_11target_archE1100ELNS1_3gpuE3ELNS1_3repE0EEENS1_36merge_oddeven_config_static_selectorELNS0_4arch9wavefront6targetE0EEEvSO_, .Lfunc_end137-_ZN7rocprim17ROCPRIM_400000_NS6detail17trampoline_kernelINS0_14default_configENS1_38merge_sort_block_merge_config_selectorIjN6thrust23THRUST_200600_302600_NS5tupleIffNS6_9null_typeES8_S8_S8_S8_S8_S8_S8_EEEEZZNS1_27merge_sort_block_merge_implIS3_NS6_6detail15normal_iteratorINS6_10device_ptrIjEEEENSD_INSE_IS9_EEEEjNS1_19radix_merge_compareILb0ELb1EjNS0_19identity_decomposerEEEEE10hipError_tT0_T1_T2_jT3_P12ihipStream_tbPNSt15iterator_traitsISN_E10value_typeEPNST_ISO_E10value_typeEPSP_NS1_7vsmem_tEENKUlT_SN_SO_SP_E_clISG_PjSI_PS9_EESM_S12_SN_SO_SP_EUlS12_E1_NS1_11comp_targetILNS1_3genE9ELNS1_11target_archE1100ELNS1_3gpuE3ELNS1_3repE0EEENS1_36merge_oddeven_config_static_selectorELNS0_4arch9wavefront6targetE0EEEvSO_
                                        ; -- End function
	.set _ZN7rocprim17ROCPRIM_400000_NS6detail17trampoline_kernelINS0_14default_configENS1_38merge_sort_block_merge_config_selectorIjN6thrust23THRUST_200600_302600_NS5tupleIffNS6_9null_typeES8_S8_S8_S8_S8_S8_S8_EEEEZZNS1_27merge_sort_block_merge_implIS3_NS6_6detail15normal_iteratorINS6_10device_ptrIjEEEENSD_INSE_IS9_EEEEjNS1_19radix_merge_compareILb0ELb1EjNS0_19identity_decomposerEEEEE10hipError_tT0_T1_T2_jT3_P12ihipStream_tbPNSt15iterator_traitsISN_E10value_typeEPNST_ISO_E10value_typeEPSP_NS1_7vsmem_tEENKUlT_SN_SO_SP_E_clISG_PjSI_PS9_EESM_S12_SN_SO_SP_EUlS12_E1_NS1_11comp_targetILNS1_3genE9ELNS1_11target_archE1100ELNS1_3gpuE3ELNS1_3repE0EEENS1_36merge_oddeven_config_static_selectorELNS0_4arch9wavefront6targetE0EEEvSO_.num_vgpr, 0
	.set _ZN7rocprim17ROCPRIM_400000_NS6detail17trampoline_kernelINS0_14default_configENS1_38merge_sort_block_merge_config_selectorIjN6thrust23THRUST_200600_302600_NS5tupleIffNS6_9null_typeES8_S8_S8_S8_S8_S8_S8_EEEEZZNS1_27merge_sort_block_merge_implIS3_NS6_6detail15normal_iteratorINS6_10device_ptrIjEEEENSD_INSE_IS9_EEEEjNS1_19radix_merge_compareILb0ELb1EjNS0_19identity_decomposerEEEEE10hipError_tT0_T1_T2_jT3_P12ihipStream_tbPNSt15iterator_traitsISN_E10value_typeEPNST_ISO_E10value_typeEPSP_NS1_7vsmem_tEENKUlT_SN_SO_SP_E_clISG_PjSI_PS9_EESM_S12_SN_SO_SP_EUlS12_E1_NS1_11comp_targetILNS1_3genE9ELNS1_11target_archE1100ELNS1_3gpuE3ELNS1_3repE0EEENS1_36merge_oddeven_config_static_selectorELNS0_4arch9wavefront6targetE0EEEvSO_.num_agpr, 0
	.set _ZN7rocprim17ROCPRIM_400000_NS6detail17trampoline_kernelINS0_14default_configENS1_38merge_sort_block_merge_config_selectorIjN6thrust23THRUST_200600_302600_NS5tupleIffNS6_9null_typeES8_S8_S8_S8_S8_S8_S8_EEEEZZNS1_27merge_sort_block_merge_implIS3_NS6_6detail15normal_iteratorINS6_10device_ptrIjEEEENSD_INSE_IS9_EEEEjNS1_19radix_merge_compareILb0ELb1EjNS0_19identity_decomposerEEEEE10hipError_tT0_T1_T2_jT3_P12ihipStream_tbPNSt15iterator_traitsISN_E10value_typeEPNST_ISO_E10value_typeEPSP_NS1_7vsmem_tEENKUlT_SN_SO_SP_E_clISG_PjSI_PS9_EESM_S12_SN_SO_SP_EUlS12_E1_NS1_11comp_targetILNS1_3genE9ELNS1_11target_archE1100ELNS1_3gpuE3ELNS1_3repE0EEENS1_36merge_oddeven_config_static_selectorELNS0_4arch9wavefront6targetE0EEEvSO_.numbered_sgpr, 0
	.set _ZN7rocprim17ROCPRIM_400000_NS6detail17trampoline_kernelINS0_14default_configENS1_38merge_sort_block_merge_config_selectorIjN6thrust23THRUST_200600_302600_NS5tupleIffNS6_9null_typeES8_S8_S8_S8_S8_S8_S8_EEEEZZNS1_27merge_sort_block_merge_implIS3_NS6_6detail15normal_iteratorINS6_10device_ptrIjEEEENSD_INSE_IS9_EEEEjNS1_19radix_merge_compareILb0ELb1EjNS0_19identity_decomposerEEEEE10hipError_tT0_T1_T2_jT3_P12ihipStream_tbPNSt15iterator_traitsISN_E10value_typeEPNST_ISO_E10value_typeEPSP_NS1_7vsmem_tEENKUlT_SN_SO_SP_E_clISG_PjSI_PS9_EESM_S12_SN_SO_SP_EUlS12_E1_NS1_11comp_targetILNS1_3genE9ELNS1_11target_archE1100ELNS1_3gpuE3ELNS1_3repE0EEENS1_36merge_oddeven_config_static_selectorELNS0_4arch9wavefront6targetE0EEEvSO_.num_named_barrier, 0
	.set _ZN7rocprim17ROCPRIM_400000_NS6detail17trampoline_kernelINS0_14default_configENS1_38merge_sort_block_merge_config_selectorIjN6thrust23THRUST_200600_302600_NS5tupleIffNS6_9null_typeES8_S8_S8_S8_S8_S8_S8_EEEEZZNS1_27merge_sort_block_merge_implIS3_NS6_6detail15normal_iteratorINS6_10device_ptrIjEEEENSD_INSE_IS9_EEEEjNS1_19radix_merge_compareILb0ELb1EjNS0_19identity_decomposerEEEEE10hipError_tT0_T1_T2_jT3_P12ihipStream_tbPNSt15iterator_traitsISN_E10value_typeEPNST_ISO_E10value_typeEPSP_NS1_7vsmem_tEENKUlT_SN_SO_SP_E_clISG_PjSI_PS9_EESM_S12_SN_SO_SP_EUlS12_E1_NS1_11comp_targetILNS1_3genE9ELNS1_11target_archE1100ELNS1_3gpuE3ELNS1_3repE0EEENS1_36merge_oddeven_config_static_selectorELNS0_4arch9wavefront6targetE0EEEvSO_.private_seg_size, 0
	.set _ZN7rocprim17ROCPRIM_400000_NS6detail17trampoline_kernelINS0_14default_configENS1_38merge_sort_block_merge_config_selectorIjN6thrust23THRUST_200600_302600_NS5tupleIffNS6_9null_typeES8_S8_S8_S8_S8_S8_S8_EEEEZZNS1_27merge_sort_block_merge_implIS3_NS6_6detail15normal_iteratorINS6_10device_ptrIjEEEENSD_INSE_IS9_EEEEjNS1_19radix_merge_compareILb0ELb1EjNS0_19identity_decomposerEEEEE10hipError_tT0_T1_T2_jT3_P12ihipStream_tbPNSt15iterator_traitsISN_E10value_typeEPNST_ISO_E10value_typeEPSP_NS1_7vsmem_tEENKUlT_SN_SO_SP_E_clISG_PjSI_PS9_EESM_S12_SN_SO_SP_EUlS12_E1_NS1_11comp_targetILNS1_3genE9ELNS1_11target_archE1100ELNS1_3gpuE3ELNS1_3repE0EEENS1_36merge_oddeven_config_static_selectorELNS0_4arch9wavefront6targetE0EEEvSO_.uses_vcc, 0
	.set _ZN7rocprim17ROCPRIM_400000_NS6detail17trampoline_kernelINS0_14default_configENS1_38merge_sort_block_merge_config_selectorIjN6thrust23THRUST_200600_302600_NS5tupleIffNS6_9null_typeES8_S8_S8_S8_S8_S8_S8_EEEEZZNS1_27merge_sort_block_merge_implIS3_NS6_6detail15normal_iteratorINS6_10device_ptrIjEEEENSD_INSE_IS9_EEEEjNS1_19radix_merge_compareILb0ELb1EjNS0_19identity_decomposerEEEEE10hipError_tT0_T1_T2_jT3_P12ihipStream_tbPNSt15iterator_traitsISN_E10value_typeEPNST_ISO_E10value_typeEPSP_NS1_7vsmem_tEENKUlT_SN_SO_SP_E_clISG_PjSI_PS9_EESM_S12_SN_SO_SP_EUlS12_E1_NS1_11comp_targetILNS1_3genE9ELNS1_11target_archE1100ELNS1_3gpuE3ELNS1_3repE0EEENS1_36merge_oddeven_config_static_selectorELNS0_4arch9wavefront6targetE0EEEvSO_.uses_flat_scratch, 0
	.set _ZN7rocprim17ROCPRIM_400000_NS6detail17trampoline_kernelINS0_14default_configENS1_38merge_sort_block_merge_config_selectorIjN6thrust23THRUST_200600_302600_NS5tupleIffNS6_9null_typeES8_S8_S8_S8_S8_S8_S8_EEEEZZNS1_27merge_sort_block_merge_implIS3_NS6_6detail15normal_iteratorINS6_10device_ptrIjEEEENSD_INSE_IS9_EEEEjNS1_19radix_merge_compareILb0ELb1EjNS0_19identity_decomposerEEEEE10hipError_tT0_T1_T2_jT3_P12ihipStream_tbPNSt15iterator_traitsISN_E10value_typeEPNST_ISO_E10value_typeEPSP_NS1_7vsmem_tEENKUlT_SN_SO_SP_E_clISG_PjSI_PS9_EESM_S12_SN_SO_SP_EUlS12_E1_NS1_11comp_targetILNS1_3genE9ELNS1_11target_archE1100ELNS1_3gpuE3ELNS1_3repE0EEENS1_36merge_oddeven_config_static_selectorELNS0_4arch9wavefront6targetE0EEEvSO_.has_dyn_sized_stack, 0
	.set _ZN7rocprim17ROCPRIM_400000_NS6detail17trampoline_kernelINS0_14default_configENS1_38merge_sort_block_merge_config_selectorIjN6thrust23THRUST_200600_302600_NS5tupleIffNS6_9null_typeES8_S8_S8_S8_S8_S8_S8_EEEEZZNS1_27merge_sort_block_merge_implIS3_NS6_6detail15normal_iteratorINS6_10device_ptrIjEEEENSD_INSE_IS9_EEEEjNS1_19radix_merge_compareILb0ELb1EjNS0_19identity_decomposerEEEEE10hipError_tT0_T1_T2_jT3_P12ihipStream_tbPNSt15iterator_traitsISN_E10value_typeEPNST_ISO_E10value_typeEPSP_NS1_7vsmem_tEENKUlT_SN_SO_SP_E_clISG_PjSI_PS9_EESM_S12_SN_SO_SP_EUlS12_E1_NS1_11comp_targetILNS1_3genE9ELNS1_11target_archE1100ELNS1_3gpuE3ELNS1_3repE0EEENS1_36merge_oddeven_config_static_selectorELNS0_4arch9wavefront6targetE0EEEvSO_.has_recursion, 0
	.set _ZN7rocprim17ROCPRIM_400000_NS6detail17trampoline_kernelINS0_14default_configENS1_38merge_sort_block_merge_config_selectorIjN6thrust23THRUST_200600_302600_NS5tupleIffNS6_9null_typeES8_S8_S8_S8_S8_S8_S8_EEEEZZNS1_27merge_sort_block_merge_implIS3_NS6_6detail15normal_iteratorINS6_10device_ptrIjEEEENSD_INSE_IS9_EEEEjNS1_19radix_merge_compareILb0ELb1EjNS0_19identity_decomposerEEEEE10hipError_tT0_T1_T2_jT3_P12ihipStream_tbPNSt15iterator_traitsISN_E10value_typeEPNST_ISO_E10value_typeEPSP_NS1_7vsmem_tEENKUlT_SN_SO_SP_E_clISG_PjSI_PS9_EESM_S12_SN_SO_SP_EUlS12_E1_NS1_11comp_targetILNS1_3genE9ELNS1_11target_archE1100ELNS1_3gpuE3ELNS1_3repE0EEENS1_36merge_oddeven_config_static_selectorELNS0_4arch9wavefront6targetE0EEEvSO_.has_indirect_call, 0
	.section	.AMDGPU.csdata,"",@progbits
; Kernel info:
; codeLenInByte = 0
; TotalNumSgprs: 0
; NumVgprs: 0
; ScratchSize: 0
; MemoryBound: 0
; FloatMode: 240
; IeeeMode: 1
; LDSByteSize: 0 bytes/workgroup (compile time only)
; SGPRBlocks: 0
; VGPRBlocks: 0
; NumSGPRsForWavesPerEU: 1
; NumVGPRsForWavesPerEU: 1
; NamedBarCnt: 0
; Occupancy: 16
; WaveLimiterHint : 0
; COMPUTE_PGM_RSRC2:SCRATCH_EN: 0
; COMPUTE_PGM_RSRC2:USER_SGPR: 2
; COMPUTE_PGM_RSRC2:TRAP_HANDLER: 0
; COMPUTE_PGM_RSRC2:TGID_X_EN: 1
; COMPUTE_PGM_RSRC2:TGID_Y_EN: 0
; COMPUTE_PGM_RSRC2:TGID_Z_EN: 0
; COMPUTE_PGM_RSRC2:TIDIG_COMP_CNT: 0
	.section	.text._ZN7rocprim17ROCPRIM_400000_NS6detail17trampoline_kernelINS0_14default_configENS1_38merge_sort_block_merge_config_selectorIjN6thrust23THRUST_200600_302600_NS5tupleIffNS6_9null_typeES8_S8_S8_S8_S8_S8_S8_EEEEZZNS1_27merge_sort_block_merge_implIS3_NS6_6detail15normal_iteratorINS6_10device_ptrIjEEEENSD_INSE_IS9_EEEEjNS1_19radix_merge_compareILb0ELb1EjNS0_19identity_decomposerEEEEE10hipError_tT0_T1_T2_jT3_P12ihipStream_tbPNSt15iterator_traitsISN_E10value_typeEPNST_ISO_E10value_typeEPSP_NS1_7vsmem_tEENKUlT_SN_SO_SP_E_clISG_PjSI_PS9_EESM_S12_SN_SO_SP_EUlS12_E1_NS1_11comp_targetILNS1_3genE8ELNS1_11target_archE1030ELNS1_3gpuE2ELNS1_3repE0EEENS1_36merge_oddeven_config_static_selectorELNS0_4arch9wavefront6targetE0EEEvSO_,"axG",@progbits,_ZN7rocprim17ROCPRIM_400000_NS6detail17trampoline_kernelINS0_14default_configENS1_38merge_sort_block_merge_config_selectorIjN6thrust23THRUST_200600_302600_NS5tupleIffNS6_9null_typeES8_S8_S8_S8_S8_S8_S8_EEEEZZNS1_27merge_sort_block_merge_implIS3_NS6_6detail15normal_iteratorINS6_10device_ptrIjEEEENSD_INSE_IS9_EEEEjNS1_19radix_merge_compareILb0ELb1EjNS0_19identity_decomposerEEEEE10hipError_tT0_T1_T2_jT3_P12ihipStream_tbPNSt15iterator_traitsISN_E10value_typeEPNST_ISO_E10value_typeEPSP_NS1_7vsmem_tEENKUlT_SN_SO_SP_E_clISG_PjSI_PS9_EESM_S12_SN_SO_SP_EUlS12_E1_NS1_11comp_targetILNS1_3genE8ELNS1_11target_archE1030ELNS1_3gpuE2ELNS1_3repE0EEENS1_36merge_oddeven_config_static_selectorELNS0_4arch9wavefront6targetE0EEEvSO_,comdat
	.protected	_ZN7rocprim17ROCPRIM_400000_NS6detail17trampoline_kernelINS0_14default_configENS1_38merge_sort_block_merge_config_selectorIjN6thrust23THRUST_200600_302600_NS5tupleIffNS6_9null_typeES8_S8_S8_S8_S8_S8_S8_EEEEZZNS1_27merge_sort_block_merge_implIS3_NS6_6detail15normal_iteratorINS6_10device_ptrIjEEEENSD_INSE_IS9_EEEEjNS1_19radix_merge_compareILb0ELb1EjNS0_19identity_decomposerEEEEE10hipError_tT0_T1_T2_jT3_P12ihipStream_tbPNSt15iterator_traitsISN_E10value_typeEPNST_ISO_E10value_typeEPSP_NS1_7vsmem_tEENKUlT_SN_SO_SP_E_clISG_PjSI_PS9_EESM_S12_SN_SO_SP_EUlS12_E1_NS1_11comp_targetILNS1_3genE8ELNS1_11target_archE1030ELNS1_3gpuE2ELNS1_3repE0EEENS1_36merge_oddeven_config_static_selectorELNS0_4arch9wavefront6targetE0EEEvSO_ ; -- Begin function _ZN7rocprim17ROCPRIM_400000_NS6detail17trampoline_kernelINS0_14default_configENS1_38merge_sort_block_merge_config_selectorIjN6thrust23THRUST_200600_302600_NS5tupleIffNS6_9null_typeES8_S8_S8_S8_S8_S8_S8_EEEEZZNS1_27merge_sort_block_merge_implIS3_NS6_6detail15normal_iteratorINS6_10device_ptrIjEEEENSD_INSE_IS9_EEEEjNS1_19radix_merge_compareILb0ELb1EjNS0_19identity_decomposerEEEEE10hipError_tT0_T1_T2_jT3_P12ihipStream_tbPNSt15iterator_traitsISN_E10value_typeEPNST_ISO_E10value_typeEPSP_NS1_7vsmem_tEENKUlT_SN_SO_SP_E_clISG_PjSI_PS9_EESM_S12_SN_SO_SP_EUlS12_E1_NS1_11comp_targetILNS1_3genE8ELNS1_11target_archE1030ELNS1_3gpuE2ELNS1_3repE0EEENS1_36merge_oddeven_config_static_selectorELNS0_4arch9wavefront6targetE0EEEvSO_
	.globl	_ZN7rocprim17ROCPRIM_400000_NS6detail17trampoline_kernelINS0_14default_configENS1_38merge_sort_block_merge_config_selectorIjN6thrust23THRUST_200600_302600_NS5tupleIffNS6_9null_typeES8_S8_S8_S8_S8_S8_S8_EEEEZZNS1_27merge_sort_block_merge_implIS3_NS6_6detail15normal_iteratorINS6_10device_ptrIjEEEENSD_INSE_IS9_EEEEjNS1_19radix_merge_compareILb0ELb1EjNS0_19identity_decomposerEEEEE10hipError_tT0_T1_T2_jT3_P12ihipStream_tbPNSt15iterator_traitsISN_E10value_typeEPNST_ISO_E10value_typeEPSP_NS1_7vsmem_tEENKUlT_SN_SO_SP_E_clISG_PjSI_PS9_EESM_S12_SN_SO_SP_EUlS12_E1_NS1_11comp_targetILNS1_3genE8ELNS1_11target_archE1030ELNS1_3gpuE2ELNS1_3repE0EEENS1_36merge_oddeven_config_static_selectorELNS0_4arch9wavefront6targetE0EEEvSO_
	.p2align	8
	.type	_ZN7rocprim17ROCPRIM_400000_NS6detail17trampoline_kernelINS0_14default_configENS1_38merge_sort_block_merge_config_selectorIjN6thrust23THRUST_200600_302600_NS5tupleIffNS6_9null_typeES8_S8_S8_S8_S8_S8_S8_EEEEZZNS1_27merge_sort_block_merge_implIS3_NS6_6detail15normal_iteratorINS6_10device_ptrIjEEEENSD_INSE_IS9_EEEEjNS1_19radix_merge_compareILb0ELb1EjNS0_19identity_decomposerEEEEE10hipError_tT0_T1_T2_jT3_P12ihipStream_tbPNSt15iterator_traitsISN_E10value_typeEPNST_ISO_E10value_typeEPSP_NS1_7vsmem_tEENKUlT_SN_SO_SP_E_clISG_PjSI_PS9_EESM_S12_SN_SO_SP_EUlS12_E1_NS1_11comp_targetILNS1_3genE8ELNS1_11target_archE1030ELNS1_3gpuE2ELNS1_3repE0EEENS1_36merge_oddeven_config_static_selectorELNS0_4arch9wavefront6targetE0EEEvSO_,@function
_ZN7rocprim17ROCPRIM_400000_NS6detail17trampoline_kernelINS0_14default_configENS1_38merge_sort_block_merge_config_selectorIjN6thrust23THRUST_200600_302600_NS5tupleIffNS6_9null_typeES8_S8_S8_S8_S8_S8_S8_EEEEZZNS1_27merge_sort_block_merge_implIS3_NS6_6detail15normal_iteratorINS6_10device_ptrIjEEEENSD_INSE_IS9_EEEEjNS1_19radix_merge_compareILb0ELb1EjNS0_19identity_decomposerEEEEE10hipError_tT0_T1_T2_jT3_P12ihipStream_tbPNSt15iterator_traitsISN_E10value_typeEPNST_ISO_E10value_typeEPSP_NS1_7vsmem_tEENKUlT_SN_SO_SP_E_clISG_PjSI_PS9_EESM_S12_SN_SO_SP_EUlS12_E1_NS1_11comp_targetILNS1_3genE8ELNS1_11target_archE1030ELNS1_3gpuE2ELNS1_3repE0EEENS1_36merge_oddeven_config_static_selectorELNS0_4arch9wavefront6targetE0EEEvSO_: ; @_ZN7rocprim17ROCPRIM_400000_NS6detail17trampoline_kernelINS0_14default_configENS1_38merge_sort_block_merge_config_selectorIjN6thrust23THRUST_200600_302600_NS5tupleIffNS6_9null_typeES8_S8_S8_S8_S8_S8_S8_EEEEZZNS1_27merge_sort_block_merge_implIS3_NS6_6detail15normal_iteratorINS6_10device_ptrIjEEEENSD_INSE_IS9_EEEEjNS1_19radix_merge_compareILb0ELb1EjNS0_19identity_decomposerEEEEE10hipError_tT0_T1_T2_jT3_P12ihipStream_tbPNSt15iterator_traitsISN_E10value_typeEPNST_ISO_E10value_typeEPSP_NS1_7vsmem_tEENKUlT_SN_SO_SP_E_clISG_PjSI_PS9_EESM_S12_SN_SO_SP_EUlS12_E1_NS1_11comp_targetILNS1_3genE8ELNS1_11target_archE1030ELNS1_3gpuE2ELNS1_3repE0EEENS1_36merge_oddeven_config_static_selectorELNS0_4arch9wavefront6targetE0EEEvSO_
; %bb.0:
	.section	.rodata,"a",@progbits
	.p2align	6, 0x0
	.amdhsa_kernel _ZN7rocprim17ROCPRIM_400000_NS6detail17trampoline_kernelINS0_14default_configENS1_38merge_sort_block_merge_config_selectorIjN6thrust23THRUST_200600_302600_NS5tupleIffNS6_9null_typeES8_S8_S8_S8_S8_S8_S8_EEEEZZNS1_27merge_sort_block_merge_implIS3_NS6_6detail15normal_iteratorINS6_10device_ptrIjEEEENSD_INSE_IS9_EEEEjNS1_19radix_merge_compareILb0ELb1EjNS0_19identity_decomposerEEEEE10hipError_tT0_T1_T2_jT3_P12ihipStream_tbPNSt15iterator_traitsISN_E10value_typeEPNST_ISO_E10value_typeEPSP_NS1_7vsmem_tEENKUlT_SN_SO_SP_E_clISG_PjSI_PS9_EESM_S12_SN_SO_SP_EUlS12_E1_NS1_11comp_targetILNS1_3genE8ELNS1_11target_archE1030ELNS1_3gpuE2ELNS1_3repE0EEENS1_36merge_oddeven_config_static_selectorELNS0_4arch9wavefront6targetE0EEEvSO_
		.amdhsa_group_segment_fixed_size 0
		.amdhsa_private_segment_fixed_size 0
		.amdhsa_kernarg_size 48
		.amdhsa_user_sgpr_count 2
		.amdhsa_user_sgpr_dispatch_ptr 0
		.amdhsa_user_sgpr_queue_ptr 0
		.amdhsa_user_sgpr_kernarg_segment_ptr 1
		.amdhsa_user_sgpr_dispatch_id 0
		.amdhsa_user_sgpr_kernarg_preload_length 0
		.amdhsa_user_sgpr_kernarg_preload_offset 0
		.amdhsa_user_sgpr_private_segment_size 0
		.amdhsa_wavefront_size32 1
		.amdhsa_uses_dynamic_stack 0
		.amdhsa_enable_private_segment 0
		.amdhsa_system_sgpr_workgroup_id_x 1
		.amdhsa_system_sgpr_workgroup_id_y 0
		.amdhsa_system_sgpr_workgroup_id_z 0
		.amdhsa_system_sgpr_workgroup_info 0
		.amdhsa_system_vgpr_workitem_id 0
		.amdhsa_next_free_vgpr 1
		.amdhsa_next_free_sgpr 1
		.amdhsa_named_barrier_count 0
		.amdhsa_reserve_vcc 0
		.amdhsa_float_round_mode_32 0
		.amdhsa_float_round_mode_16_64 0
		.amdhsa_float_denorm_mode_32 3
		.amdhsa_float_denorm_mode_16_64 3
		.amdhsa_fp16_overflow 0
		.amdhsa_memory_ordered 1
		.amdhsa_forward_progress 1
		.amdhsa_inst_pref_size 0
		.amdhsa_round_robin_scheduling 0
		.amdhsa_exception_fp_ieee_invalid_op 0
		.amdhsa_exception_fp_denorm_src 0
		.amdhsa_exception_fp_ieee_div_zero 0
		.amdhsa_exception_fp_ieee_overflow 0
		.amdhsa_exception_fp_ieee_underflow 0
		.amdhsa_exception_fp_ieee_inexact 0
		.amdhsa_exception_int_div_zero 0
	.end_amdhsa_kernel
	.section	.text._ZN7rocprim17ROCPRIM_400000_NS6detail17trampoline_kernelINS0_14default_configENS1_38merge_sort_block_merge_config_selectorIjN6thrust23THRUST_200600_302600_NS5tupleIffNS6_9null_typeES8_S8_S8_S8_S8_S8_S8_EEEEZZNS1_27merge_sort_block_merge_implIS3_NS6_6detail15normal_iteratorINS6_10device_ptrIjEEEENSD_INSE_IS9_EEEEjNS1_19radix_merge_compareILb0ELb1EjNS0_19identity_decomposerEEEEE10hipError_tT0_T1_T2_jT3_P12ihipStream_tbPNSt15iterator_traitsISN_E10value_typeEPNST_ISO_E10value_typeEPSP_NS1_7vsmem_tEENKUlT_SN_SO_SP_E_clISG_PjSI_PS9_EESM_S12_SN_SO_SP_EUlS12_E1_NS1_11comp_targetILNS1_3genE8ELNS1_11target_archE1030ELNS1_3gpuE2ELNS1_3repE0EEENS1_36merge_oddeven_config_static_selectorELNS0_4arch9wavefront6targetE0EEEvSO_,"axG",@progbits,_ZN7rocprim17ROCPRIM_400000_NS6detail17trampoline_kernelINS0_14default_configENS1_38merge_sort_block_merge_config_selectorIjN6thrust23THRUST_200600_302600_NS5tupleIffNS6_9null_typeES8_S8_S8_S8_S8_S8_S8_EEEEZZNS1_27merge_sort_block_merge_implIS3_NS6_6detail15normal_iteratorINS6_10device_ptrIjEEEENSD_INSE_IS9_EEEEjNS1_19radix_merge_compareILb0ELb1EjNS0_19identity_decomposerEEEEE10hipError_tT0_T1_T2_jT3_P12ihipStream_tbPNSt15iterator_traitsISN_E10value_typeEPNST_ISO_E10value_typeEPSP_NS1_7vsmem_tEENKUlT_SN_SO_SP_E_clISG_PjSI_PS9_EESM_S12_SN_SO_SP_EUlS12_E1_NS1_11comp_targetILNS1_3genE8ELNS1_11target_archE1030ELNS1_3gpuE2ELNS1_3repE0EEENS1_36merge_oddeven_config_static_selectorELNS0_4arch9wavefront6targetE0EEEvSO_,comdat
.Lfunc_end138:
	.size	_ZN7rocprim17ROCPRIM_400000_NS6detail17trampoline_kernelINS0_14default_configENS1_38merge_sort_block_merge_config_selectorIjN6thrust23THRUST_200600_302600_NS5tupleIffNS6_9null_typeES8_S8_S8_S8_S8_S8_S8_EEEEZZNS1_27merge_sort_block_merge_implIS3_NS6_6detail15normal_iteratorINS6_10device_ptrIjEEEENSD_INSE_IS9_EEEEjNS1_19radix_merge_compareILb0ELb1EjNS0_19identity_decomposerEEEEE10hipError_tT0_T1_T2_jT3_P12ihipStream_tbPNSt15iterator_traitsISN_E10value_typeEPNST_ISO_E10value_typeEPSP_NS1_7vsmem_tEENKUlT_SN_SO_SP_E_clISG_PjSI_PS9_EESM_S12_SN_SO_SP_EUlS12_E1_NS1_11comp_targetILNS1_3genE8ELNS1_11target_archE1030ELNS1_3gpuE2ELNS1_3repE0EEENS1_36merge_oddeven_config_static_selectorELNS0_4arch9wavefront6targetE0EEEvSO_, .Lfunc_end138-_ZN7rocprim17ROCPRIM_400000_NS6detail17trampoline_kernelINS0_14default_configENS1_38merge_sort_block_merge_config_selectorIjN6thrust23THRUST_200600_302600_NS5tupleIffNS6_9null_typeES8_S8_S8_S8_S8_S8_S8_EEEEZZNS1_27merge_sort_block_merge_implIS3_NS6_6detail15normal_iteratorINS6_10device_ptrIjEEEENSD_INSE_IS9_EEEEjNS1_19radix_merge_compareILb0ELb1EjNS0_19identity_decomposerEEEEE10hipError_tT0_T1_T2_jT3_P12ihipStream_tbPNSt15iterator_traitsISN_E10value_typeEPNST_ISO_E10value_typeEPSP_NS1_7vsmem_tEENKUlT_SN_SO_SP_E_clISG_PjSI_PS9_EESM_S12_SN_SO_SP_EUlS12_E1_NS1_11comp_targetILNS1_3genE8ELNS1_11target_archE1030ELNS1_3gpuE2ELNS1_3repE0EEENS1_36merge_oddeven_config_static_selectorELNS0_4arch9wavefront6targetE0EEEvSO_
                                        ; -- End function
	.set _ZN7rocprim17ROCPRIM_400000_NS6detail17trampoline_kernelINS0_14default_configENS1_38merge_sort_block_merge_config_selectorIjN6thrust23THRUST_200600_302600_NS5tupleIffNS6_9null_typeES8_S8_S8_S8_S8_S8_S8_EEEEZZNS1_27merge_sort_block_merge_implIS3_NS6_6detail15normal_iteratorINS6_10device_ptrIjEEEENSD_INSE_IS9_EEEEjNS1_19radix_merge_compareILb0ELb1EjNS0_19identity_decomposerEEEEE10hipError_tT0_T1_T2_jT3_P12ihipStream_tbPNSt15iterator_traitsISN_E10value_typeEPNST_ISO_E10value_typeEPSP_NS1_7vsmem_tEENKUlT_SN_SO_SP_E_clISG_PjSI_PS9_EESM_S12_SN_SO_SP_EUlS12_E1_NS1_11comp_targetILNS1_3genE8ELNS1_11target_archE1030ELNS1_3gpuE2ELNS1_3repE0EEENS1_36merge_oddeven_config_static_selectorELNS0_4arch9wavefront6targetE0EEEvSO_.num_vgpr, 0
	.set _ZN7rocprim17ROCPRIM_400000_NS6detail17trampoline_kernelINS0_14default_configENS1_38merge_sort_block_merge_config_selectorIjN6thrust23THRUST_200600_302600_NS5tupleIffNS6_9null_typeES8_S8_S8_S8_S8_S8_S8_EEEEZZNS1_27merge_sort_block_merge_implIS3_NS6_6detail15normal_iteratorINS6_10device_ptrIjEEEENSD_INSE_IS9_EEEEjNS1_19radix_merge_compareILb0ELb1EjNS0_19identity_decomposerEEEEE10hipError_tT0_T1_T2_jT3_P12ihipStream_tbPNSt15iterator_traitsISN_E10value_typeEPNST_ISO_E10value_typeEPSP_NS1_7vsmem_tEENKUlT_SN_SO_SP_E_clISG_PjSI_PS9_EESM_S12_SN_SO_SP_EUlS12_E1_NS1_11comp_targetILNS1_3genE8ELNS1_11target_archE1030ELNS1_3gpuE2ELNS1_3repE0EEENS1_36merge_oddeven_config_static_selectorELNS0_4arch9wavefront6targetE0EEEvSO_.num_agpr, 0
	.set _ZN7rocprim17ROCPRIM_400000_NS6detail17trampoline_kernelINS0_14default_configENS1_38merge_sort_block_merge_config_selectorIjN6thrust23THRUST_200600_302600_NS5tupleIffNS6_9null_typeES8_S8_S8_S8_S8_S8_S8_EEEEZZNS1_27merge_sort_block_merge_implIS3_NS6_6detail15normal_iteratorINS6_10device_ptrIjEEEENSD_INSE_IS9_EEEEjNS1_19radix_merge_compareILb0ELb1EjNS0_19identity_decomposerEEEEE10hipError_tT0_T1_T2_jT3_P12ihipStream_tbPNSt15iterator_traitsISN_E10value_typeEPNST_ISO_E10value_typeEPSP_NS1_7vsmem_tEENKUlT_SN_SO_SP_E_clISG_PjSI_PS9_EESM_S12_SN_SO_SP_EUlS12_E1_NS1_11comp_targetILNS1_3genE8ELNS1_11target_archE1030ELNS1_3gpuE2ELNS1_3repE0EEENS1_36merge_oddeven_config_static_selectorELNS0_4arch9wavefront6targetE0EEEvSO_.numbered_sgpr, 0
	.set _ZN7rocprim17ROCPRIM_400000_NS6detail17trampoline_kernelINS0_14default_configENS1_38merge_sort_block_merge_config_selectorIjN6thrust23THRUST_200600_302600_NS5tupleIffNS6_9null_typeES8_S8_S8_S8_S8_S8_S8_EEEEZZNS1_27merge_sort_block_merge_implIS3_NS6_6detail15normal_iteratorINS6_10device_ptrIjEEEENSD_INSE_IS9_EEEEjNS1_19radix_merge_compareILb0ELb1EjNS0_19identity_decomposerEEEEE10hipError_tT0_T1_T2_jT3_P12ihipStream_tbPNSt15iterator_traitsISN_E10value_typeEPNST_ISO_E10value_typeEPSP_NS1_7vsmem_tEENKUlT_SN_SO_SP_E_clISG_PjSI_PS9_EESM_S12_SN_SO_SP_EUlS12_E1_NS1_11comp_targetILNS1_3genE8ELNS1_11target_archE1030ELNS1_3gpuE2ELNS1_3repE0EEENS1_36merge_oddeven_config_static_selectorELNS0_4arch9wavefront6targetE0EEEvSO_.num_named_barrier, 0
	.set _ZN7rocprim17ROCPRIM_400000_NS6detail17trampoline_kernelINS0_14default_configENS1_38merge_sort_block_merge_config_selectorIjN6thrust23THRUST_200600_302600_NS5tupleIffNS6_9null_typeES8_S8_S8_S8_S8_S8_S8_EEEEZZNS1_27merge_sort_block_merge_implIS3_NS6_6detail15normal_iteratorINS6_10device_ptrIjEEEENSD_INSE_IS9_EEEEjNS1_19radix_merge_compareILb0ELb1EjNS0_19identity_decomposerEEEEE10hipError_tT0_T1_T2_jT3_P12ihipStream_tbPNSt15iterator_traitsISN_E10value_typeEPNST_ISO_E10value_typeEPSP_NS1_7vsmem_tEENKUlT_SN_SO_SP_E_clISG_PjSI_PS9_EESM_S12_SN_SO_SP_EUlS12_E1_NS1_11comp_targetILNS1_3genE8ELNS1_11target_archE1030ELNS1_3gpuE2ELNS1_3repE0EEENS1_36merge_oddeven_config_static_selectorELNS0_4arch9wavefront6targetE0EEEvSO_.private_seg_size, 0
	.set _ZN7rocprim17ROCPRIM_400000_NS6detail17trampoline_kernelINS0_14default_configENS1_38merge_sort_block_merge_config_selectorIjN6thrust23THRUST_200600_302600_NS5tupleIffNS6_9null_typeES8_S8_S8_S8_S8_S8_S8_EEEEZZNS1_27merge_sort_block_merge_implIS3_NS6_6detail15normal_iteratorINS6_10device_ptrIjEEEENSD_INSE_IS9_EEEEjNS1_19radix_merge_compareILb0ELb1EjNS0_19identity_decomposerEEEEE10hipError_tT0_T1_T2_jT3_P12ihipStream_tbPNSt15iterator_traitsISN_E10value_typeEPNST_ISO_E10value_typeEPSP_NS1_7vsmem_tEENKUlT_SN_SO_SP_E_clISG_PjSI_PS9_EESM_S12_SN_SO_SP_EUlS12_E1_NS1_11comp_targetILNS1_3genE8ELNS1_11target_archE1030ELNS1_3gpuE2ELNS1_3repE0EEENS1_36merge_oddeven_config_static_selectorELNS0_4arch9wavefront6targetE0EEEvSO_.uses_vcc, 0
	.set _ZN7rocprim17ROCPRIM_400000_NS6detail17trampoline_kernelINS0_14default_configENS1_38merge_sort_block_merge_config_selectorIjN6thrust23THRUST_200600_302600_NS5tupleIffNS6_9null_typeES8_S8_S8_S8_S8_S8_S8_EEEEZZNS1_27merge_sort_block_merge_implIS3_NS6_6detail15normal_iteratorINS6_10device_ptrIjEEEENSD_INSE_IS9_EEEEjNS1_19radix_merge_compareILb0ELb1EjNS0_19identity_decomposerEEEEE10hipError_tT0_T1_T2_jT3_P12ihipStream_tbPNSt15iterator_traitsISN_E10value_typeEPNST_ISO_E10value_typeEPSP_NS1_7vsmem_tEENKUlT_SN_SO_SP_E_clISG_PjSI_PS9_EESM_S12_SN_SO_SP_EUlS12_E1_NS1_11comp_targetILNS1_3genE8ELNS1_11target_archE1030ELNS1_3gpuE2ELNS1_3repE0EEENS1_36merge_oddeven_config_static_selectorELNS0_4arch9wavefront6targetE0EEEvSO_.uses_flat_scratch, 0
	.set _ZN7rocprim17ROCPRIM_400000_NS6detail17trampoline_kernelINS0_14default_configENS1_38merge_sort_block_merge_config_selectorIjN6thrust23THRUST_200600_302600_NS5tupleIffNS6_9null_typeES8_S8_S8_S8_S8_S8_S8_EEEEZZNS1_27merge_sort_block_merge_implIS3_NS6_6detail15normal_iteratorINS6_10device_ptrIjEEEENSD_INSE_IS9_EEEEjNS1_19radix_merge_compareILb0ELb1EjNS0_19identity_decomposerEEEEE10hipError_tT0_T1_T2_jT3_P12ihipStream_tbPNSt15iterator_traitsISN_E10value_typeEPNST_ISO_E10value_typeEPSP_NS1_7vsmem_tEENKUlT_SN_SO_SP_E_clISG_PjSI_PS9_EESM_S12_SN_SO_SP_EUlS12_E1_NS1_11comp_targetILNS1_3genE8ELNS1_11target_archE1030ELNS1_3gpuE2ELNS1_3repE0EEENS1_36merge_oddeven_config_static_selectorELNS0_4arch9wavefront6targetE0EEEvSO_.has_dyn_sized_stack, 0
	.set _ZN7rocprim17ROCPRIM_400000_NS6detail17trampoline_kernelINS0_14default_configENS1_38merge_sort_block_merge_config_selectorIjN6thrust23THRUST_200600_302600_NS5tupleIffNS6_9null_typeES8_S8_S8_S8_S8_S8_S8_EEEEZZNS1_27merge_sort_block_merge_implIS3_NS6_6detail15normal_iteratorINS6_10device_ptrIjEEEENSD_INSE_IS9_EEEEjNS1_19radix_merge_compareILb0ELb1EjNS0_19identity_decomposerEEEEE10hipError_tT0_T1_T2_jT3_P12ihipStream_tbPNSt15iterator_traitsISN_E10value_typeEPNST_ISO_E10value_typeEPSP_NS1_7vsmem_tEENKUlT_SN_SO_SP_E_clISG_PjSI_PS9_EESM_S12_SN_SO_SP_EUlS12_E1_NS1_11comp_targetILNS1_3genE8ELNS1_11target_archE1030ELNS1_3gpuE2ELNS1_3repE0EEENS1_36merge_oddeven_config_static_selectorELNS0_4arch9wavefront6targetE0EEEvSO_.has_recursion, 0
	.set _ZN7rocprim17ROCPRIM_400000_NS6detail17trampoline_kernelINS0_14default_configENS1_38merge_sort_block_merge_config_selectorIjN6thrust23THRUST_200600_302600_NS5tupleIffNS6_9null_typeES8_S8_S8_S8_S8_S8_S8_EEEEZZNS1_27merge_sort_block_merge_implIS3_NS6_6detail15normal_iteratorINS6_10device_ptrIjEEEENSD_INSE_IS9_EEEEjNS1_19radix_merge_compareILb0ELb1EjNS0_19identity_decomposerEEEEE10hipError_tT0_T1_T2_jT3_P12ihipStream_tbPNSt15iterator_traitsISN_E10value_typeEPNST_ISO_E10value_typeEPSP_NS1_7vsmem_tEENKUlT_SN_SO_SP_E_clISG_PjSI_PS9_EESM_S12_SN_SO_SP_EUlS12_E1_NS1_11comp_targetILNS1_3genE8ELNS1_11target_archE1030ELNS1_3gpuE2ELNS1_3repE0EEENS1_36merge_oddeven_config_static_selectorELNS0_4arch9wavefront6targetE0EEEvSO_.has_indirect_call, 0
	.section	.AMDGPU.csdata,"",@progbits
; Kernel info:
; codeLenInByte = 0
; TotalNumSgprs: 0
; NumVgprs: 0
; ScratchSize: 0
; MemoryBound: 0
; FloatMode: 240
; IeeeMode: 1
; LDSByteSize: 0 bytes/workgroup (compile time only)
; SGPRBlocks: 0
; VGPRBlocks: 0
; NumSGPRsForWavesPerEU: 1
; NumVGPRsForWavesPerEU: 1
; NamedBarCnt: 0
; Occupancy: 16
; WaveLimiterHint : 0
; COMPUTE_PGM_RSRC2:SCRATCH_EN: 0
; COMPUTE_PGM_RSRC2:USER_SGPR: 2
; COMPUTE_PGM_RSRC2:TRAP_HANDLER: 0
; COMPUTE_PGM_RSRC2:TGID_X_EN: 1
; COMPUTE_PGM_RSRC2:TGID_Y_EN: 0
; COMPUTE_PGM_RSRC2:TGID_Z_EN: 0
; COMPUTE_PGM_RSRC2:TIDIG_COMP_CNT: 0
	.section	.text._ZN7rocprim17ROCPRIM_400000_NS6detail17trampoline_kernelINS0_14default_configENS1_35radix_sort_onesweep_config_selectorIjN6thrust23THRUST_200600_302600_NS5tupleIffNS6_9null_typeES8_S8_S8_S8_S8_S8_S8_EEEEZNS1_34radix_sort_onesweep_global_offsetsIS3_Lb0ENS6_6detail15normal_iteratorINS6_10device_ptrIjEEEENSD_INSE_IS9_EEEEjNS0_19identity_decomposerEEE10hipError_tT1_T2_PT3_SN_jT4_jjP12ihipStream_tbEUlT_E_NS1_11comp_targetILNS1_3genE0ELNS1_11target_archE4294967295ELNS1_3gpuE0ELNS1_3repE0EEENS1_52radix_sort_onesweep_histogram_config_static_selectorELNS0_4arch9wavefront6targetE0EEEvSL_,"axG",@progbits,_ZN7rocprim17ROCPRIM_400000_NS6detail17trampoline_kernelINS0_14default_configENS1_35radix_sort_onesweep_config_selectorIjN6thrust23THRUST_200600_302600_NS5tupleIffNS6_9null_typeES8_S8_S8_S8_S8_S8_S8_EEEEZNS1_34radix_sort_onesweep_global_offsetsIS3_Lb0ENS6_6detail15normal_iteratorINS6_10device_ptrIjEEEENSD_INSE_IS9_EEEEjNS0_19identity_decomposerEEE10hipError_tT1_T2_PT3_SN_jT4_jjP12ihipStream_tbEUlT_E_NS1_11comp_targetILNS1_3genE0ELNS1_11target_archE4294967295ELNS1_3gpuE0ELNS1_3repE0EEENS1_52radix_sort_onesweep_histogram_config_static_selectorELNS0_4arch9wavefront6targetE0EEEvSL_,comdat
	.protected	_ZN7rocprim17ROCPRIM_400000_NS6detail17trampoline_kernelINS0_14default_configENS1_35radix_sort_onesweep_config_selectorIjN6thrust23THRUST_200600_302600_NS5tupleIffNS6_9null_typeES8_S8_S8_S8_S8_S8_S8_EEEEZNS1_34radix_sort_onesweep_global_offsetsIS3_Lb0ENS6_6detail15normal_iteratorINS6_10device_ptrIjEEEENSD_INSE_IS9_EEEEjNS0_19identity_decomposerEEE10hipError_tT1_T2_PT3_SN_jT4_jjP12ihipStream_tbEUlT_E_NS1_11comp_targetILNS1_3genE0ELNS1_11target_archE4294967295ELNS1_3gpuE0ELNS1_3repE0EEENS1_52radix_sort_onesweep_histogram_config_static_selectorELNS0_4arch9wavefront6targetE0EEEvSL_ ; -- Begin function _ZN7rocprim17ROCPRIM_400000_NS6detail17trampoline_kernelINS0_14default_configENS1_35radix_sort_onesweep_config_selectorIjN6thrust23THRUST_200600_302600_NS5tupleIffNS6_9null_typeES8_S8_S8_S8_S8_S8_S8_EEEEZNS1_34radix_sort_onesweep_global_offsetsIS3_Lb0ENS6_6detail15normal_iteratorINS6_10device_ptrIjEEEENSD_INSE_IS9_EEEEjNS0_19identity_decomposerEEE10hipError_tT1_T2_PT3_SN_jT4_jjP12ihipStream_tbEUlT_E_NS1_11comp_targetILNS1_3genE0ELNS1_11target_archE4294967295ELNS1_3gpuE0ELNS1_3repE0EEENS1_52radix_sort_onesweep_histogram_config_static_selectorELNS0_4arch9wavefront6targetE0EEEvSL_
	.globl	_ZN7rocprim17ROCPRIM_400000_NS6detail17trampoline_kernelINS0_14default_configENS1_35radix_sort_onesweep_config_selectorIjN6thrust23THRUST_200600_302600_NS5tupleIffNS6_9null_typeES8_S8_S8_S8_S8_S8_S8_EEEEZNS1_34radix_sort_onesweep_global_offsetsIS3_Lb0ENS6_6detail15normal_iteratorINS6_10device_ptrIjEEEENSD_INSE_IS9_EEEEjNS0_19identity_decomposerEEE10hipError_tT1_T2_PT3_SN_jT4_jjP12ihipStream_tbEUlT_E_NS1_11comp_targetILNS1_3genE0ELNS1_11target_archE4294967295ELNS1_3gpuE0ELNS1_3repE0EEENS1_52radix_sort_onesweep_histogram_config_static_selectorELNS0_4arch9wavefront6targetE0EEEvSL_
	.p2align	8
	.type	_ZN7rocprim17ROCPRIM_400000_NS6detail17trampoline_kernelINS0_14default_configENS1_35radix_sort_onesweep_config_selectorIjN6thrust23THRUST_200600_302600_NS5tupleIffNS6_9null_typeES8_S8_S8_S8_S8_S8_S8_EEEEZNS1_34radix_sort_onesweep_global_offsetsIS3_Lb0ENS6_6detail15normal_iteratorINS6_10device_ptrIjEEEENSD_INSE_IS9_EEEEjNS0_19identity_decomposerEEE10hipError_tT1_T2_PT3_SN_jT4_jjP12ihipStream_tbEUlT_E_NS1_11comp_targetILNS1_3genE0ELNS1_11target_archE4294967295ELNS1_3gpuE0ELNS1_3repE0EEENS1_52radix_sort_onesweep_histogram_config_static_selectorELNS0_4arch9wavefront6targetE0EEEvSL_,@function
_ZN7rocprim17ROCPRIM_400000_NS6detail17trampoline_kernelINS0_14default_configENS1_35radix_sort_onesweep_config_selectorIjN6thrust23THRUST_200600_302600_NS5tupleIffNS6_9null_typeES8_S8_S8_S8_S8_S8_S8_EEEEZNS1_34radix_sort_onesweep_global_offsetsIS3_Lb0ENS6_6detail15normal_iteratorINS6_10device_ptrIjEEEENSD_INSE_IS9_EEEEjNS0_19identity_decomposerEEE10hipError_tT1_T2_PT3_SN_jT4_jjP12ihipStream_tbEUlT_E_NS1_11comp_targetILNS1_3genE0ELNS1_11target_archE4294967295ELNS1_3gpuE0ELNS1_3repE0EEENS1_52radix_sort_onesweep_histogram_config_static_selectorELNS0_4arch9wavefront6targetE0EEEvSL_: ; @_ZN7rocprim17ROCPRIM_400000_NS6detail17trampoline_kernelINS0_14default_configENS1_35radix_sort_onesweep_config_selectorIjN6thrust23THRUST_200600_302600_NS5tupleIffNS6_9null_typeES8_S8_S8_S8_S8_S8_S8_EEEEZNS1_34radix_sort_onesweep_global_offsetsIS3_Lb0ENS6_6detail15normal_iteratorINS6_10device_ptrIjEEEENSD_INSE_IS9_EEEEjNS0_19identity_decomposerEEE10hipError_tT1_T2_PT3_SN_jT4_jjP12ihipStream_tbEUlT_E_NS1_11comp_targetILNS1_3genE0ELNS1_11target_archE4294967295ELNS1_3gpuE0ELNS1_3repE0EEENS1_52radix_sort_onesweep_histogram_config_static_selectorELNS0_4arch9wavefront6targetE0EEEvSL_
; %bb.0:
	s_clause 0x2
	s_load_b32 s10, s[0:1], 0x14
	s_load_b128 s[4:7], s[0:1], 0x0
	s_load_b64 s[2:3], s[0:1], 0x1c
	s_bfe_u32 s8, ttmp6, 0x4000c
	s_and_b32 s9, ttmp6, 15
	s_add_co_i32 s8, s8, 1
	s_getreg_b32 s11, hwreg(HW_REG_IB_STS2, 6, 4)
	s_mul_i32 s8, ttmp9, s8
	s_delay_alu instid0(SALU_CYCLE_1)
	s_add_co_i32 s9, s9, s8
	s_cmp_eq_u32 s11, 0
	s_cselect_b32 s11, ttmp9, s9
	s_mov_b32 s9, 0
	s_lshl_b32 s8, s11, 12
	s_wait_kmcnt 0x0
	s_cmp_ge_u32 s11, s10
	s_mov_b32 s11, -1
	s_cbranch_scc0 .LBB139_167
; %bb.1:
	s_load_b32 s0, s[0:1], 0x10
	s_wait_xcnt 0x0
	s_lshl_b32 s1, s10, 12
                                        ; implicit-def: $vgpr17
	s_wait_kmcnt 0x0
	s_sub_co_i32 s10, s0, s1
	s_lshl_b64 s[0:1], s[8:9], 2
	s_mov_b32 s9, exec_lo
	s_add_nc_u64 s[0:1], s[4:5], s[0:1]
	v_cmpx_gt_u32_e64 s10, v0
	s_cbranch_execz .LBB139_3
; %bb.2:
	global_load_b32 v17, v0, s[0:1] scale_offset
.LBB139_3:
	s_wait_xcnt 0x0
	s_or_b32 exec_lo, exec_lo, s9
	v_or_b32_e32 v16, 0x200, v0
	s_mov_b32 s9, exec_lo
                                        ; implicit-def: $vgpr15
	s_delay_alu instid0(VALU_DEP_1)
	v_cmpx_gt_u32_e64 s10, v16
	s_cbranch_execz .LBB139_5
; %bb.4:
	global_load_b32 v15, v0, s[0:1] offset:2048 scale_offset
.LBB139_5:
	s_wait_xcnt 0x0
	s_or_b32 exec_lo, exec_lo, s9
	v_or_b32_e32 v14, 0x400, v0
	s_mov_b32 s9, exec_lo
                                        ; implicit-def: $vgpr13
	s_delay_alu instid0(VALU_DEP_1)
	v_cmpx_gt_u32_e64 s10, v14
	s_cbranch_execz .LBB139_7
; %bb.6:
	global_load_b32 v13, v0, s[0:1] offset:4096 scale_offset
.LBB139_7:
	s_wait_xcnt 0x0
	s_or_b32 exec_lo, exec_lo, s9
	v_or_b32_e32 v12, 0x600, v0
	s_mov_b32 s9, exec_lo
                                        ; implicit-def: $vgpr11
	s_delay_alu instid0(VALU_DEP_1)
	v_cmpx_gt_u32_e64 s10, v12
	s_cbranch_execz .LBB139_9
; %bb.8:
	global_load_b32 v11, v0, s[0:1] offset:6144 scale_offset
.LBB139_9:
	s_wait_xcnt 0x0
	s_or_b32 exec_lo, exec_lo, s9
	v_or_b32_e32 v10, 0x800, v0
	s_mov_b32 s9, exec_lo
                                        ; implicit-def: $vgpr9
	s_delay_alu instid0(VALU_DEP_1)
	v_cmpx_gt_u32_e64 s10, v10
	s_cbranch_execz .LBB139_11
; %bb.10:
	global_load_b32 v9, v0, s[0:1] offset:8192 scale_offset
.LBB139_11:
	s_wait_xcnt 0x0
	s_or_b32 exec_lo, exec_lo, s9
	v_or_b32_e32 v8, 0xa00, v0
	s_mov_b32 s9, exec_lo
                                        ; implicit-def: $vgpr7
	s_delay_alu instid0(VALU_DEP_1)
	v_cmpx_gt_u32_e64 s10, v8
	s_cbranch_execz .LBB139_13
; %bb.12:
	global_load_b32 v7, v0, s[0:1] offset:10240 scale_offset
.LBB139_13:
	s_wait_xcnt 0x0
	s_or_b32 exec_lo, exec_lo, s9
	v_or_b32_e32 v6, 0xc00, v0
	s_mov_b32 s9, exec_lo
                                        ; implicit-def: $vgpr5
	s_delay_alu instid0(VALU_DEP_1)
	v_cmpx_gt_u32_e64 s10, v6
	s_cbranch_execz .LBB139_15
; %bb.14:
	global_load_b32 v5, v0, s[0:1] offset:12288 scale_offset
.LBB139_15:
	s_wait_xcnt 0x0
	s_or_b32 exec_lo, exec_lo, s9
	v_or_b32_e32 v4, 0xe00, v0
	s_mov_b32 s9, exec_lo
                                        ; implicit-def: $vgpr2
	s_delay_alu instid0(VALU_DEP_1)
	v_cmpx_gt_u32_e64 s10, v4
	s_cbranch_execz .LBB139_17
; %bb.16:
	global_load_b32 v2, v0, s[0:1] offset:14336 scale_offset
.LBB139_17:
	s_wait_xcnt 0x0
	s_or_b32 exec_lo, exec_lo, s9
	v_dual_lshlrev_b32 v1, 2, v0 :: v_dual_mov_b32 v3, 0
	s_mov_b32 s0, -1
	ds_store_2addr_stride64_b32 v1, v3, v3 offset1:8
	ds_store_2addr_stride64_b32 v1, v3, v3 offset0:16 offset1:24
	s_and_saveexec_b32 s1, s0
; %bb.18:
	ds_store_b32 v1, v3 offset:8192
; %bb.19:
	s_or_b32 exec_lo, exec_lo, s1
	s_and_saveexec_b32 s1, s0
; %bb.20:
	v_mov_b32_e32 v3, 0
	ds_store_b32 v1, v3 offset:10240
; %bb.21:
	s_or_b32 exec_lo, exec_lo, s1
	v_cmp_gt_u32_e64 s0, 7, 6
	s_mov_b32 s1, exec_lo
	v_cmpx_gt_u32_e64 7, 5
; %bb.22:
	v_mov_b32_e32 v3, 0
	ds_store_b32 v1, v3 offset:12288
; %bb.23:
	s_or_b32 exec_lo, exec_lo, s1
	s_and_saveexec_b32 s1, s0
; %bb.24:
	v_mov_b32_e32 v3, 0
	ds_store_b32 v1, v3 offset:14336
; %bb.25:
	s_or_b32 exec_lo, exec_lo, s1
	s_cmp_le_u32 s3, s2
	v_cmp_le_u32_e32 vcc_lo, s10, v0
	s_cselect_b32 s1, -1, 0
	s_wait_loadcnt_dscnt 0x0
	s_and_b32 s0, s1, exec_lo
	s_cselect_b32 s9, 8, 10
	s_delay_alu instid0(SALU_CYCLE_1)
	v_dual_mov_b32 v18, s9 :: v_dual_bitop2_b32 v3, 3, v0 bitop3:0x40
	s_nor_b32 s11, s1, vcc_lo
	s_barrier_signal -1
	s_barrier_wait -1
	s_and_saveexec_b32 s0, s11
	s_cbranch_execz .LBB139_27
; %bb.26:
	v_dual_lshrrev_b32 v18, s2, v17 :: v_dual_lshlrev_b32 v19, 2, v3
	s_sub_co_i32 s11, s3, s2
	s_delay_alu instid0(SALU_CYCLE_1)
	s_min_u32 s11, s11, 8
	s_delay_alu instid0(VALU_DEP_1) | instid1(SALU_CYCLE_1)
	v_bfe_u32 v18, v18, 0, s11
	s_delay_alu instid0(VALU_DEP_1)
	v_lshl_or_b32 v18, v18, 4, v19
	v_mov_b32_e32 v19, 1
	ds_add_u32 v18, v19
	v_mov_b32_e32 v18, 0
.LBB139_27:
	s_or_b32 exec_lo, exec_lo, s0
	s_mov_b32 s12, -1
	s_mov_b32 s11, exec_lo
	s_delay_alu instid0(VALU_DEP_1)
	v_cmpx_gt_i32_e32 10, v18
; %bb.28:
	v_cmp_eq_u32_e64 s0, 0, v18
	s_or_not1_b32 s12, s0, exec_lo
; %bb.29:
	s_or_b32 exec_lo, exec_lo, s11
	s_and_saveexec_b32 s11, s12
	s_cbranch_execz .LBB139_42
; %bb.30:
	s_add_co_i32 s12, s2, 8
	s_delay_alu instid0(SALU_CYCLE_1) | instskip(SKIP_1) | instid1(SALU_CYCLE_1)
	s_cmp_le_u32 s3, s12
	s_cselect_b32 s0, -1, 0
	s_and_b32 s13, s0, exec_lo
	s_cselect_b32 s13, 8, 10
	s_delay_alu instid0(SALU_CYCLE_1) | instskip(SKIP_1) | instid1(SALU_CYCLE_1)
	v_mov_b32_e32 v18, s13
	s_nor_b32 s13, s0, vcc_lo
	s_and_saveexec_b32 s0, s13
	s_cbranch_execz .LBB139_32
; %bb.31:
	v_dual_lshrrev_b32 v18, s12, v17 :: v_dual_lshlrev_b32 v19, 2, v3
	s_sub_co_i32 s12, s3, s12
	s_delay_alu instid0(SALU_CYCLE_1)
	s_min_u32 s12, s12, 8
	s_delay_alu instid0(VALU_DEP_1) | instid1(SALU_CYCLE_1)
	v_bfe_u32 v18, v18, 0, s12
	s_delay_alu instid0(VALU_DEP_1)
	v_lshl_or_b32 v18, v18, 4, v19
	v_mov_b32_e32 v19, 1
	ds_add_u32 v18, v19 offset:4096
	v_mov_b32_e32 v18, 0
.LBB139_32:
	s_or_b32 exec_lo, exec_lo, s0
	s_mov_b32 s12, -1
	s_mov_b32 s13, exec_lo
	s_delay_alu instid0(VALU_DEP_1)
	v_cmpx_gt_i32_e32 10, v18
; %bb.33:
	v_cmp_eq_u32_e64 s0, 0, v18
	s_or_not1_b32 s12, s0, exec_lo
; %bb.34:
	s_or_b32 exec_lo, exec_lo, s13
	s_delay_alu instid0(SALU_CYCLE_1)
	s_and_b32 exec_lo, exec_lo, s12
	s_cbranch_execz .LBB139_42
; %bb.35:
	s_add_co_i32 s12, s2, 16
	s_delay_alu instid0(SALU_CYCLE_1) | instskip(SKIP_1) | instid1(SALU_CYCLE_1)
	s_cmp_le_u32 s3, s12
	s_cselect_b32 s0, -1, 0
	s_and_b32 s13, s0, exec_lo
	s_cselect_b32 s13, 8, 10
	s_delay_alu instid0(SALU_CYCLE_1) | instskip(SKIP_1) | instid1(SALU_CYCLE_1)
	v_mov_b32_e32 v18, s13
	s_nor_b32 s13, s0, vcc_lo
	s_and_saveexec_b32 s0, s13
	s_cbranch_execz .LBB139_37
; %bb.36:
	v_dual_lshrrev_b32 v18, s12, v17 :: v_dual_lshlrev_b32 v19, 2, v3
	s_sub_co_i32 s12, s3, s12
	s_delay_alu instid0(SALU_CYCLE_1)
	s_min_u32 s12, s12, 8
	s_delay_alu instid0(VALU_DEP_1) | instid1(SALU_CYCLE_1)
	v_bfe_u32 v18, v18, 0, s12
	s_delay_alu instid0(VALU_DEP_1)
	v_lshl_or_b32 v18, v18, 4, v19
	v_mov_b32_e32 v19, 1
	ds_add_u32 v18, v19 offset:8192
	v_mov_b32_e32 v18, 0
.LBB139_37:
	s_or_b32 exec_lo, exec_lo, s0
	s_mov_b32 s12, -1
	s_mov_b32 s13, exec_lo
	s_delay_alu instid0(VALU_DEP_1)
	v_cmpx_gt_i32_e32 10, v18
; %bb.38:
	v_cmp_eq_u32_e64 s0, 0, v18
	s_or_not1_b32 s12, s0, exec_lo
; %bb.39:
	s_or_b32 exec_lo, exec_lo, s13
	s_delay_alu instid0(SALU_CYCLE_1)
	s_and_b32 exec_lo, exec_lo, s12
	s_cbranch_execz .LBB139_42
; %bb.40:
	s_add_co_i32 s0, s2, 24
	s_delay_alu instid0(SALU_CYCLE_1) | instskip(SKIP_2) | instid1(SALU_CYCLE_1)
	s_cmp_gt_u32 s3, s0
	s_cselect_b32 s12, -1, 0
	s_xor_b32 s13, vcc_lo, -1
	s_and_b32 s12, s12, s13
	s_delay_alu instid0(SALU_CYCLE_1)
	s_and_b32 exec_lo, exec_lo, s12
	s_cbranch_execz .LBB139_42
; %bb.41:
	v_dual_lshrrev_b32 v17, s0, v17 :: v_dual_lshlrev_b32 v18, 2, v3
	s_sub_co_i32 s0, s3, s0
	s_delay_alu instid0(SALU_CYCLE_1)
	s_min_u32 s0, s0, 8
	s_delay_alu instid0(VALU_DEP_1) | instid1(SALU_CYCLE_1)
	v_bfe_u32 v17, v17, 0, s0
	s_delay_alu instid0(VALU_DEP_1)
	v_lshl_or_b32 v17, v17, 4, v18
	v_mov_b32_e32 v18, 1
	ds_add_u32 v17, v18 offset:12288
.LBB139_42:
	s_or_b32 exec_lo, exec_lo, s11
	v_cmp_le_u32_e32 vcc_lo, s10, v16
	v_mov_b32_e32 v16, s9
	s_nor_b32 s11, s1, vcc_lo
	s_delay_alu instid0(SALU_CYCLE_1)
	s_and_saveexec_b32 s0, s11
	s_cbranch_execz .LBB139_44
; %bb.43:
	v_lshrrev_b32_e32 v16, s2, v15
	s_sub_co_i32 s11, s3, s2
	v_lshlrev_b32_e32 v17, 2, v3
	s_min_u32 s11, s11, 8
	s_delay_alu instid0(VALU_DEP_2) | instid1(SALU_CYCLE_1)
	v_bfe_u32 v16, v16, 0, s11
	s_delay_alu instid0(VALU_DEP_1)
	v_lshl_or_b32 v16, v16, 4, v17
	v_mov_b32_e32 v17, 1
	ds_add_u32 v16, v17
	v_mov_b32_e32 v16, 0
.LBB139_44:
	s_or_b32 exec_lo, exec_lo, s0
	s_mov_b32 s12, -1
	s_mov_b32 s11, exec_lo
	s_delay_alu instid0(VALU_DEP_1)
	v_cmpx_gt_i32_e32 10, v16
; %bb.45:
	v_cmp_eq_u32_e64 s0, 0, v16
	s_or_not1_b32 s12, s0, exec_lo
; %bb.46:
	s_or_b32 exec_lo, exec_lo, s11
	s_and_saveexec_b32 s11, s12
	s_cbranch_execz .LBB139_59
; %bb.47:
	s_add_co_i32 s12, s2, 8
	s_delay_alu instid0(SALU_CYCLE_1) | instskip(SKIP_1) | instid1(SALU_CYCLE_1)
	s_cmp_le_u32 s3, s12
	s_cselect_b32 s0, -1, 0
	s_and_b32 s13, s0, exec_lo
	s_cselect_b32 s13, 8, 10
	s_delay_alu instid0(SALU_CYCLE_1) | instskip(SKIP_1) | instid1(SALU_CYCLE_1)
	v_mov_b32_e32 v16, s13
	s_nor_b32 s13, s0, vcc_lo
	s_and_saveexec_b32 s0, s13
	s_cbranch_execz .LBB139_49
; %bb.48:
	v_lshrrev_b32_e32 v16, s12, v15
	s_sub_co_i32 s12, s3, s12
	v_lshlrev_b32_e32 v17, 2, v3
	s_min_u32 s12, s12, 8
	s_delay_alu instid0(VALU_DEP_2) | instid1(SALU_CYCLE_1)
	v_bfe_u32 v16, v16, 0, s12
	s_delay_alu instid0(VALU_DEP_1)
	v_lshl_or_b32 v16, v16, 4, v17
	v_mov_b32_e32 v17, 1
	ds_add_u32 v16, v17 offset:4096
	v_mov_b32_e32 v16, 0
.LBB139_49:
	s_or_b32 exec_lo, exec_lo, s0
	s_mov_b32 s12, -1
	s_mov_b32 s13, exec_lo
	s_delay_alu instid0(VALU_DEP_1)
	v_cmpx_gt_i32_e32 10, v16
; %bb.50:
	v_cmp_eq_u32_e64 s0, 0, v16
	s_or_not1_b32 s12, s0, exec_lo
; %bb.51:
	s_or_b32 exec_lo, exec_lo, s13
	s_delay_alu instid0(SALU_CYCLE_1)
	s_and_b32 exec_lo, exec_lo, s12
	s_cbranch_execz .LBB139_59
; %bb.52:
	s_add_co_i32 s12, s2, 16
	s_delay_alu instid0(SALU_CYCLE_1) | instskip(SKIP_1) | instid1(SALU_CYCLE_1)
	s_cmp_le_u32 s3, s12
	s_cselect_b32 s0, -1, 0
	s_and_b32 s13, s0, exec_lo
	s_cselect_b32 s13, 8, 10
	s_delay_alu instid0(SALU_CYCLE_1) | instskip(SKIP_1) | instid1(SALU_CYCLE_1)
	v_mov_b32_e32 v16, s13
	s_nor_b32 s13, s0, vcc_lo
	s_and_saveexec_b32 s0, s13
	s_cbranch_execz .LBB139_54
; %bb.53:
	v_lshrrev_b32_e32 v16, s12, v15
	s_sub_co_i32 s12, s3, s12
	v_lshlrev_b32_e32 v17, 2, v3
	s_min_u32 s12, s12, 8
	s_delay_alu instid0(VALU_DEP_2) | instid1(SALU_CYCLE_1)
	v_bfe_u32 v16, v16, 0, s12
	s_delay_alu instid0(VALU_DEP_1)
	v_lshl_or_b32 v16, v16, 4, v17
	v_mov_b32_e32 v17, 1
	ds_add_u32 v16, v17 offset:8192
	v_mov_b32_e32 v16, 0
.LBB139_54:
	s_or_b32 exec_lo, exec_lo, s0
	s_mov_b32 s12, -1
	s_mov_b32 s13, exec_lo
	s_delay_alu instid0(VALU_DEP_1)
	v_cmpx_gt_i32_e32 10, v16
; %bb.55:
	v_cmp_eq_u32_e64 s0, 0, v16
	s_or_not1_b32 s12, s0, exec_lo
; %bb.56:
	s_or_b32 exec_lo, exec_lo, s13
	s_delay_alu instid0(SALU_CYCLE_1)
	s_and_b32 exec_lo, exec_lo, s12
	s_cbranch_execz .LBB139_59
; %bb.57:
	s_add_co_i32 s0, s2, 24
	s_delay_alu instid0(SALU_CYCLE_1) | instskip(SKIP_2) | instid1(SALU_CYCLE_1)
	s_cmp_gt_u32 s3, s0
	s_cselect_b32 s12, -1, 0
	s_xor_b32 s13, vcc_lo, -1
	s_and_b32 s12, s12, s13
	s_delay_alu instid0(SALU_CYCLE_1)
	s_and_b32 exec_lo, exec_lo, s12
	s_cbranch_execz .LBB139_59
; %bb.58:
	v_lshrrev_b32_e32 v15, s0, v15
	s_sub_co_i32 s0, s3, s0
	v_lshlrev_b32_e32 v16, 2, v3
	s_min_u32 s0, s0, 8
	s_delay_alu instid0(VALU_DEP_2) | instid1(SALU_CYCLE_1)
	v_bfe_u32 v15, v15, 0, s0
	s_delay_alu instid0(VALU_DEP_1)
	v_lshl_or_b32 v15, v15, 4, v16
	v_mov_b32_e32 v16, 1
	ds_add_u32 v15, v16 offset:12288
.LBB139_59:
	s_or_b32 exec_lo, exec_lo, s11
	v_cmp_le_u32_e32 vcc_lo, s10, v14
	v_mov_b32_e32 v14, s9
	s_nor_b32 s11, s1, vcc_lo
	s_delay_alu instid0(SALU_CYCLE_1)
	s_and_saveexec_b32 s0, s11
	s_cbranch_execz .LBB139_61
; %bb.60:
	v_dual_lshrrev_b32 v14, s2, v13 :: v_dual_lshlrev_b32 v15, 2, v3
	s_sub_co_i32 s11, s3, s2
	s_delay_alu instid0(SALU_CYCLE_1)
	s_min_u32 s11, s11, 8
	s_delay_alu instid0(VALU_DEP_1) | instid1(SALU_CYCLE_1)
	v_bfe_u32 v14, v14, 0, s11
	s_delay_alu instid0(VALU_DEP_1)
	v_lshl_or_b32 v14, v14, 4, v15
	v_mov_b32_e32 v15, 1
	ds_add_u32 v14, v15
	v_mov_b32_e32 v14, 0
.LBB139_61:
	s_or_b32 exec_lo, exec_lo, s0
	s_mov_b32 s12, -1
	s_mov_b32 s11, exec_lo
	s_delay_alu instid0(VALU_DEP_1)
	v_cmpx_gt_i32_e32 10, v14
; %bb.62:
	v_cmp_eq_u32_e64 s0, 0, v14
	s_or_not1_b32 s12, s0, exec_lo
; %bb.63:
	s_or_b32 exec_lo, exec_lo, s11
	s_and_saveexec_b32 s11, s12
	s_cbranch_execz .LBB139_76
; %bb.64:
	s_add_co_i32 s12, s2, 8
	s_delay_alu instid0(SALU_CYCLE_1) | instskip(SKIP_1) | instid1(SALU_CYCLE_1)
	s_cmp_le_u32 s3, s12
	s_cselect_b32 s0, -1, 0
	s_and_b32 s13, s0, exec_lo
	s_cselect_b32 s13, 8, 10
	s_delay_alu instid0(SALU_CYCLE_1) | instskip(SKIP_1) | instid1(SALU_CYCLE_1)
	v_mov_b32_e32 v14, s13
	s_nor_b32 s13, s0, vcc_lo
	s_and_saveexec_b32 s0, s13
	s_cbranch_execz .LBB139_66
; %bb.65:
	v_dual_lshrrev_b32 v14, s12, v13 :: v_dual_lshlrev_b32 v15, 2, v3
	s_sub_co_i32 s12, s3, s12
	s_delay_alu instid0(SALU_CYCLE_1)
	s_min_u32 s12, s12, 8
	s_delay_alu instid0(VALU_DEP_1) | instid1(SALU_CYCLE_1)
	v_bfe_u32 v14, v14, 0, s12
	s_delay_alu instid0(VALU_DEP_1)
	v_lshl_or_b32 v14, v14, 4, v15
	v_mov_b32_e32 v15, 1
	ds_add_u32 v14, v15 offset:4096
	v_mov_b32_e32 v14, 0
.LBB139_66:
	s_or_b32 exec_lo, exec_lo, s0
	s_mov_b32 s12, -1
	s_mov_b32 s13, exec_lo
	s_delay_alu instid0(VALU_DEP_1)
	v_cmpx_gt_i32_e32 10, v14
; %bb.67:
	v_cmp_eq_u32_e64 s0, 0, v14
	s_or_not1_b32 s12, s0, exec_lo
; %bb.68:
	s_or_b32 exec_lo, exec_lo, s13
	s_delay_alu instid0(SALU_CYCLE_1)
	s_and_b32 exec_lo, exec_lo, s12
	s_cbranch_execz .LBB139_76
; %bb.69:
	s_add_co_i32 s12, s2, 16
	s_delay_alu instid0(SALU_CYCLE_1) | instskip(SKIP_1) | instid1(SALU_CYCLE_1)
	s_cmp_le_u32 s3, s12
	s_cselect_b32 s0, -1, 0
	s_and_b32 s13, s0, exec_lo
	s_cselect_b32 s13, 8, 10
	s_delay_alu instid0(SALU_CYCLE_1) | instskip(SKIP_1) | instid1(SALU_CYCLE_1)
	v_mov_b32_e32 v14, s13
	s_nor_b32 s13, s0, vcc_lo
	s_and_saveexec_b32 s0, s13
	s_cbranch_execz .LBB139_71
; %bb.70:
	v_dual_lshrrev_b32 v14, s12, v13 :: v_dual_lshlrev_b32 v15, 2, v3
	s_sub_co_i32 s12, s3, s12
	s_delay_alu instid0(SALU_CYCLE_1)
	s_min_u32 s12, s12, 8
	s_delay_alu instid0(VALU_DEP_1) | instid1(SALU_CYCLE_1)
	v_bfe_u32 v14, v14, 0, s12
	s_delay_alu instid0(VALU_DEP_1)
	v_lshl_or_b32 v14, v14, 4, v15
	v_mov_b32_e32 v15, 1
	ds_add_u32 v14, v15 offset:8192
	v_mov_b32_e32 v14, 0
.LBB139_71:
	s_or_b32 exec_lo, exec_lo, s0
	s_mov_b32 s12, -1
	s_mov_b32 s13, exec_lo
	s_delay_alu instid0(VALU_DEP_1)
	v_cmpx_gt_i32_e32 10, v14
; %bb.72:
	v_cmp_eq_u32_e64 s0, 0, v14
	s_or_not1_b32 s12, s0, exec_lo
; %bb.73:
	s_or_b32 exec_lo, exec_lo, s13
	s_delay_alu instid0(SALU_CYCLE_1)
	s_and_b32 exec_lo, exec_lo, s12
	s_cbranch_execz .LBB139_76
; %bb.74:
	s_add_co_i32 s0, s2, 24
	s_delay_alu instid0(SALU_CYCLE_1) | instskip(SKIP_2) | instid1(SALU_CYCLE_1)
	s_cmp_gt_u32 s3, s0
	s_cselect_b32 s12, -1, 0
	s_xor_b32 s13, vcc_lo, -1
	s_and_b32 s12, s12, s13
	s_delay_alu instid0(SALU_CYCLE_1)
	s_and_b32 exec_lo, exec_lo, s12
	s_cbranch_execz .LBB139_76
; %bb.75:
	v_dual_lshrrev_b32 v13, s0, v13 :: v_dual_lshlrev_b32 v14, 2, v3
	s_sub_co_i32 s0, s3, s0
	s_delay_alu instid0(SALU_CYCLE_1)
	s_min_u32 s0, s0, 8
	s_delay_alu instid0(VALU_DEP_1) | instid1(SALU_CYCLE_1)
	v_bfe_u32 v13, v13, 0, s0
	s_delay_alu instid0(VALU_DEP_1)
	v_lshl_or_b32 v13, v13, 4, v14
	v_mov_b32_e32 v14, 1
	ds_add_u32 v13, v14 offset:12288
.LBB139_76:
	s_or_b32 exec_lo, exec_lo, s11
	v_cmp_le_u32_e32 vcc_lo, s10, v12
	v_mov_b32_e32 v12, s9
	s_nor_b32 s11, s1, vcc_lo
	s_delay_alu instid0(SALU_CYCLE_1)
	s_and_saveexec_b32 s0, s11
	s_cbranch_execz .LBB139_78
; %bb.77:
	v_lshrrev_b32_e32 v12, s2, v11
	s_sub_co_i32 s11, s3, s2
	v_lshlrev_b32_e32 v13, 2, v3
	s_min_u32 s11, s11, 8
	s_delay_alu instid0(VALU_DEP_2) | instid1(SALU_CYCLE_1)
	v_bfe_u32 v12, v12, 0, s11
	s_delay_alu instid0(VALU_DEP_1)
	v_lshl_or_b32 v12, v12, 4, v13
	v_mov_b32_e32 v13, 1
	ds_add_u32 v12, v13
	v_mov_b32_e32 v12, 0
.LBB139_78:
	s_or_b32 exec_lo, exec_lo, s0
	s_mov_b32 s12, -1
	s_mov_b32 s11, exec_lo
	s_delay_alu instid0(VALU_DEP_1)
	v_cmpx_gt_i32_e32 10, v12
; %bb.79:
	v_cmp_eq_u32_e64 s0, 0, v12
	s_or_not1_b32 s12, s0, exec_lo
; %bb.80:
	s_or_b32 exec_lo, exec_lo, s11
	s_and_saveexec_b32 s11, s12
	s_cbranch_execz .LBB139_93
; %bb.81:
	s_add_co_i32 s12, s2, 8
	s_delay_alu instid0(SALU_CYCLE_1) | instskip(SKIP_1) | instid1(SALU_CYCLE_1)
	s_cmp_le_u32 s3, s12
	s_cselect_b32 s0, -1, 0
	s_and_b32 s13, s0, exec_lo
	s_cselect_b32 s13, 8, 10
	s_delay_alu instid0(SALU_CYCLE_1) | instskip(SKIP_1) | instid1(SALU_CYCLE_1)
	v_mov_b32_e32 v12, s13
	s_nor_b32 s13, s0, vcc_lo
	s_and_saveexec_b32 s0, s13
	s_cbranch_execz .LBB139_83
; %bb.82:
	v_lshrrev_b32_e32 v12, s12, v11
	s_sub_co_i32 s12, s3, s12
	v_lshlrev_b32_e32 v13, 2, v3
	s_min_u32 s12, s12, 8
	s_delay_alu instid0(VALU_DEP_2) | instid1(SALU_CYCLE_1)
	v_bfe_u32 v12, v12, 0, s12
	s_delay_alu instid0(VALU_DEP_1)
	v_lshl_or_b32 v12, v12, 4, v13
	v_mov_b32_e32 v13, 1
	ds_add_u32 v12, v13 offset:4096
	v_mov_b32_e32 v12, 0
.LBB139_83:
	s_or_b32 exec_lo, exec_lo, s0
	s_mov_b32 s12, -1
	s_mov_b32 s13, exec_lo
	s_delay_alu instid0(VALU_DEP_1)
	v_cmpx_gt_i32_e32 10, v12
; %bb.84:
	v_cmp_eq_u32_e64 s0, 0, v12
	s_or_not1_b32 s12, s0, exec_lo
; %bb.85:
	s_or_b32 exec_lo, exec_lo, s13
	s_delay_alu instid0(SALU_CYCLE_1)
	s_and_b32 exec_lo, exec_lo, s12
	s_cbranch_execz .LBB139_93
; %bb.86:
	s_add_co_i32 s12, s2, 16
	s_delay_alu instid0(SALU_CYCLE_1) | instskip(SKIP_1) | instid1(SALU_CYCLE_1)
	s_cmp_le_u32 s3, s12
	s_cselect_b32 s0, -1, 0
	s_and_b32 s13, s0, exec_lo
	s_cselect_b32 s13, 8, 10
	s_delay_alu instid0(SALU_CYCLE_1) | instskip(SKIP_1) | instid1(SALU_CYCLE_1)
	v_mov_b32_e32 v12, s13
	s_nor_b32 s13, s0, vcc_lo
	s_and_saveexec_b32 s0, s13
	s_cbranch_execz .LBB139_88
; %bb.87:
	v_lshrrev_b32_e32 v12, s12, v11
	s_sub_co_i32 s12, s3, s12
	v_lshlrev_b32_e32 v13, 2, v3
	s_min_u32 s12, s12, 8
	s_delay_alu instid0(VALU_DEP_2) | instid1(SALU_CYCLE_1)
	v_bfe_u32 v12, v12, 0, s12
	s_delay_alu instid0(VALU_DEP_1)
	v_lshl_or_b32 v12, v12, 4, v13
	v_mov_b32_e32 v13, 1
	ds_add_u32 v12, v13 offset:8192
	v_mov_b32_e32 v12, 0
.LBB139_88:
	s_or_b32 exec_lo, exec_lo, s0
	s_mov_b32 s12, -1
	s_mov_b32 s13, exec_lo
	s_delay_alu instid0(VALU_DEP_1)
	v_cmpx_gt_i32_e32 10, v12
; %bb.89:
	v_cmp_eq_u32_e64 s0, 0, v12
	s_or_not1_b32 s12, s0, exec_lo
; %bb.90:
	s_or_b32 exec_lo, exec_lo, s13
	s_delay_alu instid0(SALU_CYCLE_1)
	s_and_b32 exec_lo, exec_lo, s12
	s_cbranch_execz .LBB139_93
; %bb.91:
	s_add_co_i32 s0, s2, 24
	s_delay_alu instid0(SALU_CYCLE_1) | instskip(SKIP_2) | instid1(SALU_CYCLE_1)
	s_cmp_gt_u32 s3, s0
	s_cselect_b32 s12, -1, 0
	s_xor_b32 s13, vcc_lo, -1
	s_and_b32 s12, s12, s13
	s_delay_alu instid0(SALU_CYCLE_1)
	s_and_b32 exec_lo, exec_lo, s12
	s_cbranch_execz .LBB139_93
; %bb.92:
	v_lshrrev_b32_e32 v11, s0, v11
	s_sub_co_i32 s0, s3, s0
	v_lshlrev_b32_e32 v12, 2, v3
	s_min_u32 s0, s0, 8
	s_delay_alu instid0(VALU_DEP_2) | instid1(SALU_CYCLE_1)
	v_bfe_u32 v11, v11, 0, s0
	s_delay_alu instid0(VALU_DEP_1)
	v_lshl_or_b32 v11, v11, 4, v12
	v_mov_b32_e32 v12, 1
	ds_add_u32 v11, v12 offset:12288
.LBB139_93:
	s_or_b32 exec_lo, exec_lo, s11
	v_cmp_le_u32_e32 vcc_lo, s10, v10
	v_mov_b32_e32 v10, s9
	s_nor_b32 s11, s1, vcc_lo
	s_delay_alu instid0(SALU_CYCLE_1)
	s_and_saveexec_b32 s0, s11
	s_cbranch_execz .LBB139_95
; %bb.94:
	v_dual_lshrrev_b32 v10, s2, v9 :: v_dual_lshlrev_b32 v11, 2, v3
	s_sub_co_i32 s11, s3, s2
	s_delay_alu instid0(SALU_CYCLE_1)
	s_min_u32 s11, s11, 8
	s_delay_alu instid0(VALU_DEP_1) | instid1(SALU_CYCLE_1)
	v_bfe_u32 v10, v10, 0, s11
	s_delay_alu instid0(VALU_DEP_1)
	v_lshl_or_b32 v10, v10, 4, v11
	v_mov_b32_e32 v11, 1
	ds_add_u32 v10, v11
	v_mov_b32_e32 v10, 0
.LBB139_95:
	s_or_b32 exec_lo, exec_lo, s0
	s_mov_b32 s12, -1
	s_mov_b32 s11, exec_lo
	s_delay_alu instid0(VALU_DEP_1)
	v_cmpx_gt_i32_e32 10, v10
; %bb.96:
	v_cmp_eq_u32_e64 s0, 0, v10
	s_or_not1_b32 s12, s0, exec_lo
; %bb.97:
	s_or_b32 exec_lo, exec_lo, s11
	s_and_saveexec_b32 s11, s12
	s_cbranch_execz .LBB139_110
; %bb.98:
	s_add_co_i32 s12, s2, 8
	s_delay_alu instid0(SALU_CYCLE_1) | instskip(SKIP_1) | instid1(SALU_CYCLE_1)
	s_cmp_le_u32 s3, s12
	s_cselect_b32 s0, -1, 0
	s_and_b32 s13, s0, exec_lo
	s_cselect_b32 s13, 8, 10
	s_delay_alu instid0(SALU_CYCLE_1) | instskip(SKIP_1) | instid1(SALU_CYCLE_1)
	v_mov_b32_e32 v10, s13
	s_nor_b32 s13, s0, vcc_lo
	s_and_saveexec_b32 s0, s13
	s_cbranch_execz .LBB139_100
; %bb.99:
	v_dual_lshrrev_b32 v10, s12, v9 :: v_dual_lshlrev_b32 v11, 2, v3
	s_sub_co_i32 s12, s3, s12
	s_delay_alu instid0(SALU_CYCLE_1)
	s_min_u32 s12, s12, 8
	s_delay_alu instid0(VALU_DEP_1) | instid1(SALU_CYCLE_1)
	v_bfe_u32 v10, v10, 0, s12
	s_delay_alu instid0(VALU_DEP_1)
	v_lshl_or_b32 v10, v10, 4, v11
	v_mov_b32_e32 v11, 1
	ds_add_u32 v10, v11 offset:4096
	v_mov_b32_e32 v10, 0
.LBB139_100:
	s_or_b32 exec_lo, exec_lo, s0
	s_mov_b32 s12, -1
	s_mov_b32 s13, exec_lo
	s_delay_alu instid0(VALU_DEP_1)
	v_cmpx_gt_i32_e32 10, v10
; %bb.101:
	v_cmp_eq_u32_e64 s0, 0, v10
	s_or_not1_b32 s12, s0, exec_lo
; %bb.102:
	s_or_b32 exec_lo, exec_lo, s13
	s_delay_alu instid0(SALU_CYCLE_1)
	s_and_b32 exec_lo, exec_lo, s12
	s_cbranch_execz .LBB139_110
; %bb.103:
	s_add_co_i32 s12, s2, 16
	s_delay_alu instid0(SALU_CYCLE_1) | instskip(SKIP_1) | instid1(SALU_CYCLE_1)
	s_cmp_le_u32 s3, s12
	s_cselect_b32 s0, -1, 0
	s_and_b32 s13, s0, exec_lo
	s_cselect_b32 s13, 8, 10
	s_delay_alu instid0(SALU_CYCLE_1) | instskip(SKIP_1) | instid1(SALU_CYCLE_1)
	v_mov_b32_e32 v10, s13
	s_nor_b32 s13, s0, vcc_lo
	s_and_saveexec_b32 s0, s13
	s_cbranch_execz .LBB139_105
; %bb.104:
	v_dual_lshrrev_b32 v10, s12, v9 :: v_dual_lshlrev_b32 v11, 2, v3
	s_sub_co_i32 s12, s3, s12
	s_delay_alu instid0(SALU_CYCLE_1)
	s_min_u32 s12, s12, 8
	s_delay_alu instid0(VALU_DEP_1) | instid1(SALU_CYCLE_1)
	v_bfe_u32 v10, v10, 0, s12
	s_delay_alu instid0(VALU_DEP_1)
	v_lshl_or_b32 v10, v10, 4, v11
	v_mov_b32_e32 v11, 1
	ds_add_u32 v10, v11 offset:8192
	v_mov_b32_e32 v10, 0
.LBB139_105:
	s_or_b32 exec_lo, exec_lo, s0
	s_mov_b32 s12, -1
	s_mov_b32 s13, exec_lo
	s_delay_alu instid0(VALU_DEP_1)
	v_cmpx_gt_i32_e32 10, v10
; %bb.106:
	v_cmp_eq_u32_e64 s0, 0, v10
	s_or_not1_b32 s12, s0, exec_lo
; %bb.107:
	s_or_b32 exec_lo, exec_lo, s13
	s_delay_alu instid0(SALU_CYCLE_1)
	s_and_b32 exec_lo, exec_lo, s12
	s_cbranch_execz .LBB139_110
; %bb.108:
	s_add_co_i32 s0, s2, 24
	s_delay_alu instid0(SALU_CYCLE_1) | instskip(SKIP_2) | instid1(SALU_CYCLE_1)
	s_cmp_gt_u32 s3, s0
	s_cselect_b32 s12, -1, 0
	s_xor_b32 s13, vcc_lo, -1
	s_and_b32 s12, s12, s13
	s_delay_alu instid0(SALU_CYCLE_1)
	s_and_b32 exec_lo, exec_lo, s12
	s_cbranch_execz .LBB139_110
; %bb.109:
	v_dual_lshrrev_b32 v9, s0, v9 :: v_dual_lshlrev_b32 v10, 2, v3
	s_sub_co_i32 s0, s3, s0
	s_delay_alu instid0(SALU_CYCLE_1)
	s_min_u32 s0, s0, 8
	s_delay_alu instid0(VALU_DEP_1) | instid1(SALU_CYCLE_1)
	v_bfe_u32 v9, v9, 0, s0
	s_delay_alu instid0(VALU_DEP_1)
	v_lshl_or_b32 v9, v9, 4, v10
	v_mov_b32_e32 v10, 1
	ds_add_u32 v9, v10 offset:12288
.LBB139_110:
	s_or_b32 exec_lo, exec_lo, s11
	v_cmp_le_u32_e32 vcc_lo, s10, v8
	v_mov_b32_e32 v8, s9
	s_nor_b32 s11, s1, vcc_lo
	s_delay_alu instid0(SALU_CYCLE_1)
	s_and_saveexec_b32 s0, s11
	s_cbranch_execz .LBB139_112
; %bb.111:
	v_lshrrev_b32_e32 v8, s2, v7
	s_sub_co_i32 s11, s3, s2
	v_lshlrev_b32_e32 v9, 2, v3
	s_min_u32 s11, s11, 8
	s_delay_alu instid0(VALU_DEP_2) | instid1(SALU_CYCLE_1)
	v_bfe_u32 v8, v8, 0, s11
	s_delay_alu instid0(VALU_DEP_1)
	v_lshl_or_b32 v8, v8, 4, v9
	v_mov_b32_e32 v9, 1
	ds_add_u32 v8, v9
	v_mov_b32_e32 v8, 0
.LBB139_112:
	s_or_b32 exec_lo, exec_lo, s0
	s_mov_b32 s12, -1
	s_mov_b32 s11, exec_lo
	s_delay_alu instid0(VALU_DEP_1)
	v_cmpx_gt_i32_e32 10, v8
; %bb.113:
	v_cmp_eq_u32_e64 s0, 0, v8
	s_or_not1_b32 s12, s0, exec_lo
; %bb.114:
	s_or_b32 exec_lo, exec_lo, s11
	s_and_saveexec_b32 s11, s12
	s_cbranch_execz .LBB139_127
; %bb.115:
	s_add_co_i32 s12, s2, 8
	s_delay_alu instid0(SALU_CYCLE_1) | instskip(SKIP_1) | instid1(SALU_CYCLE_1)
	s_cmp_le_u32 s3, s12
	s_cselect_b32 s0, -1, 0
	s_and_b32 s13, s0, exec_lo
	s_cselect_b32 s13, 8, 10
	s_delay_alu instid0(SALU_CYCLE_1) | instskip(SKIP_1) | instid1(SALU_CYCLE_1)
	v_mov_b32_e32 v8, s13
	s_nor_b32 s13, s0, vcc_lo
	s_and_saveexec_b32 s0, s13
	s_cbranch_execz .LBB139_117
; %bb.116:
	v_lshrrev_b32_e32 v8, s12, v7
	s_sub_co_i32 s12, s3, s12
	v_lshlrev_b32_e32 v9, 2, v3
	s_min_u32 s12, s12, 8
	s_delay_alu instid0(VALU_DEP_2) | instid1(SALU_CYCLE_1)
	v_bfe_u32 v8, v8, 0, s12
	s_delay_alu instid0(VALU_DEP_1)
	v_lshl_or_b32 v8, v8, 4, v9
	v_mov_b32_e32 v9, 1
	ds_add_u32 v8, v9 offset:4096
	v_mov_b32_e32 v8, 0
.LBB139_117:
	s_or_b32 exec_lo, exec_lo, s0
	s_mov_b32 s12, -1
	s_mov_b32 s13, exec_lo
	s_delay_alu instid0(VALU_DEP_1)
	v_cmpx_gt_i32_e32 10, v8
; %bb.118:
	v_cmp_eq_u32_e64 s0, 0, v8
	s_or_not1_b32 s12, s0, exec_lo
; %bb.119:
	s_or_b32 exec_lo, exec_lo, s13
	s_delay_alu instid0(SALU_CYCLE_1)
	s_and_b32 exec_lo, exec_lo, s12
	s_cbranch_execz .LBB139_127
; %bb.120:
	s_add_co_i32 s12, s2, 16
	s_delay_alu instid0(SALU_CYCLE_1) | instskip(SKIP_1) | instid1(SALU_CYCLE_1)
	s_cmp_le_u32 s3, s12
	s_cselect_b32 s0, -1, 0
	s_and_b32 s13, s0, exec_lo
	s_cselect_b32 s13, 8, 10
	s_delay_alu instid0(SALU_CYCLE_1) | instskip(SKIP_1) | instid1(SALU_CYCLE_1)
	v_mov_b32_e32 v8, s13
	s_nor_b32 s13, s0, vcc_lo
	s_and_saveexec_b32 s0, s13
	s_cbranch_execz .LBB139_122
; %bb.121:
	v_lshrrev_b32_e32 v8, s12, v7
	s_sub_co_i32 s12, s3, s12
	v_lshlrev_b32_e32 v9, 2, v3
	s_min_u32 s12, s12, 8
	s_delay_alu instid0(VALU_DEP_2) | instid1(SALU_CYCLE_1)
	v_bfe_u32 v8, v8, 0, s12
	s_delay_alu instid0(VALU_DEP_1)
	v_lshl_or_b32 v8, v8, 4, v9
	v_mov_b32_e32 v9, 1
	ds_add_u32 v8, v9 offset:8192
	v_mov_b32_e32 v8, 0
.LBB139_122:
	s_or_b32 exec_lo, exec_lo, s0
	s_mov_b32 s12, -1
	s_mov_b32 s13, exec_lo
	s_delay_alu instid0(VALU_DEP_1)
	v_cmpx_gt_i32_e32 10, v8
; %bb.123:
	v_cmp_eq_u32_e64 s0, 0, v8
	s_or_not1_b32 s12, s0, exec_lo
; %bb.124:
	s_or_b32 exec_lo, exec_lo, s13
	s_delay_alu instid0(SALU_CYCLE_1)
	s_and_b32 exec_lo, exec_lo, s12
	s_cbranch_execz .LBB139_127
; %bb.125:
	s_add_co_i32 s0, s2, 24
	s_delay_alu instid0(SALU_CYCLE_1) | instskip(SKIP_2) | instid1(SALU_CYCLE_1)
	s_cmp_gt_u32 s3, s0
	s_cselect_b32 s12, -1, 0
	s_xor_b32 s13, vcc_lo, -1
	s_and_b32 s12, s12, s13
	s_delay_alu instid0(SALU_CYCLE_1)
	s_and_b32 exec_lo, exec_lo, s12
	s_cbranch_execz .LBB139_127
; %bb.126:
	v_lshrrev_b32_e32 v7, s0, v7
	s_sub_co_i32 s0, s3, s0
	v_lshlrev_b32_e32 v8, 2, v3
	s_min_u32 s0, s0, 8
	s_delay_alu instid0(VALU_DEP_2) | instid1(SALU_CYCLE_1)
	v_bfe_u32 v7, v7, 0, s0
	s_delay_alu instid0(VALU_DEP_1)
	v_lshl_or_b32 v7, v7, 4, v8
	v_mov_b32_e32 v8, 1
	ds_add_u32 v7, v8 offset:12288
.LBB139_127:
	s_or_b32 exec_lo, exec_lo, s11
	v_cmp_le_u32_e32 vcc_lo, s10, v6
	v_mov_b32_e32 v6, s9
	s_nor_b32 s11, s1, vcc_lo
	s_delay_alu instid0(SALU_CYCLE_1)
	s_and_saveexec_b32 s0, s11
	s_cbranch_execz .LBB139_129
; %bb.128:
	v_dual_lshrrev_b32 v6, s2, v5 :: v_dual_lshlrev_b32 v7, 2, v3
	s_sub_co_i32 s11, s3, s2
	s_delay_alu instid0(SALU_CYCLE_1)
	s_min_u32 s11, s11, 8
	s_delay_alu instid0(VALU_DEP_1) | instid1(SALU_CYCLE_1)
	v_bfe_u32 v6, v6, 0, s11
	s_delay_alu instid0(VALU_DEP_1)
	v_lshl_or_b32 v6, v6, 4, v7
	v_mov_b32_e32 v7, 1
	ds_add_u32 v6, v7
	v_mov_b32_e32 v6, 0
.LBB139_129:
	s_or_b32 exec_lo, exec_lo, s0
	s_mov_b32 s12, -1
	s_mov_b32 s11, exec_lo
	s_delay_alu instid0(VALU_DEP_1)
	v_cmpx_gt_i32_e32 10, v6
; %bb.130:
	v_cmp_eq_u32_e64 s0, 0, v6
	s_or_not1_b32 s12, s0, exec_lo
; %bb.131:
	s_or_b32 exec_lo, exec_lo, s11
	s_and_saveexec_b32 s11, s12
	s_cbranch_execz .LBB139_144
; %bb.132:
	s_add_co_i32 s12, s2, 8
	s_delay_alu instid0(SALU_CYCLE_1) | instskip(SKIP_1) | instid1(SALU_CYCLE_1)
	s_cmp_le_u32 s3, s12
	s_cselect_b32 s0, -1, 0
	s_and_b32 s13, s0, exec_lo
	s_cselect_b32 s13, 8, 10
	s_delay_alu instid0(SALU_CYCLE_1) | instskip(SKIP_1) | instid1(SALU_CYCLE_1)
	v_mov_b32_e32 v6, s13
	s_nor_b32 s13, s0, vcc_lo
	s_and_saveexec_b32 s0, s13
	s_cbranch_execz .LBB139_134
; %bb.133:
	v_dual_lshrrev_b32 v6, s12, v5 :: v_dual_lshlrev_b32 v7, 2, v3
	s_sub_co_i32 s12, s3, s12
	s_delay_alu instid0(SALU_CYCLE_1)
	s_min_u32 s12, s12, 8
	s_delay_alu instid0(VALU_DEP_1) | instid1(SALU_CYCLE_1)
	v_bfe_u32 v6, v6, 0, s12
	s_delay_alu instid0(VALU_DEP_1)
	v_lshl_or_b32 v6, v6, 4, v7
	v_mov_b32_e32 v7, 1
	ds_add_u32 v6, v7 offset:4096
	v_mov_b32_e32 v6, 0
.LBB139_134:
	s_or_b32 exec_lo, exec_lo, s0
	s_mov_b32 s12, -1
	s_mov_b32 s13, exec_lo
	s_delay_alu instid0(VALU_DEP_1)
	v_cmpx_gt_i32_e32 10, v6
; %bb.135:
	v_cmp_eq_u32_e64 s0, 0, v6
	s_or_not1_b32 s12, s0, exec_lo
; %bb.136:
	s_or_b32 exec_lo, exec_lo, s13
	s_delay_alu instid0(SALU_CYCLE_1)
	s_and_b32 exec_lo, exec_lo, s12
	s_cbranch_execz .LBB139_144
; %bb.137:
	s_add_co_i32 s12, s2, 16
	s_delay_alu instid0(SALU_CYCLE_1) | instskip(SKIP_1) | instid1(SALU_CYCLE_1)
	s_cmp_le_u32 s3, s12
	s_cselect_b32 s0, -1, 0
	s_and_b32 s13, s0, exec_lo
	s_cselect_b32 s13, 8, 10
	s_delay_alu instid0(SALU_CYCLE_1) | instskip(SKIP_1) | instid1(SALU_CYCLE_1)
	v_mov_b32_e32 v6, s13
	s_nor_b32 s13, s0, vcc_lo
	s_and_saveexec_b32 s0, s13
	s_cbranch_execz .LBB139_139
; %bb.138:
	v_dual_lshrrev_b32 v6, s12, v5 :: v_dual_lshlrev_b32 v7, 2, v3
	s_sub_co_i32 s12, s3, s12
	s_delay_alu instid0(SALU_CYCLE_1)
	s_min_u32 s12, s12, 8
	s_delay_alu instid0(VALU_DEP_1) | instid1(SALU_CYCLE_1)
	v_bfe_u32 v6, v6, 0, s12
	s_delay_alu instid0(VALU_DEP_1)
	v_lshl_or_b32 v6, v6, 4, v7
	v_mov_b32_e32 v7, 1
	ds_add_u32 v6, v7 offset:8192
	v_mov_b32_e32 v6, 0
.LBB139_139:
	s_or_b32 exec_lo, exec_lo, s0
	s_mov_b32 s12, -1
	s_mov_b32 s13, exec_lo
	s_delay_alu instid0(VALU_DEP_1)
	v_cmpx_gt_i32_e32 10, v6
; %bb.140:
	v_cmp_eq_u32_e64 s0, 0, v6
	s_or_not1_b32 s12, s0, exec_lo
; %bb.141:
	s_or_b32 exec_lo, exec_lo, s13
	s_delay_alu instid0(SALU_CYCLE_1)
	s_and_b32 exec_lo, exec_lo, s12
	s_cbranch_execz .LBB139_144
; %bb.142:
	s_add_co_i32 s0, s2, 24
	s_delay_alu instid0(SALU_CYCLE_1) | instskip(SKIP_2) | instid1(SALU_CYCLE_1)
	s_cmp_gt_u32 s3, s0
	s_cselect_b32 s12, -1, 0
	s_xor_b32 s13, vcc_lo, -1
	s_and_b32 s12, s12, s13
	s_delay_alu instid0(SALU_CYCLE_1)
	s_and_b32 exec_lo, exec_lo, s12
	s_cbranch_execz .LBB139_144
; %bb.143:
	v_dual_lshrrev_b32 v5, s0, v5 :: v_dual_lshlrev_b32 v6, 2, v3
	s_sub_co_i32 s0, s3, s0
	s_delay_alu instid0(SALU_CYCLE_1)
	s_min_u32 s0, s0, 8
	s_delay_alu instid0(VALU_DEP_1) | instid1(SALU_CYCLE_1)
	v_bfe_u32 v5, v5, 0, s0
	s_delay_alu instid0(VALU_DEP_1)
	v_lshl_or_b32 v5, v5, 4, v6
	v_mov_b32_e32 v6, 1
	ds_add_u32 v5, v6 offset:12288
.LBB139_144:
	s_or_b32 exec_lo, exec_lo, s11
	v_cmp_le_u32_e32 vcc_lo, s10, v4
	v_mov_b32_e32 v4, s9
	s_nor_b32 s1, s1, vcc_lo
	s_delay_alu instid0(SALU_CYCLE_1)
	s_and_saveexec_b32 s0, s1
	s_cbranch_execz .LBB139_146
; %bb.145:
	v_dual_lshrrev_b32 v4, s2, v2 :: v_dual_lshlrev_b32 v5, 2, v3
	s_sub_co_i32 s1, s3, s2
	s_delay_alu instid0(SALU_CYCLE_1)
	s_min_u32 s1, s1, 8
	s_delay_alu instid0(VALU_DEP_1) | instid1(SALU_CYCLE_1)
	v_bfe_u32 v4, v4, 0, s1
	s_delay_alu instid0(VALU_DEP_1)
	v_lshl_or_b32 v4, v4, 4, v5
	v_mov_b32_e32 v5, 1
	ds_add_u32 v4, v5
	v_mov_b32_e32 v4, 0
.LBB139_146:
	s_or_b32 exec_lo, exec_lo, s0
	s_mov_b32 s9, -1
	s_mov_b32 s1, exec_lo
	s_delay_alu instid0(VALU_DEP_1)
	v_cmpx_gt_i32_e32 10, v4
; %bb.147:
	v_cmp_eq_u32_e64 s0, 0, v4
	s_or_not1_b32 s9, s0, exec_lo
; %bb.148:
	s_or_b32 exec_lo, exec_lo, s1
	s_and_saveexec_b32 s1, s9
	s_cbranch_execz .LBB139_161
; %bb.149:
	s_add_co_i32 s9, s2, 8
	s_delay_alu instid0(SALU_CYCLE_1) | instskip(SKIP_1) | instid1(SALU_CYCLE_1)
	s_cmp_le_u32 s3, s9
	s_cselect_b32 s0, -1, 0
	s_and_b32 s10, s0, exec_lo
	s_cselect_b32 s10, 8, 10
	s_delay_alu instid0(SALU_CYCLE_1) | instskip(SKIP_1) | instid1(SALU_CYCLE_1)
	v_mov_b32_e32 v4, s10
	s_nor_b32 s10, s0, vcc_lo
	s_and_saveexec_b32 s0, s10
	s_cbranch_execz .LBB139_151
; %bb.150:
	v_dual_lshrrev_b32 v4, s9, v2 :: v_dual_lshlrev_b32 v5, 2, v3
	s_sub_co_i32 s9, s3, s9
	s_delay_alu instid0(SALU_CYCLE_1)
	s_min_u32 s9, s9, 8
	s_delay_alu instid0(VALU_DEP_1) | instid1(SALU_CYCLE_1)
	v_bfe_u32 v4, v4, 0, s9
	s_delay_alu instid0(VALU_DEP_1)
	v_lshl_or_b32 v4, v4, 4, v5
	v_mov_b32_e32 v5, 1
	ds_add_u32 v4, v5 offset:4096
	v_mov_b32_e32 v4, 0
.LBB139_151:
	s_or_b32 exec_lo, exec_lo, s0
	s_mov_b32 s9, -1
	s_mov_b32 s10, exec_lo
	s_delay_alu instid0(VALU_DEP_1)
	v_cmpx_gt_i32_e32 10, v4
; %bb.152:
	v_cmp_eq_u32_e64 s0, 0, v4
	s_or_not1_b32 s9, s0, exec_lo
; %bb.153:
	s_or_b32 exec_lo, exec_lo, s10
	s_delay_alu instid0(SALU_CYCLE_1)
	s_and_b32 exec_lo, exec_lo, s9
	s_cbranch_execz .LBB139_161
; %bb.154:
	s_add_co_i32 s9, s2, 16
	s_delay_alu instid0(SALU_CYCLE_1) | instskip(SKIP_1) | instid1(SALU_CYCLE_1)
	s_cmp_le_u32 s3, s9
	s_cselect_b32 s0, -1, 0
	s_and_b32 s10, s0, exec_lo
	s_cselect_b32 s10, 8, 10
	s_delay_alu instid0(SALU_CYCLE_1) | instskip(SKIP_1) | instid1(SALU_CYCLE_1)
	v_mov_b32_e32 v4, s10
	s_nor_b32 s10, s0, vcc_lo
	s_and_saveexec_b32 s0, s10
	s_cbranch_execz .LBB139_156
; %bb.155:
	v_dual_lshrrev_b32 v4, s9, v2 :: v_dual_lshlrev_b32 v5, 2, v3
	s_sub_co_i32 s9, s3, s9
	s_delay_alu instid0(SALU_CYCLE_1)
	s_min_u32 s9, s9, 8
	s_delay_alu instid0(VALU_DEP_1) | instid1(SALU_CYCLE_1)
	v_bfe_u32 v4, v4, 0, s9
	s_delay_alu instid0(VALU_DEP_1)
	v_lshl_or_b32 v4, v4, 4, v5
	v_mov_b32_e32 v5, 1
	ds_add_u32 v4, v5 offset:8192
	v_mov_b32_e32 v4, 0
.LBB139_156:
	s_or_b32 exec_lo, exec_lo, s0
	s_mov_b32 s9, -1
	s_mov_b32 s10, exec_lo
	s_delay_alu instid0(VALU_DEP_1)
	v_cmpx_gt_i32_e32 10, v4
; %bb.157:
	v_cmp_eq_u32_e64 s0, 0, v4
	s_or_not1_b32 s9, s0, exec_lo
; %bb.158:
	s_or_b32 exec_lo, exec_lo, s10
	s_delay_alu instid0(SALU_CYCLE_1)
	s_and_b32 exec_lo, exec_lo, s9
	s_cbranch_execz .LBB139_161
; %bb.159:
	s_add_co_i32 s0, s2, 24
	s_delay_alu instid0(SALU_CYCLE_1) | instskip(SKIP_2) | instid1(SALU_CYCLE_1)
	s_cmp_gt_u32 s3, s0
	s_cselect_b32 s9, -1, 0
	s_xor_b32 s10, vcc_lo, -1
	s_and_b32 s9, s9, s10
	s_delay_alu instid0(SALU_CYCLE_1)
	s_and_b32 exec_lo, exec_lo, s9
	s_cbranch_execz .LBB139_161
; %bb.160:
	v_dual_lshrrev_b32 v2, s0, v2 :: v_dual_lshlrev_b32 v3, 2, v3
	s_sub_co_i32 s0, s3, s0
	s_delay_alu instid0(SALU_CYCLE_1)
	s_min_u32 s0, s0, 8
	s_delay_alu instid0(VALU_DEP_1) | instid1(SALU_CYCLE_1)
	v_bfe_u32 v2, v2, 0, s0
	s_delay_alu instid0(VALU_DEP_1)
	v_lshl_or_b32 v2, v2, 4, v3
	v_mov_b32_e32 v3, 1
	ds_add_u32 v2, v3 offset:12288
.LBB139_161:
	s_or_b32 exec_lo, exec_lo, s1
	s_cmp_gt_u32 s3, s2
	s_wait_dscnt 0x0
	s_barrier_signal -1
	s_barrier_wait -1
	s_cbranch_scc0 .LBB139_166
; %bb.162:
	v_mad_u32_u24 v1, v0, 12, v1
	v_mov_b32_e32 v2, v0
	s_mov_b32 s0, s2
	v_cmp_gt_u32_e32 vcc_lo, 0x100, v0
	s_branch .LBB139_164
.LBB139_163:                            ;   in Loop: Header=BB139_164 Depth=1
	s_wait_xcnt 0x0
	s_or_b32 exec_lo, exec_lo, s1
	v_add_nc_u32_e32 v2, 0x100, v2
	v_add_nc_u32_e32 v1, 0x1000, v1
	s_add_co_i32 s0, s0, 8
	s_delay_alu instid0(SALU_CYCLE_1)
	s_cmp_lt_u32 s0, s3
	s_cbranch_scc0 .LBB139_166
.LBB139_164:                            ; =>This Inner Loop Header: Depth=1
	s_and_saveexec_b32 s1, vcc_lo
	s_cbranch_execz .LBB139_163
; %bb.165:                              ;   in Loop: Header=BB139_164 Depth=1
	ds_load_2addr_b32 v[4:5], v1 offset1:1
	ds_load_2addr_b32 v[6:7], v1 offset0:2 offset1:3
	s_wait_dscnt 0x1
	v_add_nc_u32_e32 v3, v5, v4
	s_wait_dscnt 0x0
	s_delay_alu instid0(VALU_DEP_1)
	v_add3_u32 v3, v3, v6, v7
	global_atomic_add_u32 v2, v3, s[6:7] scale_offset scope:SCOPE_DEV
	s_branch .LBB139_163
.LBB139_166:
	s_mov_b32 s11, 0
.LBB139_167:
	s_delay_alu instid0(SALU_CYCLE_1)
	s_and_b32 vcc_lo, exec_lo, s11
	s_cbranch_vccz .LBB139_243
; %bb.168:
	s_cmp_eq_u32 s2, 0
	s_mov_b32 s9, 0
	s_cselect_b32 s10, -1, 0
	s_cmp_eq_u32 s3, 32
	v_dual_mov_b32 v10, 0 :: v_dual_lshlrev_b32 v9, 2, v0
	s_cselect_b32 s11, -1, 0
	s_lshl_b64 s[0:1], s[8:9], 2
	s_delay_alu instid0(SALU_CYCLE_1)
	s_add_nc_u64 s[0:1], s[4:5], s[0:1]
	s_clause 0x7
	global_load_b32 v8, v0, s[0:1] scale_offset
	global_load_b32 v7, v0, s[0:1] offset:2048 scale_offset
	global_load_b32 v6, v0, s[0:1] offset:4096 scale_offset
	;; [unrolled: 1-line block ×7, first 2 shown]
	s_wait_xcnt 0x0
	s_and_b32 s0, s10, s11
	v_cmp_gt_u32_e64 s4, 7, 3
	s_and_b32 vcc_lo, exec_lo, s0
	v_cmp_gt_u32_e64 s0, 7, 4
	s_mov_b32 s1, -1
	s_cbranch_vccnz .LBB139_232
; %bb.169:
	ds_store_2addr_stride64_b32 v9, v10, v10 offset1:8
	ds_store_2addr_stride64_b32 v9, v10, v10 offset0:16 offset1:24
	s_and_saveexec_b32 s1, s4
; %bb.170:
	v_mov_b32_e32 v10, 0
	ds_store_b32 v9, v10 offset:8192
; %bb.171:
	s_or_b32 exec_lo, exec_lo, s1
	s_and_saveexec_b32 s1, s0
; %bb.172:
	v_mov_b32_e32 v10, 0
	ds_store_b32 v9, v10 offset:10240
; %bb.173:
	s_or_b32 exec_lo, exec_lo, s1
	v_cmp_gt_u32_e64 s0, 7, 6
	s_mov_b32 s1, exec_lo
	v_cmpx_gt_u32_e64 7, 5
; %bb.174:
	v_mov_b32_e32 v10, 0
	ds_store_b32 v9, v10 offset:12288
; %bb.175:
	s_or_b32 exec_lo, exec_lo, s1
	s_and_saveexec_b32 s1, s0
; %bb.176:
	v_mov_b32_e32 v10, 0
	ds_store_b32 v9, v10 offset:14336
; %bb.177:
	s_or_b32 exec_lo, exec_lo, s1
	s_cmp_gt_u32 s3, s2
	s_wait_storecnt 0x0
	s_wait_loadcnt_dscnt 0x0
	s_cselect_b32 s0, -1, 0
	s_barrier_signal -1
	s_and_b32 vcc_lo, exec_lo, s0
	s_barrier_wait -1
	s_cbranch_vccz .LBB139_226
; %bb.178:
	s_sub_co_i32 s1, s3, s2
	v_dual_mov_b32 v13, 1 :: v_dual_bitop2_b32 v10, 3, v0 bitop3:0x40
	v_lshrrev_b32_e32 v12, s2, v8
	s_min_u32 s1, s1, 8
	s_mov_b32 s9, -1
	s_lshl_b32 s4, -1, s1
	v_lshlrev_b32_e32 v11, 2, v10
	v_bitop3_b32 v12, v12, s4, v12 bitop3:0x30
	s_add_co_i32 s1, s2, 8
	s_not_b32 s4, s4
	s_cmp_le_u32 s3, s1
	s_delay_alu instid0(VALU_DEP_1) | instskip(SKIP_1) | instid1(SALU_CYCLE_1)
	v_lshl_or_b32 v12, v12, 4, v11
	s_cselect_b32 s5, -1, 0
	s_and_b32 vcc_lo, exec_lo, s5
	ds_add_u32 v12, v13
	v_lshrrev_b32_e32 v12, s2, v7
	s_delay_alu instid0(VALU_DEP_1)
	v_and_b32_e32 v12, s4, v12
	s_cbranch_vccz .LBB139_180
; %bb.179:
	s_delay_alu instid0(VALU_DEP_1)
	v_lshlrev_b32_e32 v13, 4, v12
	s_mov_b32 s8, -1
	s_cbranch_execz .LBB139_181
	s_branch .LBB139_188
.LBB139_180:
	s_mov_b32 s8, 0
                                        ; implicit-def: $vgpr13
	s_and_not1_b32 vcc_lo, exec_lo, s9
	s_cbranch_vccnz .LBB139_188
.LBB139_181:
	s_sub_co_i32 s9, s3, s1
	v_lshrrev_b32_e32 v13, s1, v8
	s_min_u32 s9, s9, 8
	s_delay_alu instid0(SALU_CYCLE_1) | instskip(SKIP_1) | instid1(VALU_DEP_1)
	s_lshl_b32 s10, -1, s9
	s_add_co_i32 s9, s2, 16
	v_bitop3_b32 v13, v13, s10, v13 bitop3:0x30
	s_not_b32 s11, s10
	s_cmp_gt_u32 s3, s9
	s_cselect_b32 s10, -1, 0
	s_delay_alu instid0(VALU_DEP_1)
	v_lshl_or_b32 v14, v13, 4, v11
	v_mov_b32_e32 v13, 1
	s_cmp_le_u32 s3, s9
	ds_add_u32 v14, v13 offset:4096
	s_cbranch_scc1 .LBB139_184
; %bb.182:
	v_lshrrev_b32_e32 v14, s9, v8
	s_sub_co_i32 s12, s3, s9
	s_delay_alu instid0(SALU_CYCLE_1)
	s_min_u32 s12, s12, 8
	s_delay_alu instid0(VALU_DEP_1) | instid1(SALU_CYCLE_1)
	v_bfe_u32 v14, v14, 0, s12
	s_add_co_i32 s12, s2, 24
	s_delay_alu instid0(SALU_CYCLE_1) | instskip(NEXT) | instid1(VALU_DEP_1)
	s_cmp_le_u32 s3, s12
	v_lshl_or_b32 v14, v14, 4, v11
	ds_add_u32 v14, v13 offset:8192
	s_cbranch_scc1 .LBB139_184
; %bb.183:
	v_dual_mov_b32 v15, 1 :: v_dual_lshrrev_b32 v14, s12, v8
	s_sub_co_i32 s12, s3, s12
	s_delay_alu instid0(SALU_CYCLE_1)
	s_min_u32 s12, s12, 8
	s_delay_alu instid0(VALU_DEP_1) | instid1(SALU_CYCLE_1)
	v_bfe_u32 v14, v14, 0, s12
	s_delay_alu instid0(VALU_DEP_1)
	v_lshl_or_b32 v14, v14, 4, v11
	ds_add_u32 v14, v15 offset:12288
.LBB139_184:
	v_lshrrev_b32_e32 v14, s1, v7
	v_lshl_or_b32 v12, v12, 4, v11
	s_and_not1_b32 vcc_lo, exec_lo, s10
	s_delay_alu instid0(VALU_DEP_2) | instskip(NEXT) | instid1(VALU_DEP_1)
	v_and_b32_e32 v14, s11, v14
	v_lshl_or_b32 v14, v14, 4, v11
	ds_add_u32 v12, v13
	ds_add_u32 v14, v13 offset:4096
	s_cbranch_vccnz .LBB139_187
; %bb.185:
	v_dual_mov_b32 v13, 1 :: v_dual_lshrrev_b32 v12, s9, v7
	s_sub_co_i32 s9, s3, s9
	s_delay_alu instid0(SALU_CYCLE_1)
	s_min_u32 s9, s9, 8
	s_delay_alu instid0(VALU_DEP_1) | instid1(SALU_CYCLE_1)
	v_bfe_u32 v12, v12, 0, s9
	s_add_co_i32 s9, s2, 24
	s_delay_alu instid0(SALU_CYCLE_1) | instskip(NEXT) | instid1(VALU_DEP_1)
	s_cmp_gt_u32 s3, s9
	v_lshl_or_b32 v12, v12, 4, v11
	ds_add_u32 v12, v13 offset:8192
                                        ; implicit-def: $vgpr13
	s_cbranch_scc0 .LBB139_188
; %bb.186:
	v_lshrrev_b32_e32 v12, s9, v7
	s_sub_co_i32 s8, s3, s9
	s_delay_alu instid0(SALU_CYCLE_1)
	s_min_u32 s8, s8, 8
	s_delay_alu instid0(VALU_DEP_1) | instid1(SALU_CYCLE_1)
	v_bfe_u32 v12, v12, 0, s8
	s_mov_b32 s8, -1
	s_delay_alu instid0(VALU_DEP_1)
	v_lshl_add_u32 v13, v12, 4, 0x3000
	s_branch .LBB139_188
.LBB139_187:
                                        ; implicit-def: $vgpr13
.LBB139_188:
	s_and_b32 vcc_lo, exec_lo, s8
	s_cbranch_vccz .LBB139_190
; %bb.189:
	s_delay_alu instid0(VALU_DEP_1)
	v_lshl_add_u32 v12, v10, 2, v13
	v_mov_b32_e32 v13, 1
	ds_add_u32 v12, v13
.LBB139_190:
	v_dual_mov_b32 v13, 1 :: v_dual_lshrrev_b32 v12, s2, v6
	s_and_b32 vcc_lo, exec_lo, s5
	s_delay_alu instid0(VALU_DEP_1) | instskip(NEXT) | instid1(VALU_DEP_1)
	v_and_b32_e32 v12, s4, v12
	v_lshl_or_b32 v12, v12, 4, v11
	ds_add_u32 v12, v13
	v_lshrrev_b32_e32 v12, s2, v5
	s_delay_alu instid0(VALU_DEP_1)
	v_and_b32_e32 v12, s4, v12
	s_cbranch_vccz .LBB139_192
; %bb.191:
	s_delay_alu instid0(VALU_DEP_1)
	v_lshlrev_b32_e32 v13, 4, v12
	s_mov_b32 s8, -1
	s_cbranch_execz .LBB139_193
	s_branch .LBB139_200
.LBB139_192:
	s_mov_b32 s8, 0
                                        ; implicit-def: $vgpr13
.LBB139_193:
	s_sub_co_i32 s9, s3, s1
	v_lshrrev_b32_e32 v13, s1, v6
	s_min_u32 s9, s9, 8
	s_delay_alu instid0(SALU_CYCLE_1) | instskip(SKIP_1) | instid1(VALU_DEP_1)
	s_lshl_b32 s10, -1, s9
	s_add_co_i32 s9, s2, 16
	v_bitop3_b32 v13, v13, s10, v13 bitop3:0x30
	s_not_b32 s11, s10
	s_cmp_gt_u32 s3, s9
	s_cselect_b32 s10, -1, 0
	s_delay_alu instid0(VALU_DEP_1)
	v_lshl_or_b32 v14, v13, 4, v11
	v_mov_b32_e32 v13, 1
	s_cmp_le_u32 s3, s9
	ds_add_u32 v14, v13 offset:4096
	s_cbranch_scc1 .LBB139_196
; %bb.194:
	v_lshrrev_b32_e32 v14, s9, v6
	s_sub_co_i32 s12, s3, s9
	s_delay_alu instid0(SALU_CYCLE_1)
	s_min_u32 s12, s12, 8
	s_delay_alu instid0(VALU_DEP_1) | instid1(SALU_CYCLE_1)
	v_bfe_u32 v14, v14, 0, s12
	s_add_co_i32 s12, s2, 24
	s_delay_alu instid0(SALU_CYCLE_1) | instskip(NEXT) | instid1(VALU_DEP_1)
	s_cmp_le_u32 s3, s12
	v_lshl_or_b32 v14, v14, 4, v11
	ds_add_u32 v14, v13 offset:8192
	s_cbranch_scc1 .LBB139_196
; %bb.195:
	v_dual_mov_b32 v15, 1 :: v_dual_lshrrev_b32 v14, s12, v6
	s_sub_co_i32 s12, s3, s12
	s_delay_alu instid0(SALU_CYCLE_1)
	s_min_u32 s12, s12, 8
	s_delay_alu instid0(VALU_DEP_1) | instid1(SALU_CYCLE_1)
	v_bfe_u32 v14, v14, 0, s12
	s_delay_alu instid0(VALU_DEP_1)
	v_lshl_or_b32 v14, v14, 4, v11
	ds_add_u32 v14, v15 offset:12288
.LBB139_196:
	v_lshrrev_b32_e32 v14, s1, v5
	v_lshl_or_b32 v12, v12, 4, v11
	s_and_not1_b32 vcc_lo, exec_lo, s10
	s_delay_alu instid0(VALU_DEP_2) | instskip(NEXT) | instid1(VALU_DEP_1)
	v_and_b32_e32 v14, s11, v14
	v_lshl_or_b32 v14, v14, 4, v11
	ds_add_u32 v12, v13
	ds_add_u32 v14, v13 offset:4096
	s_cbranch_vccnz .LBB139_199
; %bb.197:
	v_dual_mov_b32 v13, 1 :: v_dual_lshrrev_b32 v12, s9, v5
	s_sub_co_i32 s9, s3, s9
	s_delay_alu instid0(SALU_CYCLE_1)
	s_min_u32 s9, s9, 8
	s_delay_alu instid0(VALU_DEP_1) | instid1(SALU_CYCLE_1)
	v_bfe_u32 v12, v12, 0, s9
	s_add_co_i32 s9, s2, 24
	s_delay_alu instid0(SALU_CYCLE_1) | instskip(NEXT) | instid1(VALU_DEP_1)
	s_cmp_gt_u32 s3, s9
	v_lshl_or_b32 v12, v12, 4, v11
	ds_add_u32 v12, v13 offset:8192
                                        ; implicit-def: $vgpr13
	s_cbranch_scc0 .LBB139_200
; %bb.198:
	v_lshrrev_b32_e32 v12, s9, v5
	s_sub_co_i32 s8, s3, s9
	s_delay_alu instid0(SALU_CYCLE_1)
	s_min_u32 s8, s8, 8
	s_delay_alu instid0(VALU_DEP_1) | instid1(SALU_CYCLE_1)
	v_bfe_u32 v12, v12, 0, s8
	s_mov_b32 s8, -1
	s_delay_alu instid0(VALU_DEP_1)
	v_lshl_add_u32 v13, v12, 4, 0x3000
	s_branch .LBB139_200
.LBB139_199:
                                        ; implicit-def: $vgpr13
.LBB139_200:
	s_and_b32 vcc_lo, exec_lo, s8
	s_cbranch_vccz .LBB139_202
; %bb.201:
	s_delay_alu instid0(VALU_DEP_1)
	v_lshl_add_u32 v12, v10, 2, v13
	v_mov_b32_e32 v13, 1
	ds_add_u32 v12, v13
.LBB139_202:
	v_dual_mov_b32 v13, 1 :: v_dual_lshrrev_b32 v12, s2, v4
	s_and_b32 vcc_lo, exec_lo, s5
	s_delay_alu instid0(VALU_DEP_1) | instskip(NEXT) | instid1(VALU_DEP_1)
	v_and_b32_e32 v12, s4, v12
	v_lshl_or_b32 v12, v12, 4, v11
	ds_add_u32 v12, v13
	v_lshrrev_b32_e32 v12, s2, v3
	s_delay_alu instid0(VALU_DEP_1)
	v_and_b32_e32 v12, s4, v12
	s_cbranch_vccz .LBB139_204
; %bb.203:
	s_delay_alu instid0(VALU_DEP_1)
	v_lshlrev_b32_e32 v13, 4, v12
	s_mov_b32 s8, -1
	s_cbranch_execz .LBB139_205
	s_branch .LBB139_212
.LBB139_204:
	s_mov_b32 s8, 0
                                        ; implicit-def: $vgpr13
.LBB139_205:
	s_sub_co_i32 s9, s3, s1
	v_lshrrev_b32_e32 v13, s1, v4
	s_min_u32 s9, s9, 8
	s_delay_alu instid0(SALU_CYCLE_1) | instskip(SKIP_1) | instid1(VALU_DEP_1)
	s_lshl_b32 s10, -1, s9
	s_add_co_i32 s9, s2, 16
	v_bitop3_b32 v13, v13, s10, v13 bitop3:0x30
	s_not_b32 s11, s10
	s_cmp_gt_u32 s3, s9
	s_cselect_b32 s10, -1, 0
	s_delay_alu instid0(VALU_DEP_1)
	v_lshl_or_b32 v14, v13, 4, v11
	v_mov_b32_e32 v13, 1
	s_cmp_le_u32 s3, s9
	ds_add_u32 v14, v13 offset:4096
	s_cbranch_scc1 .LBB139_208
; %bb.206:
	v_lshrrev_b32_e32 v14, s9, v4
	s_sub_co_i32 s12, s3, s9
	s_delay_alu instid0(SALU_CYCLE_1)
	s_min_u32 s12, s12, 8
	s_delay_alu instid0(VALU_DEP_1) | instid1(SALU_CYCLE_1)
	v_bfe_u32 v14, v14, 0, s12
	s_add_co_i32 s12, s2, 24
	s_delay_alu instid0(SALU_CYCLE_1) | instskip(NEXT) | instid1(VALU_DEP_1)
	s_cmp_le_u32 s3, s12
	v_lshl_or_b32 v14, v14, 4, v11
	ds_add_u32 v14, v13 offset:8192
	s_cbranch_scc1 .LBB139_208
; %bb.207:
	v_dual_mov_b32 v15, 1 :: v_dual_lshrrev_b32 v14, s12, v4
	s_sub_co_i32 s12, s3, s12
	s_delay_alu instid0(SALU_CYCLE_1)
	s_min_u32 s12, s12, 8
	s_delay_alu instid0(VALU_DEP_1) | instid1(SALU_CYCLE_1)
	v_bfe_u32 v14, v14, 0, s12
	s_delay_alu instid0(VALU_DEP_1)
	v_lshl_or_b32 v14, v14, 4, v11
	ds_add_u32 v14, v15 offset:12288
.LBB139_208:
	v_lshrrev_b32_e32 v14, s1, v3
	v_lshl_or_b32 v12, v12, 4, v11
	s_and_not1_b32 vcc_lo, exec_lo, s10
	s_delay_alu instid0(VALU_DEP_2) | instskip(NEXT) | instid1(VALU_DEP_1)
	v_and_b32_e32 v14, s11, v14
	v_lshl_or_b32 v14, v14, 4, v11
	ds_add_u32 v12, v13
	ds_add_u32 v14, v13 offset:4096
	s_cbranch_vccnz .LBB139_211
; %bb.209:
	v_dual_mov_b32 v13, 1 :: v_dual_lshrrev_b32 v12, s9, v3
	s_sub_co_i32 s9, s3, s9
	s_delay_alu instid0(SALU_CYCLE_1)
	s_min_u32 s9, s9, 8
	s_delay_alu instid0(VALU_DEP_1) | instid1(SALU_CYCLE_1)
	v_bfe_u32 v12, v12, 0, s9
	s_add_co_i32 s9, s2, 24
	s_delay_alu instid0(SALU_CYCLE_1) | instskip(NEXT) | instid1(VALU_DEP_1)
	s_cmp_gt_u32 s3, s9
	v_lshl_or_b32 v12, v12, 4, v11
	ds_add_u32 v12, v13 offset:8192
                                        ; implicit-def: $vgpr13
	s_cbranch_scc0 .LBB139_212
; %bb.210:
	v_lshrrev_b32_e32 v12, s9, v3
	s_sub_co_i32 s8, s3, s9
	s_delay_alu instid0(SALU_CYCLE_1)
	s_min_u32 s8, s8, 8
	s_delay_alu instid0(VALU_DEP_1) | instid1(SALU_CYCLE_1)
	v_bfe_u32 v12, v12, 0, s8
	s_mov_b32 s8, -1
	s_delay_alu instid0(VALU_DEP_1)
	v_lshl_add_u32 v13, v12, 4, 0x3000
	s_branch .LBB139_212
.LBB139_211:
                                        ; implicit-def: $vgpr13
.LBB139_212:
	s_and_b32 vcc_lo, exec_lo, s8
	s_cbranch_vccz .LBB139_214
; %bb.213:
	s_delay_alu instid0(VALU_DEP_1)
	v_lshl_add_u32 v12, v10, 2, v13
	v_mov_b32_e32 v13, 1
	ds_add_u32 v12, v13
.LBB139_214:
	v_dual_mov_b32 v13, 1 :: v_dual_lshrrev_b32 v12, s2, v2
	s_and_b32 vcc_lo, exec_lo, s5
	s_delay_alu instid0(VALU_DEP_1) | instskip(NEXT) | instid1(VALU_DEP_1)
	v_and_b32_e32 v12, s4, v12
	v_lshl_or_b32 v12, v12, 4, v11
	ds_add_u32 v12, v13
	v_lshrrev_b32_e32 v12, s2, v1
	s_delay_alu instid0(VALU_DEP_1)
	v_and_b32_e32 v12, s4, v12
	s_cbranch_vccz .LBB139_216
; %bb.215:
	s_delay_alu instid0(VALU_DEP_1)
	v_lshlrev_b32_e32 v13, 4, v12
	s_mov_b32 s4, -1
	s_cbranch_execz .LBB139_217
	s_branch .LBB139_224
.LBB139_216:
	s_mov_b32 s4, 0
                                        ; implicit-def: $vgpr13
.LBB139_217:
	s_sub_co_i32 s5, s3, s1
	v_lshrrev_b32_e32 v13, s1, v2
	s_min_u32 s5, s5, 8
	s_delay_alu instid0(SALU_CYCLE_1) | instskip(SKIP_1) | instid1(VALU_DEP_1)
	s_lshl_b32 s8, -1, s5
	s_add_co_i32 s5, s2, 16
	v_bitop3_b32 v13, v13, s8, v13 bitop3:0x30
	s_not_b32 s9, s8
	s_cmp_gt_u32 s3, s5
	s_cselect_b32 s8, -1, 0
	s_delay_alu instid0(VALU_DEP_1)
	v_lshl_or_b32 v14, v13, 4, v11
	v_mov_b32_e32 v13, 1
	s_cmp_le_u32 s3, s5
	ds_add_u32 v14, v13 offset:4096
	s_cbranch_scc1 .LBB139_220
; %bb.218:
	v_lshrrev_b32_e32 v14, s5, v2
	s_sub_co_i32 s10, s3, s5
	s_delay_alu instid0(SALU_CYCLE_1)
	s_min_u32 s10, s10, 8
	s_delay_alu instid0(VALU_DEP_1) | instid1(SALU_CYCLE_1)
	v_bfe_u32 v14, v14, 0, s10
	s_add_co_i32 s10, s2, 24
	s_delay_alu instid0(SALU_CYCLE_1) | instskip(NEXT) | instid1(VALU_DEP_1)
	s_cmp_le_u32 s3, s10
	v_lshl_or_b32 v14, v14, 4, v11
	ds_add_u32 v14, v13 offset:8192
	s_cbranch_scc1 .LBB139_220
; %bb.219:
	v_dual_mov_b32 v15, 1 :: v_dual_lshrrev_b32 v14, s10, v2
	s_sub_co_i32 s10, s3, s10
	s_delay_alu instid0(SALU_CYCLE_1)
	s_min_u32 s10, s10, 8
	s_delay_alu instid0(VALU_DEP_1) | instid1(SALU_CYCLE_1)
	v_bfe_u32 v14, v14, 0, s10
	s_delay_alu instid0(VALU_DEP_1)
	v_lshl_or_b32 v14, v14, 4, v11
	ds_add_u32 v14, v15 offset:12288
.LBB139_220:
	v_lshrrev_b32_e32 v14, s1, v1
	v_lshl_or_b32 v12, v12, 4, v11
	s_and_not1_b32 vcc_lo, exec_lo, s8
	s_delay_alu instid0(VALU_DEP_2) | instskip(NEXT) | instid1(VALU_DEP_1)
	v_and_b32_e32 v14, s9, v14
	v_lshl_or_b32 v14, v14, 4, v11
	ds_add_u32 v12, v13
	ds_add_u32 v14, v13 offset:4096
	s_cbranch_vccnz .LBB139_223
; %bb.221:
	v_lshrrev_b32_e32 v12, s5, v1
	s_sub_co_i32 s1, s3, s5
                                        ; implicit-def: $vgpr13
	s_delay_alu instid0(SALU_CYCLE_1)
	s_min_u32 s1, s1, 8
	s_delay_alu instid0(VALU_DEP_1) | instid1(SALU_CYCLE_1)
	v_bfe_u32 v12, v12, 0, s1
	s_add_co_i32 s1, s2, 24
	s_delay_alu instid0(SALU_CYCLE_1) | instskip(NEXT) | instid1(VALU_DEP_1)
	s_cmp_gt_u32 s3, s1
	v_lshl_or_b32 v11, v12, 4, v11
	v_mov_b32_e32 v12, 1
	ds_add_u32 v11, v12 offset:8192
	s_cbranch_scc0 .LBB139_224
; %bb.222:
	v_lshrrev_b32_e32 v11, s1, v1
	s_sub_co_i32 s1, s3, s1
	s_mov_b32 s4, -1
	s_min_u32 s1, s1, 8
	s_delay_alu instid0(VALU_DEP_1) | instid1(SALU_CYCLE_1)
	v_bfe_u32 v11, v11, 0, s1
	s_delay_alu instid0(VALU_DEP_1)
	v_lshl_add_u32 v13, v11, 4, 0x3000
	s_branch .LBB139_224
.LBB139_223:
                                        ; implicit-def: $vgpr13
.LBB139_224:
	s_and_b32 vcc_lo, exec_lo, s4
	s_cbranch_vccz .LBB139_226
; %bb.225:
	s_delay_alu instid0(VALU_DEP_1)
	v_lshl_add_u32 v10, v10, 2, v13
	v_mov_b32_e32 v11, 1
	ds_add_u32 v10, v11
.LBB139_226:
	s_and_b32 vcc_lo, exec_lo, s0
	s_wait_dscnt 0x0
	s_barrier_signal -1
	s_barrier_wait -1
	s_cbranch_vccz .LBB139_231
; %bb.227:
	v_dual_mov_b32 v11, v0 :: v_dual_lshlrev_b32 v10, 4, v0
	v_cmp_gt_u32_e32 vcc_lo, 0x100, v0
	s_branch .LBB139_229
.LBB139_228:                            ;   in Loop: Header=BB139_229 Depth=1
	s_wait_xcnt 0x0
	s_or_b32 exec_lo, exec_lo, s0
	v_add_nc_u32_e32 v11, 0x100, v11
	v_add_nc_u32_e32 v10, 0x1000, v10
	s_add_co_i32 s2, s2, 8
	s_delay_alu instid0(SALU_CYCLE_1)
	s_cmp_ge_u32 s2, s3
	s_cbranch_scc1 .LBB139_231
.LBB139_229:                            ; =>This Inner Loop Header: Depth=1
	s_and_saveexec_b32 s0, vcc_lo
	s_cbranch_execz .LBB139_228
; %bb.230:                              ;   in Loop: Header=BB139_229 Depth=1
	ds_load_2addr_b32 v[12:13], v10 offset1:1
	ds_load_2addr_b32 v[14:15], v10 offset0:2 offset1:3
	s_wait_dscnt 0x1
	v_add_nc_u32_e32 v12, v13, v12
	s_wait_dscnt 0x0
	s_delay_alu instid0(VALU_DEP_1)
	v_add3_u32 v12, v12, v14, v15
	global_atomic_add_u32 v11, v12, s[6:7] scale_offset scope:SCOPE_DEV
	s_branch .LBB139_228
.LBB139_231:
	s_mov_b32 s1, 0
.LBB139_232:
	s_delay_alu instid0(SALU_CYCLE_1)
	s_and_b32 vcc_lo, exec_lo, s1
	s_cbranch_vccz .LBB139_243
; %bb.233:
	v_mov_b32_e32 v10, 0
	v_cmp_gt_u32_e64 s0, 7, 4
	s_mov_b32 s1, exec_lo
	ds_store_2addr_stride64_b32 v9, v10, v10 offset1:8
	ds_store_2addr_stride64_b32 v9, v10, v10 offset0:16 offset1:24
	v_cmpx_gt_u32_e64 7, 3
; %bb.234:
	ds_store_b32 v9, v10 offset:8192
; %bb.235:
	s_or_b32 exec_lo, exec_lo, s1
	s_and_saveexec_b32 s1, s0
; %bb.236:
	v_mov_b32_e32 v10, 0
	ds_store_b32 v9, v10 offset:10240
; %bb.237:
	s_or_b32 exec_lo, exec_lo, s1
	v_cmp_gt_u32_e64 s0, 7, 6
	s_mov_b32 s1, exec_lo
	v_cmpx_gt_u32_e64 7, 5
; %bb.238:
	v_mov_b32_e32 v10, 0
	ds_store_b32 v9, v10 offset:12288
; %bb.239:
	s_or_b32 exec_lo, exec_lo, s1
	s_and_saveexec_b32 s1, s0
; %bb.240:
	v_mov_b32_e32 v10, 0
	ds_store_b32 v9, v10 offset:14336
; %bb.241:
	s_or_b32 exec_lo, exec_lo, s1
	v_dual_mov_b32 v12, 1 :: v_dual_bitop2_b32 v9, 3, v0 bitop3:0x40
	s_wait_loadcnt 0x7
	v_dual_lshlrev_b32 v10, 4, v8 :: v_dual_lshrrev_b32 v11, 4, v8
	s_delay_alu instid0(VALU_DEP_2)
	v_dual_lshrrev_b32 v13, 12, v8 :: v_dual_lshlrev_b32 v9, 2, v9
	s_wait_loadcnt 0x6
	v_dual_lshrrev_b32 v8, 20, v8 :: v_dual_lshlrev_b32 v14, 4, v7
	v_lshrrev_b32_e32 v15, 4, v7
	s_wait_storecnt 0x0
	s_wait_loadcnt_dscnt 0x0
	v_and_or_b32 v10, 0xff0, v10, v9
	v_and_or_b32 v11, 0xff0, v11, v9
	s_barrier_signal -1
	s_barrier_wait -1
	ds_add_u32 v10, v12
	ds_add_u32 v11, v12 offset:4096
	v_lshrrev_b32_e32 v10, 12, v7
	v_and_or_b32 v11, 0xff0, v13, v9
	v_and_or_b32 v8, 0xff0, v8, v9
	;; [unrolled: 1-line block ×5, first 2 shown]
	v_lshrrev_b32_e32 v7, 20, v7
	ds_add_u32 v11, v12 offset:8192
	ds_add_u32 v8, v12 offset:12288
	ds_add_u32 v13, v12
	ds_add_u32 v14, v12 offset:4096
	ds_add_u32 v10, v12 offset:8192
	v_dual_lshlrev_b32 v8, 4, v6 :: v_dual_lshrrev_b32 v10, 4, v6
	v_dual_lshrrev_b32 v11, 12, v6 :: v_dual_lshrrev_b32 v6, 20, v6
	v_and_or_b32 v7, 0xff0, v7, v9
	s_delay_alu instid0(VALU_DEP_3) | instskip(NEXT) | instid1(VALU_DEP_4)
	v_and_or_b32 v8, 0xff0, v8, v9
	v_and_or_b32 v10, 0xff0, v10, v9
	s_delay_alu instid0(VALU_DEP_4)
	v_and_or_b32 v11, 0xff0, v11, v9
	v_and_or_b32 v6, 0xff0, v6, v9
	ds_add_u32 v7, v12 offset:12288
	ds_add_u32 v8, v12
	ds_add_u32 v10, v12 offset:4096
	ds_add_u32 v11, v12 offset:8192
	ds_add_u32 v6, v12 offset:12288
	v_dual_lshlrev_b32 v6, 4, v5 :: v_dual_lshrrev_b32 v8, 12, v5
	v_dual_lshrrev_b32 v7, 4, v5 :: v_dual_lshrrev_b32 v5, 20, v5
	v_lshlrev_b32_e32 v10, 4, v4
	s_delay_alu instid0(VALU_DEP_3) | instskip(NEXT) | instid1(VALU_DEP_4)
	v_and_or_b32 v6, 0xff0, v6, v9
	v_and_or_b32 v8, 0xff0, v8, v9
	s_delay_alu instid0(VALU_DEP_4)
	v_and_or_b32 v7, 0xff0, v7, v9
	v_and_or_b32 v5, 0xff0, v5, v9
	;; [unrolled: 1-line block ×3, first 2 shown]
	ds_add_u32 v6, v12
	ds_add_u32 v7, v12 offset:4096
	ds_add_u32 v8, v12 offset:8192
	;; [unrolled: 1-line block ×3, first 2 shown]
	ds_add_u32 v10, v12
	v_dual_lshrrev_b32 v5, 4, v4 :: v_dual_lshrrev_b32 v6, 12, v4
	v_dual_lshrrev_b32 v4, 20, v4 :: v_dual_lshlrev_b32 v7, 4, v3
	v_lshrrev_b32_e32 v8, 4, v3
	s_delay_alu instid0(VALU_DEP_3) | instskip(NEXT) | instid1(VALU_DEP_4)
	v_and_or_b32 v5, 0xff0, v5, v9
	v_and_or_b32 v6, 0xff0, v6, v9
	s_delay_alu instid0(VALU_DEP_4)
	v_and_or_b32 v4, 0xff0, v4, v9
	v_and_or_b32 v7, 0xff0, v7, v9
	;; [unrolled: 1-line block ×3, first 2 shown]
	ds_add_u32 v5, v12 offset:4096
	ds_add_u32 v6, v12 offset:8192
	;; [unrolled: 1-line block ×3, first 2 shown]
	ds_add_u32 v7, v12
	ds_add_u32 v8, v12 offset:4096
	v_dual_lshrrev_b32 v4, 12, v3 :: v_dual_lshrrev_b32 v3, 20, v3
	v_dual_lshlrev_b32 v5, 4, v2 :: v_dual_lshrrev_b32 v6, 4, v2
	v_lshrrev_b32_e32 v7, 12, v2
	s_delay_alu instid0(VALU_DEP_3) | instskip(NEXT) | instid1(VALU_DEP_4)
	v_and_or_b32 v4, 0xff0, v4, v9
	v_and_or_b32 v3, 0xff0, v3, v9
	s_delay_alu instid0(VALU_DEP_4)
	v_and_or_b32 v5, 0xff0, v5, v9
	v_and_or_b32 v6, 0xff0, v6, v9
	v_and_or_b32 v7, 0xff0, v7, v9
	v_lshrrev_b32_e32 v2, 20, v2
	ds_add_u32 v4, v12 offset:8192
	ds_add_u32 v3, v12 offset:12288
	ds_add_u32 v5, v12
	ds_add_u32 v6, v12 offset:4096
	ds_add_u32 v7, v12 offset:8192
	v_dual_lshlrev_b32 v3, 4, v1 :: v_dual_lshrrev_b32 v4, 4, v1
	v_dual_lshrrev_b32 v5, 12, v1 :: v_dual_lshrrev_b32 v1, 20, v1
	v_and_or_b32 v2, 0xff0, v2, v9
	s_delay_alu instid0(VALU_DEP_3) | instskip(NEXT) | instid1(VALU_DEP_4)
	v_and_or_b32 v3, 0xff0, v3, v9
	v_and_or_b32 v4, 0xff0, v4, v9
	s_delay_alu instid0(VALU_DEP_4)
	v_and_or_b32 v5, 0xff0, v5, v9
	v_and_or_b32 v1, 0xff0, v1, v9
	ds_add_u32 v2, v12 offset:12288
	ds_add_u32 v3, v12
	ds_add_u32 v4, v12 offset:4096
	ds_add_u32 v5, v12 offset:8192
	;; [unrolled: 1-line block ×3, first 2 shown]
	s_wait_dscnt 0x0
	s_barrier_signal -1
	s_barrier_wait -1
	s_mov_b32 s0, exec_lo
	v_cmpx_gt_u32_e32 0x100, v0
	s_cbranch_execz .LBB139_243
; %bb.242:
	v_lshlrev_b32_e32 v1, 4, v0
	ds_load_2addr_b32 v[2:3], v1 offset1:1
	ds_load_2addr_b32 v[4:5], v1 offset0:2 offset1:3
	s_wait_dscnt 0x1
	v_add_nc_u32_e32 v2, v3, v2
	v_add_nc_u32_e32 v3, 0x1000, v1
	s_wait_dscnt 0x0
	s_delay_alu instid0(VALU_DEP_2)
	v_add3_u32 v2, v2, v4, v5
	v_add_nc_u32_e32 v4, 0x1008, v1
	global_atomic_add_u32 v0, v2, s[6:7] scale_offset scope:SCOPE_DEV
	s_wait_xcnt 0x0
	ds_load_2addr_b32 v[2:3], v3 offset1:1
	ds_load_2addr_b32 v[4:5], v4 offset1:1
	s_wait_dscnt 0x1
	v_add_nc_u32_e32 v2, v3, v2
	v_or_b32_e32 v3, 0x2000, v1
	s_wait_dscnt 0x0
	s_delay_alu instid0(VALU_DEP_2)
	v_add3_u32 v2, v2, v4, v5
	v_or_b32_e32 v4, 0x2008, v1
	global_atomic_add_u32 v0, v2, s[6:7] offset:1024 scale_offset scope:SCOPE_DEV
	s_wait_xcnt 0x0
	ds_load_2addr_b32 v[2:3], v3 offset1:1
	ds_load_2addr_b32 v[4:5], v4 offset1:1
	s_wait_dscnt 0x1
	v_add_nc_u32_e32 v2, v3, v2
	v_add_nc_u32_e32 v3, 0x3000, v1
	;; [unrolled: 1-line block ×3, first 2 shown]
	s_wait_dscnt 0x0
	s_delay_alu instid0(VALU_DEP_3)
	v_add3_u32 v2, v2, v4, v5
	global_atomic_add_u32 v0, v2, s[6:7] offset:2048 scale_offset scope:SCOPE_DEV
	s_wait_xcnt 0x0
	ds_load_2addr_b32 v[2:3], v3 offset1:1
	ds_load_2addr_b32 v[4:5], v1 offset1:1
	s_wait_dscnt 0x1
	v_add_nc_u32_e32 v1, v3, v2
	s_wait_dscnt 0x0
	s_delay_alu instid0(VALU_DEP_1)
	v_add3_u32 v1, v1, v4, v5
	global_atomic_add_u32 v0, v1, s[6:7] offset:3072 scale_offset scope:SCOPE_DEV
.LBB139_243:
	s_endpgm
	.section	.rodata,"a",@progbits
	.p2align	6, 0x0
	.amdhsa_kernel _ZN7rocprim17ROCPRIM_400000_NS6detail17trampoline_kernelINS0_14default_configENS1_35radix_sort_onesweep_config_selectorIjN6thrust23THRUST_200600_302600_NS5tupleIffNS6_9null_typeES8_S8_S8_S8_S8_S8_S8_EEEEZNS1_34radix_sort_onesweep_global_offsetsIS3_Lb0ENS6_6detail15normal_iteratorINS6_10device_ptrIjEEEENSD_INSE_IS9_EEEEjNS0_19identity_decomposerEEE10hipError_tT1_T2_PT3_SN_jT4_jjP12ihipStream_tbEUlT_E_NS1_11comp_targetILNS1_3genE0ELNS1_11target_archE4294967295ELNS1_3gpuE0ELNS1_3repE0EEENS1_52radix_sort_onesweep_histogram_config_static_selectorELNS0_4arch9wavefront6targetE0EEEvSL_
		.amdhsa_group_segment_fixed_size 16384
		.amdhsa_private_segment_fixed_size 0
		.amdhsa_kernarg_size 40
		.amdhsa_user_sgpr_count 2
		.amdhsa_user_sgpr_dispatch_ptr 0
		.amdhsa_user_sgpr_queue_ptr 0
		.amdhsa_user_sgpr_kernarg_segment_ptr 1
		.amdhsa_user_sgpr_dispatch_id 0
		.amdhsa_user_sgpr_kernarg_preload_length 0
		.amdhsa_user_sgpr_kernarg_preload_offset 0
		.amdhsa_user_sgpr_private_segment_size 0
		.amdhsa_wavefront_size32 1
		.amdhsa_uses_dynamic_stack 0
		.amdhsa_enable_private_segment 0
		.amdhsa_system_sgpr_workgroup_id_x 1
		.amdhsa_system_sgpr_workgroup_id_y 0
		.amdhsa_system_sgpr_workgroup_id_z 0
		.amdhsa_system_sgpr_workgroup_info 0
		.amdhsa_system_vgpr_workitem_id 0
		.amdhsa_next_free_vgpr 20
		.amdhsa_next_free_sgpr 14
		.amdhsa_named_barrier_count 0
		.amdhsa_reserve_vcc 1
		.amdhsa_float_round_mode_32 0
		.amdhsa_float_round_mode_16_64 0
		.amdhsa_float_denorm_mode_32 3
		.amdhsa_float_denorm_mode_16_64 3
		.amdhsa_fp16_overflow 0
		.amdhsa_memory_ordered 1
		.amdhsa_forward_progress 1
		.amdhsa_inst_pref_size 69
		.amdhsa_round_robin_scheduling 0
		.amdhsa_exception_fp_ieee_invalid_op 0
		.amdhsa_exception_fp_denorm_src 0
		.amdhsa_exception_fp_ieee_div_zero 0
		.amdhsa_exception_fp_ieee_overflow 0
		.amdhsa_exception_fp_ieee_underflow 0
		.amdhsa_exception_fp_ieee_inexact 0
		.amdhsa_exception_int_div_zero 0
	.end_amdhsa_kernel
	.section	.text._ZN7rocprim17ROCPRIM_400000_NS6detail17trampoline_kernelINS0_14default_configENS1_35radix_sort_onesweep_config_selectorIjN6thrust23THRUST_200600_302600_NS5tupleIffNS6_9null_typeES8_S8_S8_S8_S8_S8_S8_EEEEZNS1_34radix_sort_onesweep_global_offsetsIS3_Lb0ENS6_6detail15normal_iteratorINS6_10device_ptrIjEEEENSD_INSE_IS9_EEEEjNS0_19identity_decomposerEEE10hipError_tT1_T2_PT3_SN_jT4_jjP12ihipStream_tbEUlT_E_NS1_11comp_targetILNS1_3genE0ELNS1_11target_archE4294967295ELNS1_3gpuE0ELNS1_3repE0EEENS1_52radix_sort_onesweep_histogram_config_static_selectorELNS0_4arch9wavefront6targetE0EEEvSL_,"axG",@progbits,_ZN7rocprim17ROCPRIM_400000_NS6detail17trampoline_kernelINS0_14default_configENS1_35radix_sort_onesweep_config_selectorIjN6thrust23THRUST_200600_302600_NS5tupleIffNS6_9null_typeES8_S8_S8_S8_S8_S8_S8_EEEEZNS1_34radix_sort_onesweep_global_offsetsIS3_Lb0ENS6_6detail15normal_iteratorINS6_10device_ptrIjEEEENSD_INSE_IS9_EEEEjNS0_19identity_decomposerEEE10hipError_tT1_T2_PT3_SN_jT4_jjP12ihipStream_tbEUlT_E_NS1_11comp_targetILNS1_3genE0ELNS1_11target_archE4294967295ELNS1_3gpuE0ELNS1_3repE0EEENS1_52radix_sort_onesweep_histogram_config_static_selectorELNS0_4arch9wavefront6targetE0EEEvSL_,comdat
.Lfunc_end139:
	.size	_ZN7rocprim17ROCPRIM_400000_NS6detail17trampoline_kernelINS0_14default_configENS1_35radix_sort_onesweep_config_selectorIjN6thrust23THRUST_200600_302600_NS5tupleIffNS6_9null_typeES8_S8_S8_S8_S8_S8_S8_EEEEZNS1_34radix_sort_onesweep_global_offsetsIS3_Lb0ENS6_6detail15normal_iteratorINS6_10device_ptrIjEEEENSD_INSE_IS9_EEEEjNS0_19identity_decomposerEEE10hipError_tT1_T2_PT3_SN_jT4_jjP12ihipStream_tbEUlT_E_NS1_11comp_targetILNS1_3genE0ELNS1_11target_archE4294967295ELNS1_3gpuE0ELNS1_3repE0EEENS1_52radix_sort_onesweep_histogram_config_static_selectorELNS0_4arch9wavefront6targetE0EEEvSL_, .Lfunc_end139-_ZN7rocprim17ROCPRIM_400000_NS6detail17trampoline_kernelINS0_14default_configENS1_35radix_sort_onesweep_config_selectorIjN6thrust23THRUST_200600_302600_NS5tupleIffNS6_9null_typeES8_S8_S8_S8_S8_S8_S8_EEEEZNS1_34radix_sort_onesweep_global_offsetsIS3_Lb0ENS6_6detail15normal_iteratorINS6_10device_ptrIjEEEENSD_INSE_IS9_EEEEjNS0_19identity_decomposerEEE10hipError_tT1_T2_PT3_SN_jT4_jjP12ihipStream_tbEUlT_E_NS1_11comp_targetILNS1_3genE0ELNS1_11target_archE4294967295ELNS1_3gpuE0ELNS1_3repE0EEENS1_52radix_sort_onesweep_histogram_config_static_selectorELNS0_4arch9wavefront6targetE0EEEvSL_
                                        ; -- End function
	.set _ZN7rocprim17ROCPRIM_400000_NS6detail17trampoline_kernelINS0_14default_configENS1_35radix_sort_onesweep_config_selectorIjN6thrust23THRUST_200600_302600_NS5tupleIffNS6_9null_typeES8_S8_S8_S8_S8_S8_S8_EEEEZNS1_34radix_sort_onesweep_global_offsetsIS3_Lb0ENS6_6detail15normal_iteratorINS6_10device_ptrIjEEEENSD_INSE_IS9_EEEEjNS0_19identity_decomposerEEE10hipError_tT1_T2_PT3_SN_jT4_jjP12ihipStream_tbEUlT_E_NS1_11comp_targetILNS1_3genE0ELNS1_11target_archE4294967295ELNS1_3gpuE0ELNS1_3repE0EEENS1_52radix_sort_onesweep_histogram_config_static_selectorELNS0_4arch9wavefront6targetE0EEEvSL_.num_vgpr, 20
	.set _ZN7rocprim17ROCPRIM_400000_NS6detail17trampoline_kernelINS0_14default_configENS1_35radix_sort_onesweep_config_selectorIjN6thrust23THRUST_200600_302600_NS5tupleIffNS6_9null_typeES8_S8_S8_S8_S8_S8_S8_EEEEZNS1_34radix_sort_onesweep_global_offsetsIS3_Lb0ENS6_6detail15normal_iteratorINS6_10device_ptrIjEEEENSD_INSE_IS9_EEEEjNS0_19identity_decomposerEEE10hipError_tT1_T2_PT3_SN_jT4_jjP12ihipStream_tbEUlT_E_NS1_11comp_targetILNS1_3genE0ELNS1_11target_archE4294967295ELNS1_3gpuE0ELNS1_3repE0EEENS1_52radix_sort_onesweep_histogram_config_static_selectorELNS0_4arch9wavefront6targetE0EEEvSL_.num_agpr, 0
	.set _ZN7rocprim17ROCPRIM_400000_NS6detail17trampoline_kernelINS0_14default_configENS1_35radix_sort_onesweep_config_selectorIjN6thrust23THRUST_200600_302600_NS5tupleIffNS6_9null_typeES8_S8_S8_S8_S8_S8_S8_EEEEZNS1_34radix_sort_onesweep_global_offsetsIS3_Lb0ENS6_6detail15normal_iteratorINS6_10device_ptrIjEEEENSD_INSE_IS9_EEEEjNS0_19identity_decomposerEEE10hipError_tT1_T2_PT3_SN_jT4_jjP12ihipStream_tbEUlT_E_NS1_11comp_targetILNS1_3genE0ELNS1_11target_archE4294967295ELNS1_3gpuE0ELNS1_3repE0EEENS1_52radix_sort_onesweep_histogram_config_static_selectorELNS0_4arch9wavefront6targetE0EEEvSL_.numbered_sgpr, 14
	.set _ZN7rocprim17ROCPRIM_400000_NS6detail17trampoline_kernelINS0_14default_configENS1_35radix_sort_onesweep_config_selectorIjN6thrust23THRUST_200600_302600_NS5tupleIffNS6_9null_typeES8_S8_S8_S8_S8_S8_S8_EEEEZNS1_34radix_sort_onesweep_global_offsetsIS3_Lb0ENS6_6detail15normal_iteratorINS6_10device_ptrIjEEEENSD_INSE_IS9_EEEEjNS0_19identity_decomposerEEE10hipError_tT1_T2_PT3_SN_jT4_jjP12ihipStream_tbEUlT_E_NS1_11comp_targetILNS1_3genE0ELNS1_11target_archE4294967295ELNS1_3gpuE0ELNS1_3repE0EEENS1_52radix_sort_onesweep_histogram_config_static_selectorELNS0_4arch9wavefront6targetE0EEEvSL_.num_named_barrier, 0
	.set _ZN7rocprim17ROCPRIM_400000_NS6detail17trampoline_kernelINS0_14default_configENS1_35radix_sort_onesweep_config_selectorIjN6thrust23THRUST_200600_302600_NS5tupleIffNS6_9null_typeES8_S8_S8_S8_S8_S8_S8_EEEEZNS1_34radix_sort_onesweep_global_offsetsIS3_Lb0ENS6_6detail15normal_iteratorINS6_10device_ptrIjEEEENSD_INSE_IS9_EEEEjNS0_19identity_decomposerEEE10hipError_tT1_T2_PT3_SN_jT4_jjP12ihipStream_tbEUlT_E_NS1_11comp_targetILNS1_3genE0ELNS1_11target_archE4294967295ELNS1_3gpuE0ELNS1_3repE0EEENS1_52radix_sort_onesweep_histogram_config_static_selectorELNS0_4arch9wavefront6targetE0EEEvSL_.private_seg_size, 0
	.set _ZN7rocprim17ROCPRIM_400000_NS6detail17trampoline_kernelINS0_14default_configENS1_35radix_sort_onesweep_config_selectorIjN6thrust23THRUST_200600_302600_NS5tupleIffNS6_9null_typeES8_S8_S8_S8_S8_S8_S8_EEEEZNS1_34radix_sort_onesweep_global_offsetsIS3_Lb0ENS6_6detail15normal_iteratorINS6_10device_ptrIjEEEENSD_INSE_IS9_EEEEjNS0_19identity_decomposerEEE10hipError_tT1_T2_PT3_SN_jT4_jjP12ihipStream_tbEUlT_E_NS1_11comp_targetILNS1_3genE0ELNS1_11target_archE4294967295ELNS1_3gpuE0ELNS1_3repE0EEENS1_52radix_sort_onesweep_histogram_config_static_selectorELNS0_4arch9wavefront6targetE0EEEvSL_.uses_vcc, 1
	.set _ZN7rocprim17ROCPRIM_400000_NS6detail17trampoline_kernelINS0_14default_configENS1_35radix_sort_onesweep_config_selectorIjN6thrust23THRUST_200600_302600_NS5tupleIffNS6_9null_typeES8_S8_S8_S8_S8_S8_S8_EEEEZNS1_34radix_sort_onesweep_global_offsetsIS3_Lb0ENS6_6detail15normal_iteratorINS6_10device_ptrIjEEEENSD_INSE_IS9_EEEEjNS0_19identity_decomposerEEE10hipError_tT1_T2_PT3_SN_jT4_jjP12ihipStream_tbEUlT_E_NS1_11comp_targetILNS1_3genE0ELNS1_11target_archE4294967295ELNS1_3gpuE0ELNS1_3repE0EEENS1_52radix_sort_onesweep_histogram_config_static_selectorELNS0_4arch9wavefront6targetE0EEEvSL_.uses_flat_scratch, 0
	.set _ZN7rocprim17ROCPRIM_400000_NS6detail17trampoline_kernelINS0_14default_configENS1_35radix_sort_onesweep_config_selectorIjN6thrust23THRUST_200600_302600_NS5tupleIffNS6_9null_typeES8_S8_S8_S8_S8_S8_S8_EEEEZNS1_34radix_sort_onesweep_global_offsetsIS3_Lb0ENS6_6detail15normal_iteratorINS6_10device_ptrIjEEEENSD_INSE_IS9_EEEEjNS0_19identity_decomposerEEE10hipError_tT1_T2_PT3_SN_jT4_jjP12ihipStream_tbEUlT_E_NS1_11comp_targetILNS1_3genE0ELNS1_11target_archE4294967295ELNS1_3gpuE0ELNS1_3repE0EEENS1_52radix_sort_onesweep_histogram_config_static_selectorELNS0_4arch9wavefront6targetE0EEEvSL_.has_dyn_sized_stack, 0
	.set _ZN7rocprim17ROCPRIM_400000_NS6detail17trampoline_kernelINS0_14default_configENS1_35radix_sort_onesweep_config_selectorIjN6thrust23THRUST_200600_302600_NS5tupleIffNS6_9null_typeES8_S8_S8_S8_S8_S8_S8_EEEEZNS1_34radix_sort_onesweep_global_offsetsIS3_Lb0ENS6_6detail15normal_iteratorINS6_10device_ptrIjEEEENSD_INSE_IS9_EEEEjNS0_19identity_decomposerEEE10hipError_tT1_T2_PT3_SN_jT4_jjP12ihipStream_tbEUlT_E_NS1_11comp_targetILNS1_3genE0ELNS1_11target_archE4294967295ELNS1_3gpuE0ELNS1_3repE0EEENS1_52radix_sort_onesweep_histogram_config_static_selectorELNS0_4arch9wavefront6targetE0EEEvSL_.has_recursion, 0
	.set _ZN7rocprim17ROCPRIM_400000_NS6detail17trampoline_kernelINS0_14default_configENS1_35radix_sort_onesweep_config_selectorIjN6thrust23THRUST_200600_302600_NS5tupleIffNS6_9null_typeES8_S8_S8_S8_S8_S8_S8_EEEEZNS1_34radix_sort_onesweep_global_offsetsIS3_Lb0ENS6_6detail15normal_iteratorINS6_10device_ptrIjEEEENSD_INSE_IS9_EEEEjNS0_19identity_decomposerEEE10hipError_tT1_T2_PT3_SN_jT4_jjP12ihipStream_tbEUlT_E_NS1_11comp_targetILNS1_3genE0ELNS1_11target_archE4294967295ELNS1_3gpuE0ELNS1_3repE0EEENS1_52radix_sort_onesweep_histogram_config_static_selectorELNS0_4arch9wavefront6targetE0EEEvSL_.has_indirect_call, 0
	.section	.AMDGPU.csdata,"",@progbits
; Kernel info:
; codeLenInByte = 8804
; TotalNumSgprs: 16
; NumVgprs: 20
; ScratchSize: 0
; MemoryBound: 0
; FloatMode: 240
; IeeeMode: 1
; LDSByteSize: 16384 bytes/workgroup (compile time only)
; SGPRBlocks: 0
; VGPRBlocks: 1
; NumSGPRsForWavesPerEU: 16
; NumVGPRsForWavesPerEU: 20
; NamedBarCnt: 0
; Occupancy: 16
; WaveLimiterHint : 1
; COMPUTE_PGM_RSRC2:SCRATCH_EN: 0
; COMPUTE_PGM_RSRC2:USER_SGPR: 2
; COMPUTE_PGM_RSRC2:TRAP_HANDLER: 0
; COMPUTE_PGM_RSRC2:TGID_X_EN: 1
; COMPUTE_PGM_RSRC2:TGID_Y_EN: 0
; COMPUTE_PGM_RSRC2:TGID_Z_EN: 0
; COMPUTE_PGM_RSRC2:TIDIG_COMP_CNT: 0
	.section	.text._ZN7rocprim17ROCPRIM_400000_NS6detail17trampoline_kernelINS0_14default_configENS1_35radix_sort_onesweep_config_selectorIjN6thrust23THRUST_200600_302600_NS5tupleIffNS6_9null_typeES8_S8_S8_S8_S8_S8_S8_EEEEZNS1_34radix_sort_onesweep_global_offsetsIS3_Lb0ENS6_6detail15normal_iteratorINS6_10device_ptrIjEEEENSD_INSE_IS9_EEEEjNS0_19identity_decomposerEEE10hipError_tT1_T2_PT3_SN_jT4_jjP12ihipStream_tbEUlT_E_NS1_11comp_targetILNS1_3genE6ELNS1_11target_archE950ELNS1_3gpuE13ELNS1_3repE0EEENS1_52radix_sort_onesweep_histogram_config_static_selectorELNS0_4arch9wavefront6targetE0EEEvSL_,"axG",@progbits,_ZN7rocprim17ROCPRIM_400000_NS6detail17trampoline_kernelINS0_14default_configENS1_35radix_sort_onesweep_config_selectorIjN6thrust23THRUST_200600_302600_NS5tupleIffNS6_9null_typeES8_S8_S8_S8_S8_S8_S8_EEEEZNS1_34radix_sort_onesweep_global_offsetsIS3_Lb0ENS6_6detail15normal_iteratorINS6_10device_ptrIjEEEENSD_INSE_IS9_EEEEjNS0_19identity_decomposerEEE10hipError_tT1_T2_PT3_SN_jT4_jjP12ihipStream_tbEUlT_E_NS1_11comp_targetILNS1_3genE6ELNS1_11target_archE950ELNS1_3gpuE13ELNS1_3repE0EEENS1_52radix_sort_onesweep_histogram_config_static_selectorELNS0_4arch9wavefront6targetE0EEEvSL_,comdat
	.protected	_ZN7rocprim17ROCPRIM_400000_NS6detail17trampoline_kernelINS0_14default_configENS1_35radix_sort_onesweep_config_selectorIjN6thrust23THRUST_200600_302600_NS5tupleIffNS6_9null_typeES8_S8_S8_S8_S8_S8_S8_EEEEZNS1_34radix_sort_onesweep_global_offsetsIS3_Lb0ENS6_6detail15normal_iteratorINS6_10device_ptrIjEEEENSD_INSE_IS9_EEEEjNS0_19identity_decomposerEEE10hipError_tT1_T2_PT3_SN_jT4_jjP12ihipStream_tbEUlT_E_NS1_11comp_targetILNS1_3genE6ELNS1_11target_archE950ELNS1_3gpuE13ELNS1_3repE0EEENS1_52radix_sort_onesweep_histogram_config_static_selectorELNS0_4arch9wavefront6targetE0EEEvSL_ ; -- Begin function _ZN7rocprim17ROCPRIM_400000_NS6detail17trampoline_kernelINS0_14default_configENS1_35radix_sort_onesweep_config_selectorIjN6thrust23THRUST_200600_302600_NS5tupleIffNS6_9null_typeES8_S8_S8_S8_S8_S8_S8_EEEEZNS1_34radix_sort_onesweep_global_offsetsIS3_Lb0ENS6_6detail15normal_iteratorINS6_10device_ptrIjEEEENSD_INSE_IS9_EEEEjNS0_19identity_decomposerEEE10hipError_tT1_T2_PT3_SN_jT4_jjP12ihipStream_tbEUlT_E_NS1_11comp_targetILNS1_3genE6ELNS1_11target_archE950ELNS1_3gpuE13ELNS1_3repE0EEENS1_52radix_sort_onesweep_histogram_config_static_selectorELNS0_4arch9wavefront6targetE0EEEvSL_
	.globl	_ZN7rocprim17ROCPRIM_400000_NS6detail17trampoline_kernelINS0_14default_configENS1_35radix_sort_onesweep_config_selectorIjN6thrust23THRUST_200600_302600_NS5tupleIffNS6_9null_typeES8_S8_S8_S8_S8_S8_S8_EEEEZNS1_34radix_sort_onesweep_global_offsetsIS3_Lb0ENS6_6detail15normal_iteratorINS6_10device_ptrIjEEEENSD_INSE_IS9_EEEEjNS0_19identity_decomposerEEE10hipError_tT1_T2_PT3_SN_jT4_jjP12ihipStream_tbEUlT_E_NS1_11comp_targetILNS1_3genE6ELNS1_11target_archE950ELNS1_3gpuE13ELNS1_3repE0EEENS1_52radix_sort_onesweep_histogram_config_static_selectorELNS0_4arch9wavefront6targetE0EEEvSL_
	.p2align	8
	.type	_ZN7rocprim17ROCPRIM_400000_NS6detail17trampoline_kernelINS0_14default_configENS1_35radix_sort_onesweep_config_selectorIjN6thrust23THRUST_200600_302600_NS5tupleIffNS6_9null_typeES8_S8_S8_S8_S8_S8_S8_EEEEZNS1_34radix_sort_onesweep_global_offsetsIS3_Lb0ENS6_6detail15normal_iteratorINS6_10device_ptrIjEEEENSD_INSE_IS9_EEEEjNS0_19identity_decomposerEEE10hipError_tT1_T2_PT3_SN_jT4_jjP12ihipStream_tbEUlT_E_NS1_11comp_targetILNS1_3genE6ELNS1_11target_archE950ELNS1_3gpuE13ELNS1_3repE0EEENS1_52radix_sort_onesweep_histogram_config_static_selectorELNS0_4arch9wavefront6targetE0EEEvSL_,@function
_ZN7rocprim17ROCPRIM_400000_NS6detail17trampoline_kernelINS0_14default_configENS1_35radix_sort_onesweep_config_selectorIjN6thrust23THRUST_200600_302600_NS5tupleIffNS6_9null_typeES8_S8_S8_S8_S8_S8_S8_EEEEZNS1_34radix_sort_onesweep_global_offsetsIS3_Lb0ENS6_6detail15normal_iteratorINS6_10device_ptrIjEEEENSD_INSE_IS9_EEEEjNS0_19identity_decomposerEEE10hipError_tT1_T2_PT3_SN_jT4_jjP12ihipStream_tbEUlT_E_NS1_11comp_targetILNS1_3genE6ELNS1_11target_archE950ELNS1_3gpuE13ELNS1_3repE0EEENS1_52radix_sort_onesweep_histogram_config_static_selectorELNS0_4arch9wavefront6targetE0EEEvSL_: ; @_ZN7rocprim17ROCPRIM_400000_NS6detail17trampoline_kernelINS0_14default_configENS1_35radix_sort_onesweep_config_selectorIjN6thrust23THRUST_200600_302600_NS5tupleIffNS6_9null_typeES8_S8_S8_S8_S8_S8_S8_EEEEZNS1_34radix_sort_onesweep_global_offsetsIS3_Lb0ENS6_6detail15normal_iteratorINS6_10device_ptrIjEEEENSD_INSE_IS9_EEEEjNS0_19identity_decomposerEEE10hipError_tT1_T2_PT3_SN_jT4_jjP12ihipStream_tbEUlT_E_NS1_11comp_targetILNS1_3genE6ELNS1_11target_archE950ELNS1_3gpuE13ELNS1_3repE0EEENS1_52radix_sort_onesweep_histogram_config_static_selectorELNS0_4arch9wavefront6targetE0EEEvSL_
; %bb.0:
	.section	.rodata,"a",@progbits
	.p2align	6, 0x0
	.amdhsa_kernel _ZN7rocprim17ROCPRIM_400000_NS6detail17trampoline_kernelINS0_14default_configENS1_35radix_sort_onesweep_config_selectorIjN6thrust23THRUST_200600_302600_NS5tupleIffNS6_9null_typeES8_S8_S8_S8_S8_S8_S8_EEEEZNS1_34radix_sort_onesweep_global_offsetsIS3_Lb0ENS6_6detail15normal_iteratorINS6_10device_ptrIjEEEENSD_INSE_IS9_EEEEjNS0_19identity_decomposerEEE10hipError_tT1_T2_PT3_SN_jT4_jjP12ihipStream_tbEUlT_E_NS1_11comp_targetILNS1_3genE6ELNS1_11target_archE950ELNS1_3gpuE13ELNS1_3repE0EEENS1_52radix_sort_onesweep_histogram_config_static_selectorELNS0_4arch9wavefront6targetE0EEEvSL_
		.amdhsa_group_segment_fixed_size 0
		.amdhsa_private_segment_fixed_size 0
		.amdhsa_kernarg_size 40
		.amdhsa_user_sgpr_count 2
		.amdhsa_user_sgpr_dispatch_ptr 0
		.amdhsa_user_sgpr_queue_ptr 0
		.amdhsa_user_sgpr_kernarg_segment_ptr 1
		.amdhsa_user_sgpr_dispatch_id 0
		.amdhsa_user_sgpr_kernarg_preload_length 0
		.amdhsa_user_sgpr_kernarg_preload_offset 0
		.amdhsa_user_sgpr_private_segment_size 0
		.amdhsa_wavefront_size32 1
		.amdhsa_uses_dynamic_stack 0
		.amdhsa_enable_private_segment 0
		.amdhsa_system_sgpr_workgroup_id_x 1
		.amdhsa_system_sgpr_workgroup_id_y 0
		.amdhsa_system_sgpr_workgroup_id_z 0
		.amdhsa_system_sgpr_workgroup_info 0
		.amdhsa_system_vgpr_workitem_id 0
		.amdhsa_next_free_vgpr 1
		.amdhsa_next_free_sgpr 1
		.amdhsa_named_barrier_count 0
		.amdhsa_reserve_vcc 0
		.amdhsa_float_round_mode_32 0
		.amdhsa_float_round_mode_16_64 0
		.amdhsa_float_denorm_mode_32 3
		.amdhsa_float_denorm_mode_16_64 3
		.amdhsa_fp16_overflow 0
		.amdhsa_memory_ordered 1
		.amdhsa_forward_progress 1
		.amdhsa_inst_pref_size 0
		.amdhsa_round_robin_scheduling 0
		.amdhsa_exception_fp_ieee_invalid_op 0
		.amdhsa_exception_fp_denorm_src 0
		.amdhsa_exception_fp_ieee_div_zero 0
		.amdhsa_exception_fp_ieee_overflow 0
		.amdhsa_exception_fp_ieee_underflow 0
		.amdhsa_exception_fp_ieee_inexact 0
		.amdhsa_exception_int_div_zero 0
	.end_amdhsa_kernel
	.section	.text._ZN7rocprim17ROCPRIM_400000_NS6detail17trampoline_kernelINS0_14default_configENS1_35radix_sort_onesweep_config_selectorIjN6thrust23THRUST_200600_302600_NS5tupleIffNS6_9null_typeES8_S8_S8_S8_S8_S8_S8_EEEEZNS1_34radix_sort_onesweep_global_offsetsIS3_Lb0ENS6_6detail15normal_iteratorINS6_10device_ptrIjEEEENSD_INSE_IS9_EEEEjNS0_19identity_decomposerEEE10hipError_tT1_T2_PT3_SN_jT4_jjP12ihipStream_tbEUlT_E_NS1_11comp_targetILNS1_3genE6ELNS1_11target_archE950ELNS1_3gpuE13ELNS1_3repE0EEENS1_52radix_sort_onesweep_histogram_config_static_selectorELNS0_4arch9wavefront6targetE0EEEvSL_,"axG",@progbits,_ZN7rocprim17ROCPRIM_400000_NS6detail17trampoline_kernelINS0_14default_configENS1_35radix_sort_onesweep_config_selectorIjN6thrust23THRUST_200600_302600_NS5tupleIffNS6_9null_typeES8_S8_S8_S8_S8_S8_S8_EEEEZNS1_34radix_sort_onesweep_global_offsetsIS3_Lb0ENS6_6detail15normal_iteratorINS6_10device_ptrIjEEEENSD_INSE_IS9_EEEEjNS0_19identity_decomposerEEE10hipError_tT1_T2_PT3_SN_jT4_jjP12ihipStream_tbEUlT_E_NS1_11comp_targetILNS1_3genE6ELNS1_11target_archE950ELNS1_3gpuE13ELNS1_3repE0EEENS1_52radix_sort_onesweep_histogram_config_static_selectorELNS0_4arch9wavefront6targetE0EEEvSL_,comdat
.Lfunc_end140:
	.size	_ZN7rocprim17ROCPRIM_400000_NS6detail17trampoline_kernelINS0_14default_configENS1_35radix_sort_onesweep_config_selectorIjN6thrust23THRUST_200600_302600_NS5tupleIffNS6_9null_typeES8_S8_S8_S8_S8_S8_S8_EEEEZNS1_34radix_sort_onesweep_global_offsetsIS3_Lb0ENS6_6detail15normal_iteratorINS6_10device_ptrIjEEEENSD_INSE_IS9_EEEEjNS0_19identity_decomposerEEE10hipError_tT1_T2_PT3_SN_jT4_jjP12ihipStream_tbEUlT_E_NS1_11comp_targetILNS1_3genE6ELNS1_11target_archE950ELNS1_3gpuE13ELNS1_3repE0EEENS1_52radix_sort_onesweep_histogram_config_static_selectorELNS0_4arch9wavefront6targetE0EEEvSL_, .Lfunc_end140-_ZN7rocprim17ROCPRIM_400000_NS6detail17trampoline_kernelINS0_14default_configENS1_35radix_sort_onesweep_config_selectorIjN6thrust23THRUST_200600_302600_NS5tupleIffNS6_9null_typeES8_S8_S8_S8_S8_S8_S8_EEEEZNS1_34radix_sort_onesweep_global_offsetsIS3_Lb0ENS6_6detail15normal_iteratorINS6_10device_ptrIjEEEENSD_INSE_IS9_EEEEjNS0_19identity_decomposerEEE10hipError_tT1_T2_PT3_SN_jT4_jjP12ihipStream_tbEUlT_E_NS1_11comp_targetILNS1_3genE6ELNS1_11target_archE950ELNS1_3gpuE13ELNS1_3repE0EEENS1_52radix_sort_onesweep_histogram_config_static_selectorELNS0_4arch9wavefront6targetE0EEEvSL_
                                        ; -- End function
	.set _ZN7rocprim17ROCPRIM_400000_NS6detail17trampoline_kernelINS0_14default_configENS1_35radix_sort_onesweep_config_selectorIjN6thrust23THRUST_200600_302600_NS5tupleIffNS6_9null_typeES8_S8_S8_S8_S8_S8_S8_EEEEZNS1_34radix_sort_onesweep_global_offsetsIS3_Lb0ENS6_6detail15normal_iteratorINS6_10device_ptrIjEEEENSD_INSE_IS9_EEEEjNS0_19identity_decomposerEEE10hipError_tT1_T2_PT3_SN_jT4_jjP12ihipStream_tbEUlT_E_NS1_11comp_targetILNS1_3genE6ELNS1_11target_archE950ELNS1_3gpuE13ELNS1_3repE0EEENS1_52radix_sort_onesweep_histogram_config_static_selectorELNS0_4arch9wavefront6targetE0EEEvSL_.num_vgpr, 0
	.set _ZN7rocprim17ROCPRIM_400000_NS6detail17trampoline_kernelINS0_14default_configENS1_35radix_sort_onesweep_config_selectorIjN6thrust23THRUST_200600_302600_NS5tupleIffNS6_9null_typeES8_S8_S8_S8_S8_S8_S8_EEEEZNS1_34radix_sort_onesweep_global_offsetsIS3_Lb0ENS6_6detail15normal_iteratorINS6_10device_ptrIjEEEENSD_INSE_IS9_EEEEjNS0_19identity_decomposerEEE10hipError_tT1_T2_PT3_SN_jT4_jjP12ihipStream_tbEUlT_E_NS1_11comp_targetILNS1_3genE6ELNS1_11target_archE950ELNS1_3gpuE13ELNS1_3repE0EEENS1_52radix_sort_onesweep_histogram_config_static_selectorELNS0_4arch9wavefront6targetE0EEEvSL_.num_agpr, 0
	.set _ZN7rocprim17ROCPRIM_400000_NS6detail17trampoline_kernelINS0_14default_configENS1_35radix_sort_onesweep_config_selectorIjN6thrust23THRUST_200600_302600_NS5tupleIffNS6_9null_typeES8_S8_S8_S8_S8_S8_S8_EEEEZNS1_34radix_sort_onesweep_global_offsetsIS3_Lb0ENS6_6detail15normal_iteratorINS6_10device_ptrIjEEEENSD_INSE_IS9_EEEEjNS0_19identity_decomposerEEE10hipError_tT1_T2_PT3_SN_jT4_jjP12ihipStream_tbEUlT_E_NS1_11comp_targetILNS1_3genE6ELNS1_11target_archE950ELNS1_3gpuE13ELNS1_3repE0EEENS1_52radix_sort_onesweep_histogram_config_static_selectorELNS0_4arch9wavefront6targetE0EEEvSL_.numbered_sgpr, 0
	.set _ZN7rocprim17ROCPRIM_400000_NS6detail17trampoline_kernelINS0_14default_configENS1_35radix_sort_onesweep_config_selectorIjN6thrust23THRUST_200600_302600_NS5tupleIffNS6_9null_typeES8_S8_S8_S8_S8_S8_S8_EEEEZNS1_34radix_sort_onesweep_global_offsetsIS3_Lb0ENS6_6detail15normal_iteratorINS6_10device_ptrIjEEEENSD_INSE_IS9_EEEEjNS0_19identity_decomposerEEE10hipError_tT1_T2_PT3_SN_jT4_jjP12ihipStream_tbEUlT_E_NS1_11comp_targetILNS1_3genE6ELNS1_11target_archE950ELNS1_3gpuE13ELNS1_3repE0EEENS1_52radix_sort_onesweep_histogram_config_static_selectorELNS0_4arch9wavefront6targetE0EEEvSL_.num_named_barrier, 0
	.set _ZN7rocprim17ROCPRIM_400000_NS6detail17trampoline_kernelINS0_14default_configENS1_35radix_sort_onesweep_config_selectorIjN6thrust23THRUST_200600_302600_NS5tupleIffNS6_9null_typeES8_S8_S8_S8_S8_S8_S8_EEEEZNS1_34radix_sort_onesweep_global_offsetsIS3_Lb0ENS6_6detail15normal_iteratorINS6_10device_ptrIjEEEENSD_INSE_IS9_EEEEjNS0_19identity_decomposerEEE10hipError_tT1_T2_PT3_SN_jT4_jjP12ihipStream_tbEUlT_E_NS1_11comp_targetILNS1_3genE6ELNS1_11target_archE950ELNS1_3gpuE13ELNS1_3repE0EEENS1_52radix_sort_onesweep_histogram_config_static_selectorELNS0_4arch9wavefront6targetE0EEEvSL_.private_seg_size, 0
	.set _ZN7rocprim17ROCPRIM_400000_NS6detail17trampoline_kernelINS0_14default_configENS1_35radix_sort_onesweep_config_selectorIjN6thrust23THRUST_200600_302600_NS5tupleIffNS6_9null_typeES8_S8_S8_S8_S8_S8_S8_EEEEZNS1_34radix_sort_onesweep_global_offsetsIS3_Lb0ENS6_6detail15normal_iteratorINS6_10device_ptrIjEEEENSD_INSE_IS9_EEEEjNS0_19identity_decomposerEEE10hipError_tT1_T2_PT3_SN_jT4_jjP12ihipStream_tbEUlT_E_NS1_11comp_targetILNS1_3genE6ELNS1_11target_archE950ELNS1_3gpuE13ELNS1_3repE0EEENS1_52radix_sort_onesweep_histogram_config_static_selectorELNS0_4arch9wavefront6targetE0EEEvSL_.uses_vcc, 0
	.set _ZN7rocprim17ROCPRIM_400000_NS6detail17trampoline_kernelINS0_14default_configENS1_35radix_sort_onesweep_config_selectorIjN6thrust23THRUST_200600_302600_NS5tupleIffNS6_9null_typeES8_S8_S8_S8_S8_S8_S8_EEEEZNS1_34radix_sort_onesweep_global_offsetsIS3_Lb0ENS6_6detail15normal_iteratorINS6_10device_ptrIjEEEENSD_INSE_IS9_EEEEjNS0_19identity_decomposerEEE10hipError_tT1_T2_PT3_SN_jT4_jjP12ihipStream_tbEUlT_E_NS1_11comp_targetILNS1_3genE6ELNS1_11target_archE950ELNS1_3gpuE13ELNS1_3repE0EEENS1_52radix_sort_onesweep_histogram_config_static_selectorELNS0_4arch9wavefront6targetE0EEEvSL_.uses_flat_scratch, 0
	.set _ZN7rocprim17ROCPRIM_400000_NS6detail17trampoline_kernelINS0_14default_configENS1_35radix_sort_onesweep_config_selectorIjN6thrust23THRUST_200600_302600_NS5tupleIffNS6_9null_typeES8_S8_S8_S8_S8_S8_S8_EEEEZNS1_34radix_sort_onesweep_global_offsetsIS3_Lb0ENS6_6detail15normal_iteratorINS6_10device_ptrIjEEEENSD_INSE_IS9_EEEEjNS0_19identity_decomposerEEE10hipError_tT1_T2_PT3_SN_jT4_jjP12ihipStream_tbEUlT_E_NS1_11comp_targetILNS1_3genE6ELNS1_11target_archE950ELNS1_3gpuE13ELNS1_3repE0EEENS1_52radix_sort_onesweep_histogram_config_static_selectorELNS0_4arch9wavefront6targetE0EEEvSL_.has_dyn_sized_stack, 0
	.set _ZN7rocprim17ROCPRIM_400000_NS6detail17trampoline_kernelINS0_14default_configENS1_35radix_sort_onesweep_config_selectorIjN6thrust23THRUST_200600_302600_NS5tupleIffNS6_9null_typeES8_S8_S8_S8_S8_S8_S8_EEEEZNS1_34radix_sort_onesweep_global_offsetsIS3_Lb0ENS6_6detail15normal_iteratorINS6_10device_ptrIjEEEENSD_INSE_IS9_EEEEjNS0_19identity_decomposerEEE10hipError_tT1_T2_PT3_SN_jT4_jjP12ihipStream_tbEUlT_E_NS1_11comp_targetILNS1_3genE6ELNS1_11target_archE950ELNS1_3gpuE13ELNS1_3repE0EEENS1_52radix_sort_onesweep_histogram_config_static_selectorELNS0_4arch9wavefront6targetE0EEEvSL_.has_recursion, 0
	.set _ZN7rocprim17ROCPRIM_400000_NS6detail17trampoline_kernelINS0_14default_configENS1_35radix_sort_onesweep_config_selectorIjN6thrust23THRUST_200600_302600_NS5tupleIffNS6_9null_typeES8_S8_S8_S8_S8_S8_S8_EEEEZNS1_34radix_sort_onesweep_global_offsetsIS3_Lb0ENS6_6detail15normal_iteratorINS6_10device_ptrIjEEEENSD_INSE_IS9_EEEEjNS0_19identity_decomposerEEE10hipError_tT1_T2_PT3_SN_jT4_jjP12ihipStream_tbEUlT_E_NS1_11comp_targetILNS1_3genE6ELNS1_11target_archE950ELNS1_3gpuE13ELNS1_3repE0EEENS1_52radix_sort_onesweep_histogram_config_static_selectorELNS0_4arch9wavefront6targetE0EEEvSL_.has_indirect_call, 0
	.section	.AMDGPU.csdata,"",@progbits
; Kernel info:
; codeLenInByte = 0
; TotalNumSgprs: 0
; NumVgprs: 0
; ScratchSize: 0
; MemoryBound: 0
; FloatMode: 240
; IeeeMode: 1
; LDSByteSize: 0 bytes/workgroup (compile time only)
; SGPRBlocks: 0
; VGPRBlocks: 0
; NumSGPRsForWavesPerEU: 1
; NumVGPRsForWavesPerEU: 1
; NamedBarCnt: 0
; Occupancy: 16
; WaveLimiterHint : 0
; COMPUTE_PGM_RSRC2:SCRATCH_EN: 0
; COMPUTE_PGM_RSRC2:USER_SGPR: 2
; COMPUTE_PGM_RSRC2:TRAP_HANDLER: 0
; COMPUTE_PGM_RSRC2:TGID_X_EN: 1
; COMPUTE_PGM_RSRC2:TGID_Y_EN: 0
; COMPUTE_PGM_RSRC2:TGID_Z_EN: 0
; COMPUTE_PGM_RSRC2:TIDIG_COMP_CNT: 0
	.section	.text._ZN7rocprim17ROCPRIM_400000_NS6detail17trampoline_kernelINS0_14default_configENS1_35radix_sort_onesweep_config_selectorIjN6thrust23THRUST_200600_302600_NS5tupleIffNS6_9null_typeES8_S8_S8_S8_S8_S8_S8_EEEEZNS1_34radix_sort_onesweep_global_offsetsIS3_Lb0ENS6_6detail15normal_iteratorINS6_10device_ptrIjEEEENSD_INSE_IS9_EEEEjNS0_19identity_decomposerEEE10hipError_tT1_T2_PT3_SN_jT4_jjP12ihipStream_tbEUlT_E_NS1_11comp_targetILNS1_3genE5ELNS1_11target_archE942ELNS1_3gpuE9ELNS1_3repE0EEENS1_52radix_sort_onesweep_histogram_config_static_selectorELNS0_4arch9wavefront6targetE0EEEvSL_,"axG",@progbits,_ZN7rocprim17ROCPRIM_400000_NS6detail17trampoline_kernelINS0_14default_configENS1_35radix_sort_onesweep_config_selectorIjN6thrust23THRUST_200600_302600_NS5tupleIffNS6_9null_typeES8_S8_S8_S8_S8_S8_S8_EEEEZNS1_34radix_sort_onesweep_global_offsetsIS3_Lb0ENS6_6detail15normal_iteratorINS6_10device_ptrIjEEEENSD_INSE_IS9_EEEEjNS0_19identity_decomposerEEE10hipError_tT1_T2_PT3_SN_jT4_jjP12ihipStream_tbEUlT_E_NS1_11comp_targetILNS1_3genE5ELNS1_11target_archE942ELNS1_3gpuE9ELNS1_3repE0EEENS1_52radix_sort_onesweep_histogram_config_static_selectorELNS0_4arch9wavefront6targetE0EEEvSL_,comdat
	.protected	_ZN7rocprim17ROCPRIM_400000_NS6detail17trampoline_kernelINS0_14default_configENS1_35radix_sort_onesweep_config_selectorIjN6thrust23THRUST_200600_302600_NS5tupleIffNS6_9null_typeES8_S8_S8_S8_S8_S8_S8_EEEEZNS1_34radix_sort_onesweep_global_offsetsIS3_Lb0ENS6_6detail15normal_iteratorINS6_10device_ptrIjEEEENSD_INSE_IS9_EEEEjNS0_19identity_decomposerEEE10hipError_tT1_T2_PT3_SN_jT4_jjP12ihipStream_tbEUlT_E_NS1_11comp_targetILNS1_3genE5ELNS1_11target_archE942ELNS1_3gpuE9ELNS1_3repE0EEENS1_52radix_sort_onesweep_histogram_config_static_selectorELNS0_4arch9wavefront6targetE0EEEvSL_ ; -- Begin function _ZN7rocprim17ROCPRIM_400000_NS6detail17trampoline_kernelINS0_14default_configENS1_35radix_sort_onesweep_config_selectorIjN6thrust23THRUST_200600_302600_NS5tupleIffNS6_9null_typeES8_S8_S8_S8_S8_S8_S8_EEEEZNS1_34radix_sort_onesweep_global_offsetsIS3_Lb0ENS6_6detail15normal_iteratorINS6_10device_ptrIjEEEENSD_INSE_IS9_EEEEjNS0_19identity_decomposerEEE10hipError_tT1_T2_PT3_SN_jT4_jjP12ihipStream_tbEUlT_E_NS1_11comp_targetILNS1_3genE5ELNS1_11target_archE942ELNS1_3gpuE9ELNS1_3repE0EEENS1_52radix_sort_onesweep_histogram_config_static_selectorELNS0_4arch9wavefront6targetE0EEEvSL_
	.globl	_ZN7rocprim17ROCPRIM_400000_NS6detail17trampoline_kernelINS0_14default_configENS1_35radix_sort_onesweep_config_selectorIjN6thrust23THRUST_200600_302600_NS5tupleIffNS6_9null_typeES8_S8_S8_S8_S8_S8_S8_EEEEZNS1_34radix_sort_onesweep_global_offsetsIS3_Lb0ENS6_6detail15normal_iteratorINS6_10device_ptrIjEEEENSD_INSE_IS9_EEEEjNS0_19identity_decomposerEEE10hipError_tT1_T2_PT3_SN_jT4_jjP12ihipStream_tbEUlT_E_NS1_11comp_targetILNS1_3genE5ELNS1_11target_archE942ELNS1_3gpuE9ELNS1_3repE0EEENS1_52radix_sort_onesweep_histogram_config_static_selectorELNS0_4arch9wavefront6targetE0EEEvSL_
	.p2align	8
	.type	_ZN7rocprim17ROCPRIM_400000_NS6detail17trampoline_kernelINS0_14default_configENS1_35radix_sort_onesweep_config_selectorIjN6thrust23THRUST_200600_302600_NS5tupleIffNS6_9null_typeES8_S8_S8_S8_S8_S8_S8_EEEEZNS1_34radix_sort_onesweep_global_offsetsIS3_Lb0ENS6_6detail15normal_iteratorINS6_10device_ptrIjEEEENSD_INSE_IS9_EEEEjNS0_19identity_decomposerEEE10hipError_tT1_T2_PT3_SN_jT4_jjP12ihipStream_tbEUlT_E_NS1_11comp_targetILNS1_3genE5ELNS1_11target_archE942ELNS1_3gpuE9ELNS1_3repE0EEENS1_52radix_sort_onesweep_histogram_config_static_selectorELNS0_4arch9wavefront6targetE0EEEvSL_,@function
_ZN7rocprim17ROCPRIM_400000_NS6detail17trampoline_kernelINS0_14default_configENS1_35radix_sort_onesweep_config_selectorIjN6thrust23THRUST_200600_302600_NS5tupleIffNS6_9null_typeES8_S8_S8_S8_S8_S8_S8_EEEEZNS1_34radix_sort_onesweep_global_offsetsIS3_Lb0ENS6_6detail15normal_iteratorINS6_10device_ptrIjEEEENSD_INSE_IS9_EEEEjNS0_19identity_decomposerEEE10hipError_tT1_T2_PT3_SN_jT4_jjP12ihipStream_tbEUlT_E_NS1_11comp_targetILNS1_3genE5ELNS1_11target_archE942ELNS1_3gpuE9ELNS1_3repE0EEENS1_52radix_sort_onesweep_histogram_config_static_selectorELNS0_4arch9wavefront6targetE0EEEvSL_: ; @_ZN7rocprim17ROCPRIM_400000_NS6detail17trampoline_kernelINS0_14default_configENS1_35radix_sort_onesweep_config_selectorIjN6thrust23THRUST_200600_302600_NS5tupleIffNS6_9null_typeES8_S8_S8_S8_S8_S8_S8_EEEEZNS1_34radix_sort_onesweep_global_offsetsIS3_Lb0ENS6_6detail15normal_iteratorINS6_10device_ptrIjEEEENSD_INSE_IS9_EEEEjNS0_19identity_decomposerEEE10hipError_tT1_T2_PT3_SN_jT4_jjP12ihipStream_tbEUlT_E_NS1_11comp_targetILNS1_3genE5ELNS1_11target_archE942ELNS1_3gpuE9ELNS1_3repE0EEENS1_52radix_sort_onesweep_histogram_config_static_selectorELNS0_4arch9wavefront6targetE0EEEvSL_
; %bb.0:
	.section	.rodata,"a",@progbits
	.p2align	6, 0x0
	.amdhsa_kernel _ZN7rocprim17ROCPRIM_400000_NS6detail17trampoline_kernelINS0_14default_configENS1_35radix_sort_onesweep_config_selectorIjN6thrust23THRUST_200600_302600_NS5tupleIffNS6_9null_typeES8_S8_S8_S8_S8_S8_S8_EEEEZNS1_34radix_sort_onesweep_global_offsetsIS3_Lb0ENS6_6detail15normal_iteratorINS6_10device_ptrIjEEEENSD_INSE_IS9_EEEEjNS0_19identity_decomposerEEE10hipError_tT1_T2_PT3_SN_jT4_jjP12ihipStream_tbEUlT_E_NS1_11comp_targetILNS1_3genE5ELNS1_11target_archE942ELNS1_3gpuE9ELNS1_3repE0EEENS1_52radix_sort_onesweep_histogram_config_static_selectorELNS0_4arch9wavefront6targetE0EEEvSL_
		.amdhsa_group_segment_fixed_size 0
		.amdhsa_private_segment_fixed_size 0
		.amdhsa_kernarg_size 40
		.amdhsa_user_sgpr_count 2
		.amdhsa_user_sgpr_dispatch_ptr 0
		.amdhsa_user_sgpr_queue_ptr 0
		.amdhsa_user_sgpr_kernarg_segment_ptr 1
		.amdhsa_user_sgpr_dispatch_id 0
		.amdhsa_user_sgpr_kernarg_preload_length 0
		.amdhsa_user_sgpr_kernarg_preload_offset 0
		.amdhsa_user_sgpr_private_segment_size 0
		.amdhsa_wavefront_size32 1
		.amdhsa_uses_dynamic_stack 0
		.amdhsa_enable_private_segment 0
		.amdhsa_system_sgpr_workgroup_id_x 1
		.amdhsa_system_sgpr_workgroup_id_y 0
		.amdhsa_system_sgpr_workgroup_id_z 0
		.amdhsa_system_sgpr_workgroup_info 0
		.amdhsa_system_vgpr_workitem_id 0
		.amdhsa_next_free_vgpr 1
		.amdhsa_next_free_sgpr 1
		.amdhsa_named_barrier_count 0
		.amdhsa_reserve_vcc 0
		.amdhsa_float_round_mode_32 0
		.amdhsa_float_round_mode_16_64 0
		.amdhsa_float_denorm_mode_32 3
		.amdhsa_float_denorm_mode_16_64 3
		.amdhsa_fp16_overflow 0
		.amdhsa_memory_ordered 1
		.amdhsa_forward_progress 1
		.amdhsa_inst_pref_size 0
		.amdhsa_round_robin_scheduling 0
		.amdhsa_exception_fp_ieee_invalid_op 0
		.amdhsa_exception_fp_denorm_src 0
		.amdhsa_exception_fp_ieee_div_zero 0
		.amdhsa_exception_fp_ieee_overflow 0
		.amdhsa_exception_fp_ieee_underflow 0
		.amdhsa_exception_fp_ieee_inexact 0
		.amdhsa_exception_int_div_zero 0
	.end_amdhsa_kernel
	.section	.text._ZN7rocprim17ROCPRIM_400000_NS6detail17trampoline_kernelINS0_14default_configENS1_35radix_sort_onesweep_config_selectorIjN6thrust23THRUST_200600_302600_NS5tupleIffNS6_9null_typeES8_S8_S8_S8_S8_S8_S8_EEEEZNS1_34radix_sort_onesweep_global_offsetsIS3_Lb0ENS6_6detail15normal_iteratorINS6_10device_ptrIjEEEENSD_INSE_IS9_EEEEjNS0_19identity_decomposerEEE10hipError_tT1_T2_PT3_SN_jT4_jjP12ihipStream_tbEUlT_E_NS1_11comp_targetILNS1_3genE5ELNS1_11target_archE942ELNS1_3gpuE9ELNS1_3repE0EEENS1_52radix_sort_onesweep_histogram_config_static_selectorELNS0_4arch9wavefront6targetE0EEEvSL_,"axG",@progbits,_ZN7rocprim17ROCPRIM_400000_NS6detail17trampoline_kernelINS0_14default_configENS1_35radix_sort_onesweep_config_selectorIjN6thrust23THRUST_200600_302600_NS5tupleIffNS6_9null_typeES8_S8_S8_S8_S8_S8_S8_EEEEZNS1_34radix_sort_onesweep_global_offsetsIS3_Lb0ENS6_6detail15normal_iteratorINS6_10device_ptrIjEEEENSD_INSE_IS9_EEEEjNS0_19identity_decomposerEEE10hipError_tT1_T2_PT3_SN_jT4_jjP12ihipStream_tbEUlT_E_NS1_11comp_targetILNS1_3genE5ELNS1_11target_archE942ELNS1_3gpuE9ELNS1_3repE0EEENS1_52radix_sort_onesweep_histogram_config_static_selectorELNS0_4arch9wavefront6targetE0EEEvSL_,comdat
.Lfunc_end141:
	.size	_ZN7rocprim17ROCPRIM_400000_NS6detail17trampoline_kernelINS0_14default_configENS1_35radix_sort_onesweep_config_selectorIjN6thrust23THRUST_200600_302600_NS5tupleIffNS6_9null_typeES8_S8_S8_S8_S8_S8_S8_EEEEZNS1_34radix_sort_onesweep_global_offsetsIS3_Lb0ENS6_6detail15normal_iteratorINS6_10device_ptrIjEEEENSD_INSE_IS9_EEEEjNS0_19identity_decomposerEEE10hipError_tT1_T2_PT3_SN_jT4_jjP12ihipStream_tbEUlT_E_NS1_11comp_targetILNS1_3genE5ELNS1_11target_archE942ELNS1_3gpuE9ELNS1_3repE0EEENS1_52radix_sort_onesweep_histogram_config_static_selectorELNS0_4arch9wavefront6targetE0EEEvSL_, .Lfunc_end141-_ZN7rocprim17ROCPRIM_400000_NS6detail17trampoline_kernelINS0_14default_configENS1_35radix_sort_onesweep_config_selectorIjN6thrust23THRUST_200600_302600_NS5tupleIffNS6_9null_typeES8_S8_S8_S8_S8_S8_S8_EEEEZNS1_34radix_sort_onesweep_global_offsetsIS3_Lb0ENS6_6detail15normal_iteratorINS6_10device_ptrIjEEEENSD_INSE_IS9_EEEEjNS0_19identity_decomposerEEE10hipError_tT1_T2_PT3_SN_jT4_jjP12ihipStream_tbEUlT_E_NS1_11comp_targetILNS1_3genE5ELNS1_11target_archE942ELNS1_3gpuE9ELNS1_3repE0EEENS1_52radix_sort_onesweep_histogram_config_static_selectorELNS0_4arch9wavefront6targetE0EEEvSL_
                                        ; -- End function
	.set _ZN7rocprim17ROCPRIM_400000_NS6detail17trampoline_kernelINS0_14default_configENS1_35radix_sort_onesweep_config_selectorIjN6thrust23THRUST_200600_302600_NS5tupleIffNS6_9null_typeES8_S8_S8_S8_S8_S8_S8_EEEEZNS1_34radix_sort_onesweep_global_offsetsIS3_Lb0ENS6_6detail15normal_iteratorINS6_10device_ptrIjEEEENSD_INSE_IS9_EEEEjNS0_19identity_decomposerEEE10hipError_tT1_T2_PT3_SN_jT4_jjP12ihipStream_tbEUlT_E_NS1_11comp_targetILNS1_3genE5ELNS1_11target_archE942ELNS1_3gpuE9ELNS1_3repE0EEENS1_52radix_sort_onesweep_histogram_config_static_selectorELNS0_4arch9wavefront6targetE0EEEvSL_.num_vgpr, 0
	.set _ZN7rocprim17ROCPRIM_400000_NS6detail17trampoline_kernelINS0_14default_configENS1_35radix_sort_onesweep_config_selectorIjN6thrust23THRUST_200600_302600_NS5tupleIffNS6_9null_typeES8_S8_S8_S8_S8_S8_S8_EEEEZNS1_34radix_sort_onesweep_global_offsetsIS3_Lb0ENS6_6detail15normal_iteratorINS6_10device_ptrIjEEEENSD_INSE_IS9_EEEEjNS0_19identity_decomposerEEE10hipError_tT1_T2_PT3_SN_jT4_jjP12ihipStream_tbEUlT_E_NS1_11comp_targetILNS1_3genE5ELNS1_11target_archE942ELNS1_3gpuE9ELNS1_3repE0EEENS1_52radix_sort_onesweep_histogram_config_static_selectorELNS0_4arch9wavefront6targetE0EEEvSL_.num_agpr, 0
	.set _ZN7rocprim17ROCPRIM_400000_NS6detail17trampoline_kernelINS0_14default_configENS1_35radix_sort_onesweep_config_selectorIjN6thrust23THRUST_200600_302600_NS5tupleIffNS6_9null_typeES8_S8_S8_S8_S8_S8_S8_EEEEZNS1_34radix_sort_onesweep_global_offsetsIS3_Lb0ENS6_6detail15normal_iteratorINS6_10device_ptrIjEEEENSD_INSE_IS9_EEEEjNS0_19identity_decomposerEEE10hipError_tT1_T2_PT3_SN_jT4_jjP12ihipStream_tbEUlT_E_NS1_11comp_targetILNS1_3genE5ELNS1_11target_archE942ELNS1_3gpuE9ELNS1_3repE0EEENS1_52radix_sort_onesweep_histogram_config_static_selectorELNS0_4arch9wavefront6targetE0EEEvSL_.numbered_sgpr, 0
	.set _ZN7rocprim17ROCPRIM_400000_NS6detail17trampoline_kernelINS0_14default_configENS1_35radix_sort_onesweep_config_selectorIjN6thrust23THRUST_200600_302600_NS5tupleIffNS6_9null_typeES8_S8_S8_S8_S8_S8_S8_EEEEZNS1_34radix_sort_onesweep_global_offsetsIS3_Lb0ENS6_6detail15normal_iteratorINS6_10device_ptrIjEEEENSD_INSE_IS9_EEEEjNS0_19identity_decomposerEEE10hipError_tT1_T2_PT3_SN_jT4_jjP12ihipStream_tbEUlT_E_NS1_11comp_targetILNS1_3genE5ELNS1_11target_archE942ELNS1_3gpuE9ELNS1_3repE0EEENS1_52radix_sort_onesweep_histogram_config_static_selectorELNS0_4arch9wavefront6targetE0EEEvSL_.num_named_barrier, 0
	.set _ZN7rocprim17ROCPRIM_400000_NS6detail17trampoline_kernelINS0_14default_configENS1_35radix_sort_onesweep_config_selectorIjN6thrust23THRUST_200600_302600_NS5tupleIffNS6_9null_typeES8_S8_S8_S8_S8_S8_S8_EEEEZNS1_34radix_sort_onesweep_global_offsetsIS3_Lb0ENS6_6detail15normal_iteratorINS6_10device_ptrIjEEEENSD_INSE_IS9_EEEEjNS0_19identity_decomposerEEE10hipError_tT1_T2_PT3_SN_jT4_jjP12ihipStream_tbEUlT_E_NS1_11comp_targetILNS1_3genE5ELNS1_11target_archE942ELNS1_3gpuE9ELNS1_3repE0EEENS1_52radix_sort_onesweep_histogram_config_static_selectorELNS0_4arch9wavefront6targetE0EEEvSL_.private_seg_size, 0
	.set _ZN7rocprim17ROCPRIM_400000_NS6detail17trampoline_kernelINS0_14default_configENS1_35radix_sort_onesweep_config_selectorIjN6thrust23THRUST_200600_302600_NS5tupleIffNS6_9null_typeES8_S8_S8_S8_S8_S8_S8_EEEEZNS1_34radix_sort_onesweep_global_offsetsIS3_Lb0ENS6_6detail15normal_iteratorINS6_10device_ptrIjEEEENSD_INSE_IS9_EEEEjNS0_19identity_decomposerEEE10hipError_tT1_T2_PT3_SN_jT4_jjP12ihipStream_tbEUlT_E_NS1_11comp_targetILNS1_3genE5ELNS1_11target_archE942ELNS1_3gpuE9ELNS1_3repE0EEENS1_52radix_sort_onesweep_histogram_config_static_selectorELNS0_4arch9wavefront6targetE0EEEvSL_.uses_vcc, 0
	.set _ZN7rocprim17ROCPRIM_400000_NS6detail17trampoline_kernelINS0_14default_configENS1_35radix_sort_onesweep_config_selectorIjN6thrust23THRUST_200600_302600_NS5tupleIffNS6_9null_typeES8_S8_S8_S8_S8_S8_S8_EEEEZNS1_34radix_sort_onesweep_global_offsetsIS3_Lb0ENS6_6detail15normal_iteratorINS6_10device_ptrIjEEEENSD_INSE_IS9_EEEEjNS0_19identity_decomposerEEE10hipError_tT1_T2_PT3_SN_jT4_jjP12ihipStream_tbEUlT_E_NS1_11comp_targetILNS1_3genE5ELNS1_11target_archE942ELNS1_3gpuE9ELNS1_3repE0EEENS1_52radix_sort_onesweep_histogram_config_static_selectorELNS0_4arch9wavefront6targetE0EEEvSL_.uses_flat_scratch, 0
	.set _ZN7rocprim17ROCPRIM_400000_NS6detail17trampoline_kernelINS0_14default_configENS1_35radix_sort_onesweep_config_selectorIjN6thrust23THRUST_200600_302600_NS5tupleIffNS6_9null_typeES8_S8_S8_S8_S8_S8_S8_EEEEZNS1_34radix_sort_onesweep_global_offsetsIS3_Lb0ENS6_6detail15normal_iteratorINS6_10device_ptrIjEEEENSD_INSE_IS9_EEEEjNS0_19identity_decomposerEEE10hipError_tT1_T2_PT3_SN_jT4_jjP12ihipStream_tbEUlT_E_NS1_11comp_targetILNS1_3genE5ELNS1_11target_archE942ELNS1_3gpuE9ELNS1_3repE0EEENS1_52radix_sort_onesweep_histogram_config_static_selectorELNS0_4arch9wavefront6targetE0EEEvSL_.has_dyn_sized_stack, 0
	.set _ZN7rocprim17ROCPRIM_400000_NS6detail17trampoline_kernelINS0_14default_configENS1_35radix_sort_onesweep_config_selectorIjN6thrust23THRUST_200600_302600_NS5tupleIffNS6_9null_typeES8_S8_S8_S8_S8_S8_S8_EEEEZNS1_34radix_sort_onesweep_global_offsetsIS3_Lb0ENS6_6detail15normal_iteratorINS6_10device_ptrIjEEEENSD_INSE_IS9_EEEEjNS0_19identity_decomposerEEE10hipError_tT1_T2_PT3_SN_jT4_jjP12ihipStream_tbEUlT_E_NS1_11comp_targetILNS1_3genE5ELNS1_11target_archE942ELNS1_3gpuE9ELNS1_3repE0EEENS1_52radix_sort_onesweep_histogram_config_static_selectorELNS0_4arch9wavefront6targetE0EEEvSL_.has_recursion, 0
	.set _ZN7rocprim17ROCPRIM_400000_NS6detail17trampoline_kernelINS0_14default_configENS1_35radix_sort_onesweep_config_selectorIjN6thrust23THRUST_200600_302600_NS5tupleIffNS6_9null_typeES8_S8_S8_S8_S8_S8_S8_EEEEZNS1_34radix_sort_onesweep_global_offsetsIS3_Lb0ENS6_6detail15normal_iteratorINS6_10device_ptrIjEEEENSD_INSE_IS9_EEEEjNS0_19identity_decomposerEEE10hipError_tT1_T2_PT3_SN_jT4_jjP12ihipStream_tbEUlT_E_NS1_11comp_targetILNS1_3genE5ELNS1_11target_archE942ELNS1_3gpuE9ELNS1_3repE0EEENS1_52radix_sort_onesweep_histogram_config_static_selectorELNS0_4arch9wavefront6targetE0EEEvSL_.has_indirect_call, 0
	.section	.AMDGPU.csdata,"",@progbits
; Kernel info:
; codeLenInByte = 0
; TotalNumSgprs: 0
; NumVgprs: 0
; ScratchSize: 0
; MemoryBound: 0
; FloatMode: 240
; IeeeMode: 1
; LDSByteSize: 0 bytes/workgroup (compile time only)
; SGPRBlocks: 0
; VGPRBlocks: 0
; NumSGPRsForWavesPerEU: 1
; NumVGPRsForWavesPerEU: 1
; NamedBarCnt: 0
; Occupancy: 16
; WaveLimiterHint : 0
; COMPUTE_PGM_RSRC2:SCRATCH_EN: 0
; COMPUTE_PGM_RSRC2:USER_SGPR: 2
; COMPUTE_PGM_RSRC2:TRAP_HANDLER: 0
; COMPUTE_PGM_RSRC2:TGID_X_EN: 1
; COMPUTE_PGM_RSRC2:TGID_Y_EN: 0
; COMPUTE_PGM_RSRC2:TGID_Z_EN: 0
; COMPUTE_PGM_RSRC2:TIDIG_COMP_CNT: 0
	.section	.text._ZN7rocprim17ROCPRIM_400000_NS6detail17trampoline_kernelINS0_14default_configENS1_35radix_sort_onesweep_config_selectorIjN6thrust23THRUST_200600_302600_NS5tupleIffNS6_9null_typeES8_S8_S8_S8_S8_S8_S8_EEEEZNS1_34radix_sort_onesweep_global_offsetsIS3_Lb0ENS6_6detail15normal_iteratorINS6_10device_ptrIjEEEENSD_INSE_IS9_EEEEjNS0_19identity_decomposerEEE10hipError_tT1_T2_PT3_SN_jT4_jjP12ihipStream_tbEUlT_E_NS1_11comp_targetILNS1_3genE2ELNS1_11target_archE906ELNS1_3gpuE6ELNS1_3repE0EEENS1_52radix_sort_onesweep_histogram_config_static_selectorELNS0_4arch9wavefront6targetE0EEEvSL_,"axG",@progbits,_ZN7rocprim17ROCPRIM_400000_NS6detail17trampoline_kernelINS0_14default_configENS1_35radix_sort_onesweep_config_selectorIjN6thrust23THRUST_200600_302600_NS5tupleIffNS6_9null_typeES8_S8_S8_S8_S8_S8_S8_EEEEZNS1_34radix_sort_onesweep_global_offsetsIS3_Lb0ENS6_6detail15normal_iteratorINS6_10device_ptrIjEEEENSD_INSE_IS9_EEEEjNS0_19identity_decomposerEEE10hipError_tT1_T2_PT3_SN_jT4_jjP12ihipStream_tbEUlT_E_NS1_11comp_targetILNS1_3genE2ELNS1_11target_archE906ELNS1_3gpuE6ELNS1_3repE0EEENS1_52radix_sort_onesweep_histogram_config_static_selectorELNS0_4arch9wavefront6targetE0EEEvSL_,comdat
	.protected	_ZN7rocprim17ROCPRIM_400000_NS6detail17trampoline_kernelINS0_14default_configENS1_35radix_sort_onesweep_config_selectorIjN6thrust23THRUST_200600_302600_NS5tupleIffNS6_9null_typeES8_S8_S8_S8_S8_S8_S8_EEEEZNS1_34radix_sort_onesweep_global_offsetsIS3_Lb0ENS6_6detail15normal_iteratorINS6_10device_ptrIjEEEENSD_INSE_IS9_EEEEjNS0_19identity_decomposerEEE10hipError_tT1_T2_PT3_SN_jT4_jjP12ihipStream_tbEUlT_E_NS1_11comp_targetILNS1_3genE2ELNS1_11target_archE906ELNS1_3gpuE6ELNS1_3repE0EEENS1_52radix_sort_onesweep_histogram_config_static_selectorELNS0_4arch9wavefront6targetE0EEEvSL_ ; -- Begin function _ZN7rocprim17ROCPRIM_400000_NS6detail17trampoline_kernelINS0_14default_configENS1_35radix_sort_onesweep_config_selectorIjN6thrust23THRUST_200600_302600_NS5tupleIffNS6_9null_typeES8_S8_S8_S8_S8_S8_S8_EEEEZNS1_34radix_sort_onesweep_global_offsetsIS3_Lb0ENS6_6detail15normal_iteratorINS6_10device_ptrIjEEEENSD_INSE_IS9_EEEEjNS0_19identity_decomposerEEE10hipError_tT1_T2_PT3_SN_jT4_jjP12ihipStream_tbEUlT_E_NS1_11comp_targetILNS1_3genE2ELNS1_11target_archE906ELNS1_3gpuE6ELNS1_3repE0EEENS1_52radix_sort_onesweep_histogram_config_static_selectorELNS0_4arch9wavefront6targetE0EEEvSL_
	.globl	_ZN7rocprim17ROCPRIM_400000_NS6detail17trampoline_kernelINS0_14default_configENS1_35radix_sort_onesweep_config_selectorIjN6thrust23THRUST_200600_302600_NS5tupleIffNS6_9null_typeES8_S8_S8_S8_S8_S8_S8_EEEEZNS1_34radix_sort_onesweep_global_offsetsIS3_Lb0ENS6_6detail15normal_iteratorINS6_10device_ptrIjEEEENSD_INSE_IS9_EEEEjNS0_19identity_decomposerEEE10hipError_tT1_T2_PT3_SN_jT4_jjP12ihipStream_tbEUlT_E_NS1_11comp_targetILNS1_3genE2ELNS1_11target_archE906ELNS1_3gpuE6ELNS1_3repE0EEENS1_52radix_sort_onesweep_histogram_config_static_selectorELNS0_4arch9wavefront6targetE0EEEvSL_
	.p2align	8
	.type	_ZN7rocprim17ROCPRIM_400000_NS6detail17trampoline_kernelINS0_14default_configENS1_35radix_sort_onesweep_config_selectorIjN6thrust23THRUST_200600_302600_NS5tupleIffNS6_9null_typeES8_S8_S8_S8_S8_S8_S8_EEEEZNS1_34radix_sort_onesweep_global_offsetsIS3_Lb0ENS6_6detail15normal_iteratorINS6_10device_ptrIjEEEENSD_INSE_IS9_EEEEjNS0_19identity_decomposerEEE10hipError_tT1_T2_PT3_SN_jT4_jjP12ihipStream_tbEUlT_E_NS1_11comp_targetILNS1_3genE2ELNS1_11target_archE906ELNS1_3gpuE6ELNS1_3repE0EEENS1_52radix_sort_onesweep_histogram_config_static_selectorELNS0_4arch9wavefront6targetE0EEEvSL_,@function
_ZN7rocprim17ROCPRIM_400000_NS6detail17trampoline_kernelINS0_14default_configENS1_35radix_sort_onesweep_config_selectorIjN6thrust23THRUST_200600_302600_NS5tupleIffNS6_9null_typeES8_S8_S8_S8_S8_S8_S8_EEEEZNS1_34radix_sort_onesweep_global_offsetsIS3_Lb0ENS6_6detail15normal_iteratorINS6_10device_ptrIjEEEENSD_INSE_IS9_EEEEjNS0_19identity_decomposerEEE10hipError_tT1_T2_PT3_SN_jT4_jjP12ihipStream_tbEUlT_E_NS1_11comp_targetILNS1_3genE2ELNS1_11target_archE906ELNS1_3gpuE6ELNS1_3repE0EEENS1_52radix_sort_onesweep_histogram_config_static_selectorELNS0_4arch9wavefront6targetE0EEEvSL_: ; @_ZN7rocprim17ROCPRIM_400000_NS6detail17trampoline_kernelINS0_14default_configENS1_35radix_sort_onesweep_config_selectorIjN6thrust23THRUST_200600_302600_NS5tupleIffNS6_9null_typeES8_S8_S8_S8_S8_S8_S8_EEEEZNS1_34radix_sort_onesweep_global_offsetsIS3_Lb0ENS6_6detail15normal_iteratorINS6_10device_ptrIjEEEENSD_INSE_IS9_EEEEjNS0_19identity_decomposerEEE10hipError_tT1_T2_PT3_SN_jT4_jjP12ihipStream_tbEUlT_E_NS1_11comp_targetILNS1_3genE2ELNS1_11target_archE906ELNS1_3gpuE6ELNS1_3repE0EEENS1_52radix_sort_onesweep_histogram_config_static_selectorELNS0_4arch9wavefront6targetE0EEEvSL_
; %bb.0:
	.section	.rodata,"a",@progbits
	.p2align	6, 0x0
	.amdhsa_kernel _ZN7rocprim17ROCPRIM_400000_NS6detail17trampoline_kernelINS0_14default_configENS1_35radix_sort_onesweep_config_selectorIjN6thrust23THRUST_200600_302600_NS5tupleIffNS6_9null_typeES8_S8_S8_S8_S8_S8_S8_EEEEZNS1_34radix_sort_onesweep_global_offsetsIS3_Lb0ENS6_6detail15normal_iteratorINS6_10device_ptrIjEEEENSD_INSE_IS9_EEEEjNS0_19identity_decomposerEEE10hipError_tT1_T2_PT3_SN_jT4_jjP12ihipStream_tbEUlT_E_NS1_11comp_targetILNS1_3genE2ELNS1_11target_archE906ELNS1_3gpuE6ELNS1_3repE0EEENS1_52radix_sort_onesweep_histogram_config_static_selectorELNS0_4arch9wavefront6targetE0EEEvSL_
		.amdhsa_group_segment_fixed_size 0
		.amdhsa_private_segment_fixed_size 0
		.amdhsa_kernarg_size 40
		.amdhsa_user_sgpr_count 2
		.amdhsa_user_sgpr_dispatch_ptr 0
		.amdhsa_user_sgpr_queue_ptr 0
		.amdhsa_user_sgpr_kernarg_segment_ptr 1
		.amdhsa_user_sgpr_dispatch_id 0
		.amdhsa_user_sgpr_kernarg_preload_length 0
		.amdhsa_user_sgpr_kernarg_preload_offset 0
		.amdhsa_user_sgpr_private_segment_size 0
		.amdhsa_wavefront_size32 1
		.amdhsa_uses_dynamic_stack 0
		.amdhsa_enable_private_segment 0
		.amdhsa_system_sgpr_workgroup_id_x 1
		.amdhsa_system_sgpr_workgroup_id_y 0
		.amdhsa_system_sgpr_workgroup_id_z 0
		.amdhsa_system_sgpr_workgroup_info 0
		.amdhsa_system_vgpr_workitem_id 0
		.amdhsa_next_free_vgpr 1
		.amdhsa_next_free_sgpr 1
		.amdhsa_named_barrier_count 0
		.amdhsa_reserve_vcc 0
		.amdhsa_float_round_mode_32 0
		.amdhsa_float_round_mode_16_64 0
		.amdhsa_float_denorm_mode_32 3
		.amdhsa_float_denorm_mode_16_64 3
		.amdhsa_fp16_overflow 0
		.amdhsa_memory_ordered 1
		.amdhsa_forward_progress 1
		.amdhsa_inst_pref_size 0
		.amdhsa_round_robin_scheduling 0
		.amdhsa_exception_fp_ieee_invalid_op 0
		.amdhsa_exception_fp_denorm_src 0
		.amdhsa_exception_fp_ieee_div_zero 0
		.amdhsa_exception_fp_ieee_overflow 0
		.amdhsa_exception_fp_ieee_underflow 0
		.amdhsa_exception_fp_ieee_inexact 0
		.amdhsa_exception_int_div_zero 0
	.end_amdhsa_kernel
	.section	.text._ZN7rocprim17ROCPRIM_400000_NS6detail17trampoline_kernelINS0_14default_configENS1_35radix_sort_onesweep_config_selectorIjN6thrust23THRUST_200600_302600_NS5tupleIffNS6_9null_typeES8_S8_S8_S8_S8_S8_S8_EEEEZNS1_34radix_sort_onesweep_global_offsetsIS3_Lb0ENS6_6detail15normal_iteratorINS6_10device_ptrIjEEEENSD_INSE_IS9_EEEEjNS0_19identity_decomposerEEE10hipError_tT1_T2_PT3_SN_jT4_jjP12ihipStream_tbEUlT_E_NS1_11comp_targetILNS1_3genE2ELNS1_11target_archE906ELNS1_3gpuE6ELNS1_3repE0EEENS1_52radix_sort_onesweep_histogram_config_static_selectorELNS0_4arch9wavefront6targetE0EEEvSL_,"axG",@progbits,_ZN7rocprim17ROCPRIM_400000_NS6detail17trampoline_kernelINS0_14default_configENS1_35radix_sort_onesweep_config_selectorIjN6thrust23THRUST_200600_302600_NS5tupleIffNS6_9null_typeES8_S8_S8_S8_S8_S8_S8_EEEEZNS1_34radix_sort_onesweep_global_offsetsIS3_Lb0ENS6_6detail15normal_iteratorINS6_10device_ptrIjEEEENSD_INSE_IS9_EEEEjNS0_19identity_decomposerEEE10hipError_tT1_T2_PT3_SN_jT4_jjP12ihipStream_tbEUlT_E_NS1_11comp_targetILNS1_3genE2ELNS1_11target_archE906ELNS1_3gpuE6ELNS1_3repE0EEENS1_52radix_sort_onesweep_histogram_config_static_selectorELNS0_4arch9wavefront6targetE0EEEvSL_,comdat
.Lfunc_end142:
	.size	_ZN7rocprim17ROCPRIM_400000_NS6detail17trampoline_kernelINS0_14default_configENS1_35radix_sort_onesweep_config_selectorIjN6thrust23THRUST_200600_302600_NS5tupleIffNS6_9null_typeES8_S8_S8_S8_S8_S8_S8_EEEEZNS1_34radix_sort_onesweep_global_offsetsIS3_Lb0ENS6_6detail15normal_iteratorINS6_10device_ptrIjEEEENSD_INSE_IS9_EEEEjNS0_19identity_decomposerEEE10hipError_tT1_T2_PT3_SN_jT4_jjP12ihipStream_tbEUlT_E_NS1_11comp_targetILNS1_3genE2ELNS1_11target_archE906ELNS1_3gpuE6ELNS1_3repE0EEENS1_52radix_sort_onesweep_histogram_config_static_selectorELNS0_4arch9wavefront6targetE0EEEvSL_, .Lfunc_end142-_ZN7rocprim17ROCPRIM_400000_NS6detail17trampoline_kernelINS0_14default_configENS1_35radix_sort_onesweep_config_selectorIjN6thrust23THRUST_200600_302600_NS5tupleIffNS6_9null_typeES8_S8_S8_S8_S8_S8_S8_EEEEZNS1_34radix_sort_onesweep_global_offsetsIS3_Lb0ENS6_6detail15normal_iteratorINS6_10device_ptrIjEEEENSD_INSE_IS9_EEEEjNS0_19identity_decomposerEEE10hipError_tT1_T2_PT3_SN_jT4_jjP12ihipStream_tbEUlT_E_NS1_11comp_targetILNS1_3genE2ELNS1_11target_archE906ELNS1_3gpuE6ELNS1_3repE0EEENS1_52radix_sort_onesweep_histogram_config_static_selectorELNS0_4arch9wavefront6targetE0EEEvSL_
                                        ; -- End function
	.set _ZN7rocprim17ROCPRIM_400000_NS6detail17trampoline_kernelINS0_14default_configENS1_35radix_sort_onesweep_config_selectorIjN6thrust23THRUST_200600_302600_NS5tupleIffNS6_9null_typeES8_S8_S8_S8_S8_S8_S8_EEEEZNS1_34radix_sort_onesweep_global_offsetsIS3_Lb0ENS6_6detail15normal_iteratorINS6_10device_ptrIjEEEENSD_INSE_IS9_EEEEjNS0_19identity_decomposerEEE10hipError_tT1_T2_PT3_SN_jT4_jjP12ihipStream_tbEUlT_E_NS1_11comp_targetILNS1_3genE2ELNS1_11target_archE906ELNS1_3gpuE6ELNS1_3repE0EEENS1_52radix_sort_onesweep_histogram_config_static_selectorELNS0_4arch9wavefront6targetE0EEEvSL_.num_vgpr, 0
	.set _ZN7rocprim17ROCPRIM_400000_NS6detail17trampoline_kernelINS0_14default_configENS1_35radix_sort_onesweep_config_selectorIjN6thrust23THRUST_200600_302600_NS5tupleIffNS6_9null_typeES8_S8_S8_S8_S8_S8_S8_EEEEZNS1_34radix_sort_onesweep_global_offsetsIS3_Lb0ENS6_6detail15normal_iteratorINS6_10device_ptrIjEEEENSD_INSE_IS9_EEEEjNS0_19identity_decomposerEEE10hipError_tT1_T2_PT3_SN_jT4_jjP12ihipStream_tbEUlT_E_NS1_11comp_targetILNS1_3genE2ELNS1_11target_archE906ELNS1_3gpuE6ELNS1_3repE0EEENS1_52radix_sort_onesweep_histogram_config_static_selectorELNS0_4arch9wavefront6targetE0EEEvSL_.num_agpr, 0
	.set _ZN7rocprim17ROCPRIM_400000_NS6detail17trampoline_kernelINS0_14default_configENS1_35radix_sort_onesweep_config_selectorIjN6thrust23THRUST_200600_302600_NS5tupleIffNS6_9null_typeES8_S8_S8_S8_S8_S8_S8_EEEEZNS1_34radix_sort_onesweep_global_offsetsIS3_Lb0ENS6_6detail15normal_iteratorINS6_10device_ptrIjEEEENSD_INSE_IS9_EEEEjNS0_19identity_decomposerEEE10hipError_tT1_T2_PT3_SN_jT4_jjP12ihipStream_tbEUlT_E_NS1_11comp_targetILNS1_3genE2ELNS1_11target_archE906ELNS1_3gpuE6ELNS1_3repE0EEENS1_52radix_sort_onesweep_histogram_config_static_selectorELNS0_4arch9wavefront6targetE0EEEvSL_.numbered_sgpr, 0
	.set _ZN7rocprim17ROCPRIM_400000_NS6detail17trampoline_kernelINS0_14default_configENS1_35radix_sort_onesweep_config_selectorIjN6thrust23THRUST_200600_302600_NS5tupleIffNS6_9null_typeES8_S8_S8_S8_S8_S8_S8_EEEEZNS1_34radix_sort_onesweep_global_offsetsIS3_Lb0ENS6_6detail15normal_iteratorINS6_10device_ptrIjEEEENSD_INSE_IS9_EEEEjNS0_19identity_decomposerEEE10hipError_tT1_T2_PT3_SN_jT4_jjP12ihipStream_tbEUlT_E_NS1_11comp_targetILNS1_3genE2ELNS1_11target_archE906ELNS1_3gpuE6ELNS1_3repE0EEENS1_52radix_sort_onesweep_histogram_config_static_selectorELNS0_4arch9wavefront6targetE0EEEvSL_.num_named_barrier, 0
	.set _ZN7rocprim17ROCPRIM_400000_NS6detail17trampoline_kernelINS0_14default_configENS1_35radix_sort_onesweep_config_selectorIjN6thrust23THRUST_200600_302600_NS5tupleIffNS6_9null_typeES8_S8_S8_S8_S8_S8_S8_EEEEZNS1_34radix_sort_onesweep_global_offsetsIS3_Lb0ENS6_6detail15normal_iteratorINS6_10device_ptrIjEEEENSD_INSE_IS9_EEEEjNS0_19identity_decomposerEEE10hipError_tT1_T2_PT3_SN_jT4_jjP12ihipStream_tbEUlT_E_NS1_11comp_targetILNS1_3genE2ELNS1_11target_archE906ELNS1_3gpuE6ELNS1_3repE0EEENS1_52radix_sort_onesweep_histogram_config_static_selectorELNS0_4arch9wavefront6targetE0EEEvSL_.private_seg_size, 0
	.set _ZN7rocprim17ROCPRIM_400000_NS6detail17trampoline_kernelINS0_14default_configENS1_35radix_sort_onesweep_config_selectorIjN6thrust23THRUST_200600_302600_NS5tupleIffNS6_9null_typeES8_S8_S8_S8_S8_S8_S8_EEEEZNS1_34radix_sort_onesweep_global_offsetsIS3_Lb0ENS6_6detail15normal_iteratorINS6_10device_ptrIjEEEENSD_INSE_IS9_EEEEjNS0_19identity_decomposerEEE10hipError_tT1_T2_PT3_SN_jT4_jjP12ihipStream_tbEUlT_E_NS1_11comp_targetILNS1_3genE2ELNS1_11target_archE906ELNS1_3gpuE6ELNS1_3repE0EEENS1_52radix_sort_onesweep_histogram_config_static_selectorELNS0_4arch9wavefront6targetE0EEEvSL_.uses_vcc, 0
	.set _ZN7rocprim17ROCPRIM_400000_NS6detail17trampoline_kernelINS0_14default_configENS1_35radix_sort_onesweep_config_selectorIjN6thrust23THRUST_200600_302600_NS5tupleIffNS6_9null_typeES8_S8_S8_S8_S8_S8_S8_EEEEZNS1_34radix_sort_onesweep_global_offsetsIS3_Lb0ENS6_6detail15normal_iteratorINS6_10device_ptrIjEEEENSD_INSE_IS9_EEEEjNS0_19identity_decomposerEEE10hipError_tT1_T2_PT3_SN_jT4_jjP12ihipStream_tbEUlT_E_NS1_11comp_targetILNS1_3genE2ELNS1_11target_archE906ELNS1_3gpuE6ELNS1_3repE0EEENS1_52radix_sort_onesweep_histogram_config_static_selectorELNS0_4arch9wavefront6targetE0EEEvSL_.uses_flat_scratch, 0
	.set _ZN7rocprim17ROCPRIM_400000_NS6detail17trampoline_kernelINS0_14default_configENS1_35radix_sort_onesweep_config_selectorIjN6thrust23THRUST_200600_302600_NS5tupleIffNS6_9null_typeES8_S8_S8_S8_S8_S8_S8_EEEEZNS1_34radix_sort_onesweep_global_offsetsIS3_Lb0ENS6_6detail15normal_iteratorINS6_10device_ptrIjEEEENSD_INSE_IS9_EEEEjNS0_19identity_decomposerEEE10hipError_tT1_T2_PT3_SN_jT4_jjP12ihipStream_tbEUlT_E_NS1_11comp_targetILNS1_3genE2ELNS1_11target_archE906ELNS1_3gpuE6ELNS1_3repE0EEENS1_52radix_sort_onesweep_histogram_config_static_selectorELNS0_4arch9wavefront6targetE0EEEvSL_.has_dyn_sized_stack, 0
	.set _ZN7rocprim17ROCPRIM_400000_NS6detail17trampoline_kernelINS0_14default_configENS1_35radix_sort_onesweep_config_selectorIjN6thrust23THRUST_200600_302600_NS5tupleIffNS6_9null_typeES8_S8_S8_S8_S8_S8_S8_EEEEZNS1_34radix_sort_onesweep_global_offsetsIS3_Lb0ENS6_6detail15normal_iteratorINS6_10device_ptrIjEEEENSD_INSE_IS9_EEEEjNS0_19identity_decomposerEEE10hipError_tT1_T2_PT3_SN_jT4_jjP12ihipStream_tbEUlT_E_NS1_11comp_targetILNS1_3genE2ELNS1_11target_archE906ELNS1_3gpuE6ELNS1_3repE0EEENS1_52radix_sort_onesweep_histogram_config_static_selectorELNS0_4arch9wavefront6targetE0EEEvSL_.has_recursion, 0
	.set _ZN7rocprim17ROCPRIM_400000_NS6detail17trampoline_kernelINS0_14default_configENS1_35radix_sort_onesweep_config_selectorIjN6thrust23THRUST_200600_302600_NS5tupleIffNS6_9null_typeES8_S8_S8_S8_S8_S8_S8_EEEEZNS1_34radix_sort_onesweep_global_offsetsIS3_Lb0ENS6_6detail15normal_iteratorINS6_10device_ptrIjEEEENSD_INSE_IS9_EEEEjNS0_19identity_decomposerEEE10hipError_tT1_T2_PT3_SN_jT4_jjP12ihipStream_tbEUlT_E_NS1_11comp_targetILNS1_3genE2ELNS1_11target_archE906ELNS1_3gpuE6ELNS1_3repE0EEENS1_52radix_sort_onesweep_histogram_config_static_selectorELNS0_4arch9wavefront6targetE0EEEvSL_.has_indirect_call, 0
	.section	.AMDGPU.csdata,"",@progbits
; Kernel info:
; codeLenInByte = 0
; TotalNumSgprs: 0
; NumVgprs: 0
; ScratchSize: 0
; MemoryBound: 0
; FloatMode: 240
; IeeeMode: 1
; LDSByteSize: 0 bytes/workgroup (compile time only)
; SGPRBlocks: 0
; VGPRBlocks: 0
; NumSGPRsForWavesPerEU: 1
; NumVGPRsForWavesPerEU: 1
; NamedBarCnt: 0
; Occupancy: 16
; WaveLimiterHint : 0
; COMPUTE_PGM_RSRC2:SCRATCH_EN: 0
; COMPUTE_PGM_RSRC2:USER_SGPR: 2
; COMPUTE_PGM_RSRC2:TRAP_HANDLER: 0
; COMPUTE_PGM_RSRC2:TGID_X_EN: 1
; COMPUTE_PGM_RSRC2:TGID_Y_EN: 0
; COMPUTE_PGM_RSRC2:TGID_Z_EN: 0
; COMPUTE_PGM_RSRC2:TIDIG_COMP_CNT: 0
	.section	.text._ZN7rocprim17ROCPRIM_400000_NS6detail17trampoline_kernelINS0_14default_configENS1_35radix_sort_onesweep_config_selectorIjN6thrust23THRUST_200600_302600_NS5tupleIffNS6_9null_typeES8_S8_S8_S8_S8_S8_S8_EEEEZNS1_34radix_sort_onesweep_global_offsetsIS3_Lb0ENS6_6detail15normal_iteratorINS6_10device_ptrIjEEEENSD_INSE_IS9_EEEEjNS0_19identity_decomposerEEE10hipError_tT1_T2_PT3_SN_jT4_jjP12ihipStream_tbEUlT_E_NS1_11comp_targetILNS1_3genE4ELNS1_11target_archE910ELNS1_3gpuE8ELNS1_3repE0EEENS1_52radix_sort_onesweep_histogram_config_static_selectorELNS0_4arch9wavefront6targetE0EEEvSL_,"axG",@progbits,_ZN7rocprim17ROCPRIM_400000_NS6detail17trampoline_kernelINS0_14default_configENS1_35radix_sort_onesweep_config_selectorIjN6thrust23THRUST_200600_302600_NS5tupleIffNS6_9null_typeES8_S8_S8_S8_S8_S8_S8_EEEEZNS1_34radix_sort_onesweep_global_offsetsIS3_Lb0ENS6_6detail15normal_iteratorINS6_10device_ptrIjEEEENSD_INSE_IS9_EEEEjNS0_19identity_decomposerEEE10hipError_tT1_T2_PT3_SN_jT4_jjP12ihipStream_tbEUlT_E_NS1_11comp_targetILNS1_3genE4ELNS1_11target_archE910ELNS1_3gpuE8ELNS1_3repE0EEENS1_52radix_sort_onesweep_histogram_config_static_selectorELNS0_4arch9wavefront6targetE0EEEvSL_,comdat
	.protected	_ZN7rocprim17ROCPRIM_400000_NS6detail17trampoline_kernelINS0_14default_configENS1_35radix_sort_onesweep_config_selectorIjN6thrust23THRUST_200600_302600_NS5tupleIffNS6_9null_typeES8_S8_S8_S8_S8_S8_S8_EEEEZNS1_34radix_sort_onesweep_global_offsetsIS3_Lb0ENS6_6detail15normal_iteratorINS6_10device_ptrIjEEEENSD_INSE_IS9_EEEEjNS0_19identity_decomposerEEE10hipError_tT1_T2_PT3_SN_jT4_jjP12ihipStream_tbEUlT_E_NS1_11comp_targetILNS1_3genE4ELNS1_11target_archE910ELNS1_3gpuE8ELNS1_3repE0EEENS1_52radix_sort_onesweep_histogram_config_static_selectorELNS0_4arch9wavefront6targetE0EEEvSL_ ; -- Begin function _ZN7rocprim17ROCPRIM_400000_NS6detail17trampoline_kernelINS0_14default_configENS1_35radix_sort_onesweep_config_selectorIjN6thrust23THRUST_200600_302600_NS5tupleIffNS6_9null_typeES8_S8_S8_S8_S8_S8_S8_EEEEZNS1_34radix_sort_onesweep_global_offsetsIS3_Lb0ENS6_6detail15normal_iteratorINS6_10device_ptrIjEEEENSD_INSE_IS9_EEEEjNS0_19identity_decomposerEEE10hipError_tT1_T2_PT3_SN_jT4_jjP12ihipStream_tbEUlT_E_NS1_11comp_targetILNS1_3genE4ELNS1_11target_archE910ELNS1_3gpuE8ELNS1_3repE0EEENS1_52radix_sort_onesweep_histogram_config_static_selectorELNS0_4arch9wavefront6targetE0EEEvSL_
	.globl	_ZN7rocprim17ROCPRIM_400000_NS6detail17trampoline_kernelINS0_14default_configENS1_35radix_sort_onesweep_config_selectorIjN6thrust23THRUST_200600_302600_NS5tupleIffNS6_9null_typeES8_S8_S8_S8_S8_S8_S8_EEEEZNS1_34radix_sort_onesweep_global_offsetsIS3_Lb0ENS6_6detail15normal_iteratorINS6_10device_ptrIjEEEENSD_INSE_IS9_EEEEjNS0_19identity_decomposerEEE10hipError_tT1_T2_PT3_SN_jT4_jjP12ihipStream_tbEUlT_E_NS1_11comp_targetILNS1_3genE4ELNS1_11target_archE910ELNS1_3gpuE8ELNS1_3repE0EEENS1_52radix_sort_onesweep_histogram_config_static_selectorELNS0_4arch9wavefront6targetE0EEEvSL_
	.p2align	8
	.type	_ZN7rocprim17ROCPRIM_400000_NS6detail17trampoline_kernelINS0_14default_configENS1_35radix_sort_onesweep_config_selectorIjN6thrust23THRUST_200600_302600_NS5tupleIffNS6_9null_typeES8_S8_S8_S8_S8_S8_S8_EEEEZNS1_34radix_sort_onesweep_global_offsetsIS3_Lb0ENS6_6detail15normal_iteratorINS6_10device_ptrIjEEEENSD_INSE_IS9_EEEEjNS0_19identity_decomposerEEE10hipError_tT1_T2_PT3_SN_jT4_jjP12ihipStream_tbEUlT_E_NS1_11comp_targetILNS1_3genE4ELNS1_11target_archE910ELNS1_3gpuE8ELNS1_3repE0EEENS1_52radix_sort_onesweep_histogram_config_static_selectorELNS0_4arch9wavefront6targetE0EEEvSL_,@function
_ZN7rocprim17ROCPRIM_400000_NS6detail17trampoline_kernelINS0_14default_configENS1_35radix_sort_onesweep_config_selectorIjN6thrust23THRUST_200600_302600_NS5tupleIffNS6_9null_typeES8_S8_S8_S8_S8_S8_S8_EEEEZNS1_34radix_sort_onesweep_global_offsetsIS3_Lb0ENS6_6detail15normal_iteratorINS6_10device_ptrIjEEEENSD_INSE_IS9_EEEEjNS0_19identity_decomposerEEE10hipError_tT1_T2_PT3_SN_jT4_jjP12ihipStream_tbEUlT_E_NS1_11comp_targetILNS1_3genE4ELNS1_11target_archE910ELNS1_3gpuE8ELNS1_3repE0EEENS1_52radix_sort_onesweep_histogram_config_static_selectorELNS0_4arch9wavefront6targetE0EEEvSL_: ; @_ZN7rocprim17ROCPRIM_400000_NS6detail17trampoline_kernelINS0_14default_configENS1_35radix_sort_onesweep_config_selectorIjN6thrust23THRUST_200600_302600_NS5tupleIffNS6_9null_typeES8_S8_S8_S8_S8_S8_S8_EEEEZNS1_34radix_sort_onesweep_global_offsetsIS3_Lb0ENS6_6detail15normal_iteratorINS6_10device_ptrIjEEEENSD_INSE_IS9_EEEEjNS0_19identity_decomposerEEE10hipError_tT1_T2_PT3_SN_jT4_jjP12ihipStream_tbEUlT_E_NS1_11comp_targetILNS1_3genE4ELNS1_11target_archE910ELNS1_3gpuE8ELNS1_3repE0EEENS1_52radix_sort_onesweep_histogram_config_static_selectorELNS0_4arch9wavefront6targetE0EEEvSL_
; %bb.0:
	.section	.rodata,"a",@progbits
	.p2align	6, 0x0
	.amdhsa_kernel _ZN7rocprim17ROCPRIM_400000_NS6detail17trampoline_kernelINS0_14default_configENS1_35radix_sort_onesweep_config_selectorIjN6thrust23THRUST_200600_302600_NS5tupleIffNS6_9null_typeES8_S8_S8_S8_S8_S8_S8_EEEEZNS1_34radix_sort_onesweep_global_offsetsIS3_Lb0ENS6_6detail15normal_iteratorINS6_10device_ptrIjEEEENSD_INSE_IS9_EEEEjNS0_19identity_decomposerEEE10hipError_tT1_T2_PT3_SN_jT4_jjP12ihipStream_tbEUlT_E_NS1_11comp_targetILNS1_3genE4ELNS1_11target_archE910ELNS1_3gpuE8ELNS1_3repE0EEENS1_52radix_sort_onesweep_histogram_config_static_selectorELNS0_4arch9wavefront6targetE0EEEvSL_
		.amdhsa_group_segment_fixed_size 0
		.amdhsa_private_segment_fixed_size 0
		.amdhsa_kernarg_size 40
		.amdhsa_user_sgpr_count 2
		.amdhsa_user_sgpr_dispatch_ptr 0
		.amdhsa_user_sgpr_queue_ptr 0
		.amdhsa_user_sgpr_kernarg_segment_ptr 1
		.amdhsa_user_sgpr_dispatch_id 0
		.amdhsa_user_sgpr_kernarg_preload_length 0
		.amdhsa_user_sgpr_kernarg_preload_offset 0
		.amdhsa_user_sgpr_private_segment_size 0
		.amdhsa_wavefront_size32 1
		.amdhsa_uses_dynamic_stack 0
		.amdhsa_enable_private_segment 0
		.amdhsa_system_sgpr_workgroup_id_x 1
		.amdhsa_system_sgpr_workgroup_id_y 0
		.amdhsa_system_sgpr_workgroup_id_z 0
		.amdhsa_system_sgpr_workgroup_info 0
		.amdhsa_system_vgpr_workitem_id 0
		.amdhsa_next_free_vgpr 1
		.amdhsa_next_free_sgpr 1
		.amdhsa_named_barrier_count 0
		.amdhsa_reserve_vcc 0
		.amdhsa_float_round_mode_32 0
		.amdhsa_float_round_mode_16_64 0
		.amdhsa_float_denorm_mode_32 3
		.amdhsa_float_denorm_mode_16_64 3
		.amdhsa_fp16_overflow 0
		.amdhsa_memory_ordered 1
		.amdhsa_forward_progress 1
		.amdhsa_inst_pref_size 0
		.amdhsa_round_robin_scheduling 0
		.amdhsa_exception_fp_ieee_invalid_op 0
		.amdhsa_exception_fp_denorm_src 0
		.amdhsa_exception_fp_ieee_div_zero 0
		.amdhsa_exception_fp_ieee_overflow 0
		.amdhsa_exception_fp_ieee_underflow 0
		.amdhsa_exception_fp_ieee_inexact 0
		.amdhsa_exception_int_div_zero 0
	.end_amdhsa_kernel
	.section	.text._ZN7rocprim17ROCPRIM_400000_NS6detail17trampoline_kernelINS0_14default_configENS1_35radix_sort_onesweep_config_selectorIjN6thrust23THRUST_200600_302600_NS5tupleIffNS6_9null_typeES8_S8_S8_S8_S8_S8_S8_EEEEZNS1_34radix_sort_onesweep_global_offsetsIS3_Lb0ENS6_6detail15normal_iteratorINS6_10device_ptrIjEEEENSD_INSE_IS9_EEEEjNS0_19identity_decomposerEEE10hipError_tT1_T2_PT3_SN_jT4_jjP12ihipStream_tbEUlT_E_NS1_11comp_targetILNS1_3genE4ELNS1_11target_archE910ELNS1_3gpuE8ELNS1_3repE0EEENS1_52radix_sort_onesweep_histogram_config_static_selectorELNS0_4arch9wavefront6targetE0EEEvSL_,"axG",@progbits,_ZN7rocprim17ROCPRIM_400000_NS6detail17trampoline_kernelINS0_14default_configENS1_35radix_sort_onesweep_config_selectorIjN6thrust23THRUST_200600_302600_NS5tupleIffNS6_9null_typeES8_S8_S8_S8_S8_S8_S8_EEEEZNS1_34radix_sort_onesweep_global_offsetsIS3_Lb0ENS6_6detail15normal_iteratorINS6_10device_ptrIjEEEENSD_INSE_IS9_EEEEjNS0_19identity_decomposerEEE10hipError_tT1_T2_PT3_SN_jT4_jjP12ihipStream_tbEUlT_E_NS1_11comp_targetILNS1_3genE4ELNS1_11target_archE910ELNS1_3gpuE8ELNS1_3repE0EEENS1_52radix_sort_onesweep_histogram_config_static_selectorELNS0_4arch9wavefront6targetE0EEEvSL_,comdat
.Lfunc_end143:
	.size	_ZN7rocprim17ROCPRIM_400000_NS6detail17trampoline_kernelINS0_14default_configENS1_35radix_sort_onesweep_config_selectorIjN6thrust23THRUST_200600_302600_NS5tupleIffNS6_9null_typeES8_S8_S8_S8_S8_S8_S8_EEEEZNS1_34radix_sort_onesweep_global_offsetsIS3_Lb0ENS6_6detail15normal_iteratorINS6_10device_ptrIjEEEENSD_INSE_IS9_EEEEjNS0_19identity_decomposerEEE10hipError_tT1_T2_PT3_SN_jT4_jjP12ihipStream_tbEUlT_E_NS1_11comp_targetILNS1_3genE4ELNS1_11target_archE910ELNS1_3gpuE8ELNS1_3repE0EEENS1_52radix_sort_onesweep_histogram_config_static_selectorELNS0_4arch9wavefront6targetE0EEEvSL_, .Lfunc_end143-_ZN7rocprim17ROCPRIM_400000_NS6detail17trampoline_kernelINS0_14default_configENS1_35radix_sort_onesweep_config_selectorIjN6thrust23THRUST_200600_302600_NS5tupleIffNS6_9null_typeES8_S8_S8_S8_S8_S8_S8_EEEEZNS1_34radix_sort_onesweep_global_offsetsIS3_Lb0ENS6_6detail15normal_iteratorINS6_10device_ptrIjEEEENSD_INSE_IS9_EEEEjNS0_19identity_decomposerEEE10hipError_tT1_T2_PT3_SN_jT4_jjP12ihipStream_tbEUlT_E_NS1_11comp_targetILNS1_3genE4ELNS1_11target_archE910ELNS1_3gpuE8ELNS1_3repE0EEENS1_52radix_sort_onesweep_histogram_config_static_selectorELNS0_4arch9wavefront6targetE0EEEvSL_
                                        ; -- End function
	.set _ZN7rocprim17ROCPRIM_400000_NS6detail17trampoline_kernelINS0_14default_configENS1_35radix_sort_onesweep_config_selectorIjN6thrust23THRUST_200600_302600_NS5tupleIffNS6_9null_typeES8_S8_S8_S8_S8_S8_S8_EEEEZNS1_34radix_sort_onesweep_global_offsetsIS3_Lb0ENS6_6detail15normal_iteratorINS6_10device_ptrIjEEEENSD_INSE_IS9_EEEEjNS0_19identity_decomposerEEE10hipError_tT1_T2_PT3_SN_jT4_jjP12ihipStream_tbEUlT_E_NS1_11comp_targetILNS1_3genE4ELNS1_11target_archE910ELNS1_3gpuE8ELNS1_3repE0EEENS1_52radix_sort_onesweep_histogram_config_static_selectorELNS0_4arch9wavefront6targetE0EEEvSL_.num_vgpr, 0
	.set _ZN7rocprim17ROCPRIM_400000_NS6detail17trampoline_kernelINS0_14default_configENS1_35radix_sort_onesweep_config_selectorIjN6thrust23THRUST_200600_302600_NS5tupleIffNS6_9null_typeES8_S8_S8_S8_S8_S8_S8_EEEEZNS1_34radix_sort_onesweep_global_offsetsIS3_Lb0ENS6_6detail15normal_iteratorINS6_10device_ptrIjEEEENSD_INSE_IS9_EEEEjNS0_19identity_decomposerEEE10hipError_tT1_T2_PT3_SN_jT4_jjP12ihipStream_tbEUlT_E_NS1_11comp_targetILNS1_3genE4ELNS1_11target_archE910ELNS1_3gpuE8ELNS1_3repE0EEENS1_52radix_sort_onesweep_histogram_config_static_selectorELNS0_4arch9wavefront6targetE0EEEvSL_.num_agpr, 0
	.set _ZN7rocprim17ROCPRIM_400000_NS6detail17trampoline_kernelINS0_14default_configENS1_35radix_sort_onesweep_config_selectorIjN6thrust23THRUST_200600_302600_NS5tupleIffNS6_9null_typeES8_S8_S8_S8_S8_S8_S8_EEEEZNS1_34radix_sort_onesweep_global_offsetsIS3_Lb0ENS6_6detail15normal_iteratorINS6_10device_ptrIjEEEENSD_INSE_IS9_EEEEjNS0_19identity_decomposerEEE10hipError_tT1_T2_PT3_SN_jT4_jjP12ihipStream_tbEUlT_E_NS1_11comp_targetILNS1_3genE4ELNS1_11target_archE910ELNS1_3gpuE8ELNS1_3repE0EEENS1_52radix_sort_onesweep_histogram_config_static_selectorELNS0_4arch9wavefront6targetE0EEEvSL_.numbered_sgpr, 0
	.set _ZN7rocprim17ROCPRIM_400000_NS6detail17trampoline_kernelINS0_14default_configENS1_35radix_sort_onesweep_config_selectorIjN6thrust23THRUST_200600_302600_NS5tupleIffNS6_9null_typeES8_S8_S8_S8_S8_S8_S8_EEEEZNS1_34radix_sort_onesweep_global_offsetsIS3_Lb0ENS6_6detail15normal_iteratorINS6_10device_ptrIjEEEENSD_INSE_IS9_EEEEjNS0_19identity_decomposerEEE10hipError_tT1_T2_PT3_SN_jT4_jjP12ihipStream_tbEUlT_E_NS1_11comp_targetILNS1_3genE4ELNS1_11target_archE910ELNS1_3gpuE8ELNS1_3repE0EEENS1_52radix_sort_onesweep_histogram_config_static_selectorELNS0_4arch9wavefront6targetE0EEEvSL_.num_named_barrier, 0
	.set _ZN7rocprim17ROCPRIM_400000_NS6detail17trampoline_kernelINS0_14default_configENS1_35radix_sort_onesweep_config_selectorIjN6thrust23THRUST_200600_302600_NS5tupleIffNS6_9null_typeES8_S8_S8_S8_S8_S8_S8_EEEEZNS1_34radix_sort_onesweep_global_offsetsIS3_Lb0ENS6_6detail15normal_iteratorINS6_10device_ptrIjEEEENSD_INSE_IS9_EEEEjNS0_19identity_decomposerEEE10hipError_tT1_T2_PT3_SN_jT4_jjP12ihipStream_tbEUlT_E_NS1_11comp_targetILNS1_3genE4ELNS1_11target_archE910ELNS1_3gpuE8ELNS1_3repE0EEENS1_52radix_sort_onesweep_histogram_config_static_selectorELNS0_4arch9wavefront6targetE0EEEvSL_.private_seg_size, 0
	.set _ZN7rocprim17ROCPRIM_400000_NS6detail17trampoline_kernelINS0_14default_configENS1_35radix_sort_onesweep_config_selectorIjN6thrust23THRUST_200600_302600_NS5tupleIffNS6_9null_typeES8_S8_S8_S8_S8_S8_S8_EEEEZNS1_34radix_sort_onesweep_global_offsetsIS3_Lb0ENS6_6detail15normal_iteratorINS6_10device_ptrIjEEEENSD_INSE_IS9_EEEEjNS0_19identity_decomposerEEE10hipError_tT1_T2_PT3_SN_jT4_jjP12ihipStream_tbEUlT_E_NS1_11comp_targetILNS1_3genE4ELNS1_11target_archE910ELNS1_3gpuE8ELNS1_3repE0EEENS1_52radix_sort_onesweep_histogram_config_static_selectorELNS0_4arch9wavefront6targetE0EEEvSL_.uses_vcc, 0
	.set _ZN7rocprim17ROCPRIM_400000_NS6detail17trampoline_kernelINS0_14default_configENS1_35radix_sort_onesweep_config_selectorIjN6thrust23THRUST_200600_302600_NS5tupleIffNS6_9null_typeES8_S8_S8_S8_S8_S8_S8_EEEEZNS1_34radix_sort_onesweep_global_offsetsIS3_Lb0ENS6_6detail15normal_iteratorINS6_10device_ptrIjEEEENSD_INSE_IS9_EEEEjNS0_19identity_decomposerEEE10hipError_tT1_T2_PT3_SN_jT4_jjP12ihipStream_tbEUlT_E_NS1_11comp_targetILNS1_3genE4ELNS1_11target_archE910ELNS1_3gpuE8ELNS1_3repE0EEENS1_52radix_sort_onesweep_histogram_config_static_selectorELNS0_4arch9wavefront6targetE0EEEvSL_.uses_flat_scratch, 0
	.set _ZN7rocprim17ROCPRIM_400000_NS6detail17trampoline_kernelINS0_14default_configENS1_35radix_sort_onesweep_config_selectorIjN6thrust23THRUST_200600_302600_NS5tupleIffNS6_9null_typeES8_S8_S8_S8_S8_S8_S8_EEEEZNS1_34radix_sort_onesweep_global_offsetsIS3_Lb0ENS6_6detail15normal_iteratorINS6_10device_ptrIjEEEENSD_INSE_IS9_EEEEjNS0_19identity_decomposerEEE10hipError_tT1_T2_PT3_SN_jT4_jjP12ihipStream_tbEUlT_E_NS1_11comp_targetILNS1_3genE4ELNS1_11target_archE910ELNS1_3gpuE8ELNS1_3repE0EEENS1_52radix_sort_onesweep_histogram_config_static_selectorELNS0_4arch9wavefront6targetE0EEEvSL_.has_dyn_sized_stack, 0
	.set _ZN7rocprim17ROCPRIM_400000_NS6detail17trampoline_kernelINS0_14default_configENS1_35radix_sort_onesweep_config_selectorIjN6thrust23THRUST_200600_302600_NS5tupleIffNS6_9null_typeES8_S8_S8_S8_S8_S8_S8_EEEEZNS1_34radix_sort_onesweep_global_offsetsIS3_Lb0ENS6_6detail15normal_iteratorINS6_10device_ptrIjEEEENSD_INSE_IS9_EEEEjNS0_19identity_decomposerEEE10hipError_tT1_T2_PT3_SN_jT4_jjP12ihipStream_tbEUlT_E_NS1_11comp_targetILNS1_3genE4ELNS1_11target_archE910ELNS1_3gpuE8ELNS1_3repE0EEENS1_52radix_sort_onesweep_histogram_config_static_selectorELNS0_4arch9wavefront6targetE0EEEvSL_.has_recursion, 0
	.set _ZN7rocprim17ROCPRIM_400000_NS6detail17trampoline_kernelINS0_14default_configENS1_35radix_sort_onesweep_config_selectorIjN6thrust23THRUST_200600_302600_NS5tupleIffNS6_9null_typeES8_S8_S8_S8_S8_S8_S8_EEEEZNS1_34radix_sort_onesweep_global_offsetsIS3_Lb0ENS6_6detail15normal_iteratorINS6_10device_ptrIjEEEENSD_INSE_IS9_EEEEjNS0_19identity_decomposerEEE10hipError_tT1_T2_PT3_SN_jT4_jjP12ihipStream_tbEUlT_E_NS1_11comp_targetILNS1_3genE4ELNS1_11target_archE910ELNS1_3gpuE8ELNS1_3repE0EEENS1_52radix_sort_onesweep_histogram_config_static_selectorELNS0_4arch9wavefront6targetE0EEEvSL_.has_indirect_call, 0
	.section	.AMDGPU.csdata,"",@progbits
; Kernel info:
; codeLenInByte = 0
; TotalNumSgprs: 0
; NumVgprs: 0
; ScratchSize: 0
; MemoryBound: 0
; FloatMode: 240
; IeeeMode: 1
; LDSByteSize: 0 bytes/workgroup (compile time only)
; SGPRBlocks: 0
; VGPRBlocks: 0
; NumSGPRsForWavesPerEU: 1
; NumVGPRsForWavesPerEU: 1
; NamedBarCnt: 0
; Occupancy: 16
; WaveLimiterHint : 0
; COMPUTE_PGM_RSRC2:SCRATCH_EN: 0
; COMPUTE_PGM_RSRC2:USER_SGPR: 2
; COMPUTE_PGM_RSRC2:TRAP_HANDLER: 0
; COMPUTE_PGM_RSRC2:TGID_X_EN: 1
; COMPUTE_PGM_RSRC2:TGID_Y_EN: 0
; COMPUTE_PGM_RSRC2:TGID_Z_EN: 0
; COMPUTE_PGM_RSRC2:TIDIG_COMP_CNT: 0
	.section	.text._ZN7rocprim17ROCPRIM_400000_NS6detail17trampoline_kernelINS0_14default_configENS1_35radix_sort_onesweep_config_selectorIjN6thrust23THRUST_200600_302600_NS5tupleIffNS6_9null_typeES8_S8_S8_S8_S8_S8_S8_EEEEZNS1_34radix_sort_onesweep_global_offsetsIS3_Lb0ENS6_6detail15normal_iteratorINS6_10device_ptrIjEEEENSD_INSE_IS9_EEEEjNS0_19identity_decomposerEEE10hipError_tT1_T2_PT3_SN_jT4_jjP12ihipStream_tbEUlT_E_NS1_11comp_targetILNS1_3genE3ELNS1_11target_archE908ELNS1_3gpuE7ELNS1_3repE0EEENS1_52radix_sort_onesweep_histogram_config_static_selectorELNS0_4arch9wavefront6targetE0EEEvSL_,"axG",@progbits,_ZN7rocprim17ROCPRIM_400000_NS6detail17trampoline_kernelINS0_14default_configENS1_35radix_sort_onesweep_config_selectorIjN6thrust23THRUST_200600_302600_NS5tupleIffNS6_9null_typeES8_S8_S8_S8_S8_S8_S8_EEEEZNS1_34radix_sort_onesweep_global_offsetsIS3_Lb0ENS6_6detail15normal_iteratorINS6_10device_ptrIjEEEENSD_INSE_IS9_EEEEjNS0_19identity_decomposerEEE10hipError_tT1_T2_PT3_SN_jT4_jjP12ihipStream_tbEUlT_E_NS1_11comp_targetILNS1_3genE3ELNS1_11target_archE908ELNS1_3gpuE7ELNS1_3repE0EEENS1_52radix_sort_onesweep_histogram_config_static_selectorELNS0_4arch9wavefront6targetE0EEEvSL_,comdat
	.protected	_ZN7rocprim17ROCPRIM_400000_NS6detail17trampoline_kernelINS0_14default_configENS1_35radix_sort_onesweep_config_selectorIjN6thrust23THRUST_200600_302600_NS5tupleIffNS6_9null_typeES8_S8_S8_S8_S8_S8_S8_EEEEZNS1_34radix_sort_onesweep_global_offsetsIS3_Lb0ENS6_6detail15normal_iteratorINS6_10device_ptrIjEEEENSD_INSE_IS9_EEEEjNS0_19identity_decomposerEEE10hipError_tT1_T2_PT3_SN_jT4_jjP12ihipStream_tbEUlT_E_NS1_11comp_targetILNS1_3genE3ELNS1_11target_archE908ELNS1_3gpuE7ELNS1_3repE0EEENS1_52radix_sort_onesweep_histogram_config_static_selectorELNS0_4arch9wavefront6targetE0EEEvSL_ ; -- Begin function _ZN7rocprim17ROCPRIM_400000_NS6detail17trampoline_kernelINS0_14default_configENS1_35radix_sort_onesweep_config_selectorIjN6thrust23THRUST_200600_302600_NS5tupleIffNS6_9null_typeES8_S8_S8_S8_S8_S8_S8_EEEEZNS1_34radix_sort_onesweep_global_offsetsIS3_Lb0ENS6_6detail15normal_iteratorINS6_10device_ptrIjEEEENSD_INSE_IS9_EEEEjNS0_19identity_decomposerEEE10hipError_tT1_T2_PT3_SN_jT4_jjP12ihipStream_tbEUlT_E_NS1_11comp_targetILNS1_3genE3ELNS1_11target_archE908ELNS1_3gpuE7ELNS1_3repE0EEENS1_52radix_sort_onesweep_histogram_config_static_selectorELNS0_4arch9wavefront6targetE0EEEvSL_
	.globl	_ZN7rocprim17ROCPRIM_400000_NS6detail17trampoline_kernelINS0_14default_configENS1_35radix_sort_onesweep_config_selectorIjN6thrust23THRUST_200600_302600_NS5tupleIffNS6_9null_typeES8_S8_S8_S8_S8_S8_S8_EEEEZNS1_34radix_sort_onesweep_global_offsetsIS3_Lb0ENS6_6detail15normal_iteratorINS6_10device_ptrIjEEEENSD_INSE_IS9_EEEEjNS0_19identity_decomposerEEE10hipError_tT1_T2_PT3_SN_jT4_jjP12ihipStream_tbEUlT_E_NS1_11comp_targetILNS1_3genE3ELNS1_11target_archE908ELNS1_3gpuE7ELNS1_3repE0EEENS1_52radix_sort_onesweep_histogram_config_static_selectorELNS0_4arch9wavefront6targetE0EEEvSL_
	.p2align	8
	.type	_ZN7rocprim17ROCPRIM_400000_NS6detail17trampoline_kernelINS0_14default_configENS1_35radix_sort_onesweep_config_selectorIjN6thrust23THRUST_200600_302600_NS5tupleIffNS6_9null_typeES8_S8_S8_S8_S8_S8_S8_EEEEZNS1_34radix_sort_onesweep_global_offsetsIS3_Lb0ENS6_6detail15normal_iteratorINS6_10device_ptrIjEEEENSD_INSE_IS9_EEEEjNS0_19identity_decomposerEEE10hipError_tT1_T2_PT3_SN_jT4_jjP12ihipStream_tbEUlT_E_NS1_11comp_targetILNS1_3genE3ELNS1_11target_archE908ELNS1_3gpuE7ELNS1_3repE0EEENS1_52radix_sort_onesweep_histogram_config_static_selectorELNS0_4arch9wavefront6targetE0EEEvSL_,@function
_ZN7rocprim17ROCPRIM_400000_NS6detail17trampoline_kernelINS0_14default_configENS1_35radix_sort_onesweep_config_selectorIjN6thrust23THRUST_200600_302600_NS5tupleIffNS6_9null_typeES8_S8_S8_S8_S8_S8_S8_EEEEZNS1_34radix_sort_onesweep_global_offsetsIS3_Lb0ENS6_6detail15normal_iteratorINS6_10device_ptrIjEEEENSD_INSE_IS9_EEEEjNS0_19identity_decomposerEEE10hipError_tT1_T2_PT3_SN_jT4_jjP12ihipStream_tbEUlT_E_NS1_11comp_targetILNS1_3genE3ELNS1_11target_archE908ELNS1_3gpuE7ELNS1_3repE0EEENS1_52radix_sort_onesweep_histogram_config_static_selectorELNS0_4arch9wavefront6targetE0EEEvSL_: ; @_ZN7rocprim17ROCPRIM_400000_NS6detail17trampoline_kernelINS0_14default_configENS1_35radix_sort_onesweep_config_selectorIjN6thrust23THRUST_200600_302600_NS5tupleIffNS6_9null_typeES8_S8_S8_S8_S8_S8_S8_EEEEZNS1_34radix_sort_onesweep_global_offsetsIS3_Lb0ENS6_6detail15normal_iteratorINS6_10device_ptrIjEEEENSD_INSE_IS9_EEEEjNS0_19identity_decomposerEEE10hipError_tT1_T2_PT3_SN_jT4_jjP12ihipStream_tbEUlT_E_NS1_11comp_targetILNS1_3genE3ELNS1_11target_archE908ELNS1_3gpuE7ELNS1_3repE0EEENS1_52radix_sort_onesweep_histogram_config_static_selectorELNS0_4arch9wavefront6targetE0EEEvSL_
; %bb.0:
	.section	.rodata,"a",@progbits
	.p2align	6, 0x0
	.amdhsa_kernel _ZN7rocprim17ROCPRIM_400000_NS6detail17trampoline_kernelINS0_14default_configENS1_35radix_sort_onesweep_config_selectorIjN6thrust23THRUST_200600_302600_NS5tupleIffNS6_9null_typeES8_S8_S8_S8_S8_S8_S8_EEEEZNS1_34radix_sort_onesweep_global_offsetsIS3_Lb0ENS6_6detail15normal_iteratorINS6_10device_ptrIjEEEENSD_INSE_IS9_EEEEjNS0_19identity_decomposerEEE10hipError_tT1_T2_PT3_SN_jT4_jjP12ihipStream_tbEUlT_E_NS1_11comp_targetILNS1_3genE3ELNS1_11target_archE908ELNS1_3gpuE7ELNS1_3repE0EEENS1_52radix_sort_onesweep_histogram_config_static_selectorELNS0_4arch9wavefront6targetE0EEEvSL_
		.amdhsa_group_segment_fixed_size 0
		.amdhsa_private_segment_fixed_size 0
		.amdhsa_kernarg_size 40
		.amdhsa_user_sgpr_count 2
		.amdhsa_user_sgpr_dispatch_ptr 0
		.amdhsa_user_sgpr_queue_ptr 0
		.amdhsa_user_sgpr_kernarg_segment_ptr 1
		.amdhsa_user_sgpr_dispatch_id 0
		.amdhsa_user_sgpr_kernarg_preload_length 0
		.amdhsa_user_sgpr_kernarg_preload_offset 0
		.amdhsa_user_sgpr_private_segment_size 0
		.amdhsa_wavefront_size32 1
		.amdhsa_uses_dynamic_stack 0
		.amdhsa_enable_private_segment 0
		.amdhsa_system_sgpr_workgroup_id_x 1
		.amdhsa_system_sgpr_workgroup_id_y 0
		.amdhsa_system_sgpr_workgroup_id_z 0
		.amdhsa_system_sgpr_workgroup_info 0
		.amdhsa_system_vgpr_workitem_id 0
		.amdhsa_next_free_vgpr 1
		.amdhsa_next_free_sgpr 1
		.amdhsa_named_barrier_count 0
		.amdhsa_reserve_vcc 0
		.amdhsa_float_round_mode_32 0
		.amdhsa_float_round_mode_16_64 0
		.amdhsa_float_denorm_mode_32 3
		.amdhsa_float_denorm_mode_16_64 3
		.amdhsa_fp16_overflow 0
		.amdhsa_memory_ordered 1
		.amdhsa_forward_progress 1
		.amdhsa_inst_pref_size 0
		.amdhsa_round_robin_scheduling 0
		.amdhsa_exception_fp_ieee_invalid_op 0
		.amdhsa_exception_fp_denorm_src 0
		.amdhsa_exception_fp_ieee_div_zero 0
		.amdhsa_exception_fp_ieee_overflow 0
		.amdhsa_exception_fp_ieee_underflow 0
		.amdhsa_exception_fp_ieee_inexact 0
		.amdhsa_exception_int_div_zero 0
	.end_amdhsa_kernel
	.section	.text._ZN7rocprim17ROCPRIM_400000_NS6detail17trampoline_kernelINS0_14default_configENS1_35radix_sort_onesweep_config_selectorIjN6thrust23THRUST_200600_302600_NS5tupleIffNS6_9null_typeES8_S8_S8_S8_S8_S8_S8_EEEEZNS1_34radix_sort_onesweep_global_offsetsIS3_Lb0ENS6_6detail15normal_iteratorINS6_10device_ptrIjEEEENSD_INSE_IS9_EEEEjNS0_19identity_decomposerEEE10hipError_tT1_T2_PT3_SN_jT4_jjP12ihipStream_tbEUlT_E_NS1_11comp_targetILNS1_3genE3ELNS1_11target_archE908ELNS1_3gpuE7ELNS1_3repE0EEENS1_52radix_sort_onesweep_histogram_config_static_selectorELNS0_4arch9wavefront6targetE0EEEvSL_,"axG",@progbits,_ZN7rocprim17ROCPRIM_400000_NS6detail17trampoline_kernelINS0_14default_configENS1_35radix_sort_onesweep_config_selectorIjN6thrust23THRUST_200600_302600_NS5tupleIffNS6_9null_typeES8_S8_S8_S8_S8_S8_S8_EEEEZNS1_34radix_sort_onesweep_global_offsetsIS3_Lb0ENS6_6detail15normal_iteratorINS6_10device_ptrIjEEEENSD_INSE_IS9_EEEEjNS0_19identity_decomposerEEE10hipError_tT1_T2_PT3_SN_jT4_jjP12ihipStream_tbEUlT_E_NS1_11comp_targetILNS1_3genE3ELNS1_11target_archE908ELNS1_3gpuE7ELNS1_3repE0EEENS1_52radix_sort_onesweep_histogram_config_static_selectorELNS0_4arch9wavefront6targetE0EEEvSL_,comdat
.Lfunc_end144:
	.size	_ZN7rocprim17ROCPRIM_400000_NS6detail17trampoline_kernelINS0_14default_configENS1_35radix_sort_onesweep_config_selectorIjN6thrust23THRUST_200600_302600_NS5tupleIffNS6_9null_typeES8_S8_S8_S8_S8_S8_S8_EEEEZNS1_34radix_sort_onesweep_global_offsetsIS3_Lb0ENS6_6detail15normal_iteratorINS6_10device_ptrIjEEEENSD_INSE_IS9_EEEEjNS0_19identity_decomposerEEE10hipError_tT1_T2_PT3_SN_jT4_jjP12ihipStream_tbEUlT_E_NS1_11comp_targetILNS1_3genE3ELNS1_11target_archE908ELNS1_3gpuE7ELNS1_3repE0EEENS1_52radix_sort_onesweep_histogram_config_static_selectorELNS0_4arch9wavefront6targetE0EEEvSL_, .Lfunc_end144-_ZN7rocprim17ROCPRIM_400000_NS6detail17trampoline_kernelINS0_14default_configENS1_35radix_sort_onesweep_config_selectorIjN6thrust23THRUST_200600_302600_NS5tupleIffNS6_9null_typeES8_S8_S8_S8_S8_S8_S8_EEEEZNS1_34radix_sort_onesweep_global_offsetsIS3_Lb0ENS6_6detail15normal_iteratorINS6_10device_ptrIjEEEENSD_INSE_IS9_EEEEjNS0_19identity_decomposerEEE10hipError_tT1_T2_PT3_SN_jT4_jjP12ihipStream_tbEUlT_E_NS1_11comp_targetILNS1_3genE3ELNS1_11target_archE908ELNS1_3gpuE7ELNS1_3repE0EEENS1_52radix_sort_onesweep_histogram_config_static_selectorELNS0_4arch9wavefront6targetE0EEEvSL_
                                        ; -- End function
	.set _ZN7rocprim17ROCPRIM_400000_NS6detail17trampoline_kernelINS0_14default_configENS1_35radix_sort_onesweep_config_selectorIjN6thrust23THRUST_200600_302600_NS5tupleIffNS6_9null_typeES8_S8_S8_S8_S8_S8_S8_EEEEZNS1_34radix_sort_onesweep_global_offsetsIS3_Lb0ENS6_6detail15normal_iteratorINS6_10device_ptrIjEEEENSD_INSE_IS9_EEEEjNS0_19identity_decomposerEEE10hipError_tT1_T2_PT3_SN_jT4_jjP12ihipStream_tbEUlT_E_NS1_11comp_targetILNS1_3genE3ELNS1_11target_archE908ELNS1_3gpuE7ELNS1_3repE0EEENS1_52radix_sort_onesweep_histogram_config_static_selectorELNS0_4arch9wavefront6targetE0EEEvSL_.num_vgpr, 0
	.set _ZN7rocprim17ROCPRIM_400000_NS6detail17trampoline_kernelINS0_14default_configENS1_35radix_sort_onesweep_config_selectorIjN6thrust23THRUST_200600_302600_NS5tupleIffNS6_9null_typeES8_S8_S8_S8_S8_S8_S8_EEEEZNS1_34radix_sort_onesweep_global_offsetsIS3_Lb0ENS6_6detail15normal_iteratorINS6_10device_ptrIjEEEENSD_INSE_IS9_EEEEjNS0_19identity_decomposerEEE10hipError_tT1_T2_PT3_SN_jT4_jjP12ihipStream_tbEUlT_E_NS1_11comp_targetILNS1_3genE3ELNS1_11target_archE908ELNS1_3gpuE7ELNS1_3repE0EEENS1_52radix_sort_onesweep_histogram_config_static_selectorELNS0_4arch9wavefront6targetE0EEEvSL_.num_agpr, 0
	.set _ZN7rocprim17ROCPRIM_400000_NS6detail17trampoline_kernelINS0_14default_configENS1_35radix_sort_onesweep_config_selectorIjN6thrust23THRUST_200600_302600_NS5tupleIffNS6_9null_typeES8_S8_S8_S8_S8_S8_S8_EEEEZNS1_34radix_sort_onesweep_global_offsetsIS3_Lb0ENS6_6detail15normal_iteratorINS6_10device_ptrIjEEEENSD_INSE_IS9_EEEEjNS0_19identity_decomposerEEE10hipError_tT1_T2_PT3_SN_jT4_jjP12ihipStream_tbEUlT_E_NS1_11comp_targetILNS1_3genE3ELNS1_11target_archE908ELNS1_3gpuE7ELNS1_3repE0EEENS1_52radix_sort_onesweep_histogram_config_static_selectorELNS0_4arch9wavefront6targetE0EEEvSL_.numbered_sgpr, 0
	.set _ZN7rocprim17ROCPRIM_400000_NS6detail17trampoline_kernelINS0_14default_configENS1_35radix_sort_onesweep_config_selectorIjN6thrust23THRUST_200600_302600_NS5tupleIffNS6_9null_typeES8_S8_S8_S8_S8_S8_S8_EEEEZNS1_34radix_sort_onesweep_global_offsetsIS3_Lb0ENS6_6detail15normal_iteratorINS6_10device_ptrIjEEEENSD_INSE_IS9_EEEEjNS0_19identity_decomposerEEE10hipError_tT1_T2_PT3_SN_jT4_jjP12ihipStream_tbEUlT_E_NS1_11comp_targetILNS1_3genE3ELNS1_11target_archE908ELNS1_3gpuE7ELNS1_3repE0EEENS1_52radix_sort_onesweep_histogram_config_static_selectorELNS0_4arch9wavefront6targetE0EEEvSL_.num_named_barrier, 0
	.set _ZN7rocprim17ROCPRIM_400000_NS6detail17trampoline_kernelINS0_14default_configENS1_35radix_sort_onesweep_config_selectorIjN6thrust23THRUST_200600_302600_NS5tupleIffNS6_9null_typeES8_S8_S8_S8_S8_S8_S8_EEEEZNS1_34radix_sort_onesweep_global_offsetsIS3_Lb0ENS6_6detail15normal_iteratorINS6_10device_ptrIjEEEENSD_INSE_IS9_EEEEjNS0_19identity_decomposerEEE10hipError_tT1_T2_PT3_SN_jT4_jjP12ihipStream_tbEUlT_E_NS1_11comp_targetILNS1_3genE3ELNS1_11target_archE908ELNS1_3gpuE7ELNS1_3repE0EEENS1_52radix_sort_onesweep_histogram_config_static_selectorELNS0_4arch9wavefront6targetE0EEEvSL_.private_seg_size, 0
	.set _ZN7rocprim17ROCPRIM_400000_NS6detail17trampoline_kernelINS0_14default_configENS1_35radix_sort_onesweep_config_selectorIjN6thrust23THRUST_200600_302600_NS5tupleIffNS6_9null_typeES8_S8_S8_S8_S8_S8_S8_EEEEZNS1_34radix_sort_onesweep_global_offsetsIS3_Lb0ENS6_6detail15normal_iteratorINS6_10device_ptrIjEEEENSD_INSE_IS9_EEEEjNS0_19identity_decomposerEEE10hipError_tT1_T2_PT3_SN_jT4_jjP12ihipStream_tbEUlT_E_NS1_11comp_targetILNS1_3genE3ELNS1_11target_archE908ELNS1_3gpuE7ELNS1_3repE0EEENS1_52radix_sort_onesweep_histogram_config_static_selectorELNS0_4arch9wavefront6targetE0EEEvSL_.uses_vcc, 0
	.set _ZN7rocprim17ROCPRIM_400000_NS6detail17trampoline_kernelINS0_14default_configENS1_35radix_sort_onesweep_config_selectorIjN6thrust23THRUST_200600_302600_NS5tupleIffNS6_9null_typeES8_S8_S8_S8_S8_S8_S8_EEEEZNS1_34radix_sort_onesweep_global_offsetsIS3_Lb0ENS6_6detail15normal_iteratorINS6_10device_ptrIjEEEENSD_INSE_IS9_EEEEjNS0_19identity_decomposerEEE10hipError_tT1_T2_PT3_SN_jT4_jjP12ihipStream_tbEUlT_E_NS1_11comp_targetILNS1_3genE3ELNS1_11target_archE908ELNS1_3gpuE7ELNS1_3repE0EEENS1_52radix_sort_onesweep_histogram_config_static_selectorELNS0_4arch9wavefront6targetE0EEEvSL_.uses_flat_scratch, 0
	.set _ZN7rocprim17ROCPRIM_400000_NS6detail17trampoline_kernelINS0_14default_configENS1_35radix_sort_onesweep_config_selectorIjN6thrust23THRUST_200600_302600_NS5tupleIffNS6_9null_typeES8_S8_S8_S8_S8_S8_S8_EEEEZNS1_34radix_sort_onesweep_global_offsetsIS3_Lb0ENS6_6detail15normal_iteratorINS6_10device_ptrIjEEEENSD_INSE_IS9_EEEEjNS0_19identity_decomposerEEE10hipError_tT1_T2_PT3_SN_jT4_jjP12ihipStream_tbEUlT_E_NS1_11comp_targetILNS1_3genE3ELNS1_11target_archE908ELNS1_3gpuE7ELNS1_3repE0EEENS1_52radix_sort_onesweep_histogram_config_static_selectorELNS0_4arch9wavefront6targetE0EEEvSL_.has_dyn_sized_stack, 0
	.set _ZN7rocprim17ROCPRIM_400000_NS6detail17trampoline_kernelINS0_14default_configENS1_35radix_sort_onesweep_config_selectorIjN6thrust23THRUST_200600_302600_NS5tupleIffNS6_9null_typeES8_S8_S8_S8_S8_S8_S8_EEEEZNS1_34radix_sort_onesweep_global_offsetsIS3_Lb0ENS6_6detail15normal_iteratorINS6_10device_ptrIjEEEENSD_INSE_IS9_EEEEjNS0_19identity_decomposerEEE10hipError_tT1_T2_PT3_SN_jT4_jjP12ihipStream_tbEUlT_E_NS1_11comp_targetILNS1_3genE3ELNS1_11target_archE908ELNS1_3gpuE7ELNS1_3repE0EEENS1_52radix_sort_onesweep_histogram_config_static_selectorELNS0_4arch9wavefront6targetE0EEEvSL_.has_recursion, 0
	.set _ZN7rocprim17ROCPRIM_400000_NS6detail17trampoline_kernelINS0_14default_configENS1_35radix_sort_onesweep_config_selectorIjN6thrust23THRUST_200600_302600_NS5tupleIffNS6_9null_typeES8_S8_S8_S8_S8_S8_S8_EEEEZNS1_34radix_sort_onesweep_global_offsetsIS3_Lb0ENS6_6detail15normal_iteratorINS6_10device_ptrIjEEEENSD_INSE_IS9_EEEEjNS0_19identity_decomposerEEE10hipError_tT1_T2_PT3_SN_jT4_jjP12ihipStream_tbEUlT_E_NS1_11comp_targetILNS1_3genE3ELNS1_11target_archE908ELNS1_3gpuE7ELNS1_3repE0EEENS1_52radix_sort_onesweep_histogram_config_static_selectorELNS0_4arch9wavefront6targetE0EEEvSL_.has_indirect_call, 0
	.section	.AMDGPU.csdata,"",@progbits
; Kernel info:
; codeLenInByte = 0
; TotalNumSgprs: 0
; NumVgprs: 0
; ScratchSize: 0
; MemoryBound: 0
; FloatMode: 240
; IeeeMode: 1
; LDSByteSize: 0 bytes/workgroup (compile time only)
; SGPRBlocks: 0
; VGPRBlocks: 0
; NumSGPRsForWavesPerEU: 1
; NumVGPRsForWavesPerEU: 1
; NamedBarCnt: 0
; Occupancy: 16
; WaveLimiterHint : 0
; COMPUTE_PGM_RSRC2:SCRATCH_EN: 0
; COMPUTE_PGM_RSRC2:USER_SGPR: 2
; COMPUTE_PGM_RSRC2:TRAP_HANDLER: 0
; COMPUTE_PGM_RSRC2:TGID_X_EN: 1
; COMPUTE_PGM_RSRC2:TGID_Y_EN: 0
; COMPUTE_PGM_RSRC2:TGID_Z_EN: 0
; COMPUTE_PGM_RSRC2:TIDIG_COMP_CNT: 0
	.section	.text._ZN7rocprim17ROCPRIM_400000_NS6detail17trampoline_kernelINS0_14default_configENS1_35radix_sort_onesweep_config_selectorIjN6thrust23THRUST_200600_302600_NS5tupleIffNS6_9null_typeES8_S8_S8_S8_S8_S8_S8_EEEEZNS1_34radix_sort_onesweep_global_offsetsIS3_Lb0ENS6_6detail15normal_iteratorINS6_10device_ptrIjEEEENSD_INSE_IS9_EEEEjNS0_19identity_decomposerEEE10hipError_tT1_T2_PT3_SN_jT4_jjP12ihipStream_tbEUlT_E_NS1_11comp_targetILNS1_3genE10ELNS1_11target_archE1201ELNS1_3gpuE5ELNS1_3repE0EEENS1_52radix_sort_onesweep_histogram_config_static_selectorELNS0_4arch9wavefront6targetE0EEEvSL_,"axG",@progbits,_ZN7rocprim17ROCPRIM_400000_NS6detail17trampoline_kernelINS0_14default_configENS1_35radix_sort_onesweep_config_selectorIjN6thrust23THRUST_200600_302600_NS5tupleIffNS6_9null_typeES8_S8_S8_S8_S8_S8_S8_EEEEZNS1_34radix_sort_onesweep_global_offsetsIS3_Lb0ENS6_6detail15normal_iteratorINS6_10device_ptrIjEEEENSD_INSE_IS9_EEEEjNS0_19identity_decomposerEEE10hipError_tT1_T2_PT3_SN_jT4_jjP12ihipStream_tbEUlT_E_NS1_11comp_targetILNS1_3genE10ELNS1_11target_archE1201ELNS1_3gpuE5ELNS1_3repE0EEENS1_52radix_sort_onesweep_histogram_config_static_selectorELNS0_4arch9wavefront6targetE0EEEvSL_,comdat
	.protected	_ZN7rocprim17ROCPRIM_400000_NS6detail17trampoline_kernelINS0_14default_configENS1_35radix_sort_onesweep_config_selectorIjN6thrust23THRUST_200600_302600_NS5tupleIffNS6_9null_typeES8_S8_S8_S8_S8_S8_S8_EEEEZNS1_34radix_sort_onesweep_global_offsetsIS3_Lb0ENS6_6detail15normal_iteratorINS6_10device_ptrIjEEEENSD_INSE_IS9_EEEEjNS0_19identity_decomposerEEE10hipError_tT1_T2_PT3_SN_jT4_jjP12ihipStream_tbEUlT_E_NS1_11comp_targetILNS1_3genE10ELNS1_11target_archE1201ELNS1_3gpuE5ELNS1_3repE0EEENS1_52radix_sort_onesweep_histogram_config_static_selectorELNS0_4arch9wavefront6targetE0EEEvSL_ ; -- Begin function _ZN7rocprim17ROCPRIM_400000_NS6detail17trampoline_kernelINS0_14default_configENS1_35radix_sort_onesweep_config_selectorIjN6thrust23THRUST_200600_302600_NS5tupleIffNS6_9null_typeES8_S8_S8_S8_S8_S8_S8_EEEEZNS1_34radix_sort_onesweep_global_offsetsIS3_Lb0ENS6_6detail15normal_iteratorINS6_10device_ptrIjEEEENSD_INSE_IS9_EEEEjNS0_19identity_decomposerEEE10hipError_tT1_T2_PT3_SN_jT4_jjP12ihipStream_tbEUlT_E_NS1_11comp_targetILNS1_3genE10ELNS1_11target_archE1201ELNS1_3gpuE5ELNS1_3repE0EEENS1_52radix_sort_onesweep_histogram_config_static_selectorELNS0_4arch9wavefront6targetE0EEEvSL_
	.globl	_ZN7rocprim17ROCPRIM_400000_NS6detail17trampoline_kernelINS0_14default_configENS1_35radix_sort_onesweep_config_selectorIjN6thrust23THRUST_200600_302600_NS5tupleIffNS6_9null_typeES8_S8_S8_S8_S8_S8_S8_EEEEZNS1_34radix_sort_onesweep_global_offsetsIS3_Lb0ENS6_6detail15normal_iteratorINS6_10device_ptrIjEEEENSD_INSE_IS9_EEEEjNS0_19identity_decomposerEEE10hipError_tT1_T2_PT3_SN_jT4_jjP12ihipStream_tbEUlT_E_NS1_11comp_targetILNS1_3genE10ELNS1_11target_archE1201ELNS1_3gpuE5ELNS1_3repE0EEENS1_52radix_sort_onesweep_histogram_config_static_selectorELNS0_4arch9wavefront6targetE0EEEvSL_
	.p2align	8
	.type	_ZN7rocprim17ROCPRIM_400000_NS6detail17trampoline_kernelINS0_14default_configENS1_35radix_sort_onesweep_config_selectorIjN6thrust23THRUST_200600_302600_NS5tupleIffNS6_9null_typeES8_S8_S8_S8_S8_S8_S8_EEEEZNS1_34radix_sort_onesweep_global_offsetsIS3_Lb0ENS6_6detail15normal_iteratorINS6_10device_ptrIjEEEENSD_INSE_IS9_EEEEjNS0_19identity_decomposerEEE10hipError_tT1_T2_PT3_SN_jT4_jjP12ihipStream_tbEUlT_E_NS1_11comp_targetILNS1_3genE10ELNS1_11target_archE1201ELNS1_3gpuE5ELNS1_3repE0EEENS1_52radix_sort_onesweep_histogram_config_static_selectorELNS0_4arch9wavefront6targetE0EEEvSL_,@function
_ZN7rocprim17ROCPRIM_400000_NS6detail17trampoline_kernelINS0_14default_configENS1_35radix_sort_onesweep_config_selectorIjN6thrust23THRUST_200600_302600_NS5tupleIffNS6_9null_typeES8_S8_S8_S8_S8_S8_S8_EEEEZNS1_34radix_sort_onesweep_global_offsetsIS3_Lb0ENS6_6detail15normal_iteratorINS6_10device_ptrIjEEEENSD_INSE_IS9_EEEEjNS0_19identity_decomposerEEE10hipError_tT1_T2_PT3_SN_jT4_jjP12ihipStream_tbEUlT_E_NS1_11comp_targetILNS1_3genE10ELNS1_11target_archE1201ELNS1_3gpuE5ELNS1_3repE0EEENS1_52radix_sort_onesweep_histogram_config_static_selectorELNS0_4arch9wavefront6targetE0EEEvSL_: ; @_ZN7rocprim17ROCPRIM_400000_NS6detail17trampoline_kernelINS0_14default_configENS1_35radix_sort_onesweep_config_selectorIjN6thrust23THRUST_200600_302600_NS5tupleIffNS6_9null_typeES8_S8_S8_S8_S8_S8_S8_EEEEZNS1_34radix_sort_onesweep_global_offsetsIS3_Lb0ENS6_6detail15normal_iteratorINS6_10device_ptrIjEEEENSD_INSE_IS9_EEEEjNS0_19identity_decomposerEEE10hipError_tT1_T2_PT3_SN_jT4_jjP12ihipStream_tbEUlT_E_NS1_11comp_targetILNS1_3genE10ELNS1_11target_archE1201ELNS1_3gpuE5ELNS1_3repE0EEENS1_52radix_sort_onesweep_histogram_config_static_selectorELNS0_4arch9wavefront6targetE0EEEvSL_
; %bb.0:
	.section	.rodata,"a",@progbits
	.p2align	6, 0x0
	.amdhsa_kernel _ZN7rocprim17ROCPRIM_400000_NS6detail17trampoline_kernelINS0_14default_configENS1_35radix_sort_onesweep_config_selectorIjN6thrust23THRUST_200600_302600_NS5tupleIffNS6_9null_typeES8_S8_S8_S8_S8_S8_S8_EEEEZNS1_34radix_sort_onesweep_global_offsetsIS3_Lb0ENS6_6detail15normal_iteratorINS6_10device_ptrIjEEEENSD_INSE_IS9_EEEEjNS0_19identity_decomposerEEE10hipError_tT1_T2_PT3_SN_jT4_jjP12ihipStream_tbEUlT_E_NS1_11comp_targetILNS1_3genE10ELNS1_11target_archE1201ELNS1_3gpuE5ELNS1_3repE0EEENS1_52radix_sort_onesweep_histogram_config_static_selectorELNS0_4arch9wavefront6targetE0EEEvSL_
		.amdhsa_group_segment_fixed_size 0
		.amdhsa_private_segment_fixed_size 0
		.amdhsa_kernarg_size 40
		.amdhsa_user_sgpr_count 2
		.amdhsa_user_sgpr_dispatch_ptr 0
		.amdhsa_user_sgpr_queue_ptr 0
		.amdhsa_user_sgpr_kernarg_segment_ptr 1
		.amdhsa_user_sgpr_dispatch_id 0
		.amdhsa_user_sgpr_kernarg_preload_length 0
		.amdhsa_user_sgpr_kernarg_preload_offset 0
		.amdhsa_user_sgpr_private_segment_size 0
		.amdhsa_wavefront_size32 1
		.amdhsa_uses_dynamic_stack 0
		.amdhsa_enable_private_segment 0
		.amdhsa_system_sgpr_workgroup_id_x 1
		.amdhsa_system_sgpr_workgroup_id_y 0
		.amdhsa_system_sgpr_workgroup_id_z 0
		.amdhsa_system_sgpr_workgroup_info 0
		.amdhsa_system_vgpr_workitem_id 0
		.amdhsa_next_free_vgpr 1
		.amdhsa_next_free_sgpr 1
		.amdhsa_named_barrier_count 0
		.amdhsa_reserve_vcc 0
		.amdhsa_float_round_mode_32 0
		.amdhsa_float_round_mode_16_64 0
		.amdhsa_float_denorm_mode_32 3
		.amdhsa_float_denorm_mode_16_64 3
		.amdhsa_fp16_overflow 0
		.amdhsa_memory_ordered 1
		.amdhsa_forward_progress 1
		.amdhsa_inst_pref_size 0
		.amdhsa_round_robin_scheduling 0
		.amdhsa_exception_fp_ieee_invalid_op 0
		.amdhsa_exception_fp_denorm_src 0
		.amdhsa_exception_fp_ieee_div_zero 0
		.amdhsa_exception_fp_ieee_overflow 0
		.amdhsa_exception_fp_ieee_underflow 0
		.amdhsa_exception_fp_ieee_inexact 0
		.amdhsa_exception_int_div_zero 0
	.end_amdhsa_kernel
	.section	.text._ZN7rocprim17ROCPRIM_400000_NS6detail17trampoline_kernelINS0_14default_configENS1_35radix_sort_onesweep_config_selectorIjN6thrust23THRUST_200600_302600_NS5tupleIffNS6_9null_typeES8_S8_S8_S8_S8_S8_S8_EEEEZNS1_34radix_sort_onesweep_global_offsetsIS3_Lb0ENS6_6detail15normal_iteratorINS6_10device_ptrIjEEEENSD_INSE_IS9_EEEEjNS0_19identity_decomposerEEE10hipError_tT1_T2_PT3_SN_jT4_jjP12ihipStream_tbEUlT_E_NS1_11comp_targetILNS1_3genE10ELNS1_11target_archE1201ELNS1_3gpuE5ELNS1_3repE0EEENS1_52radix_sort_onesweep_histogram_config_static_selectorELNS0_4arch9wavefront6targetE0EEEvSL_,"axG",@progbits,_ZN7rocprim17ROCPRIM_400000_NS6detail17trampoline_kernelINS0_14default_configENS1_35radix_sort_onesweep_config_selectorIjN6thrust23THRUST_200600_302600_NS5tupleIffNS6_9null_typeES8_S8_S8_S8_S8_S8_S8_EEEEZNS1_34radix_sort_onesweep_global_offsetsIS3_Lb0ENS6_6detail15normal_iteratorINS6_10device_ptrIjEEEENSD_INSE_IS9_EEEEjNS0_19identity_decomposerEEE10hipError_tT1_T2_PT3_SN_jT4_jjP12ihipStream_tbEUlT_E_NS1_11comp_targetILNS1_3genE10ELNS1_11target_archE1201ELNS1_3gpuE5ELNS1_3repE0EEENS1_52radix_sort_onesweep_histogram_config_static_selectorELNS0_4arch9wavefront6targetE0EEEvSL_,comdat
.Lfunc_end145:
	.size	_ZN7rocprim17ROCPRIM_400000_NS6detail17trampoline_kernelINS0_14default_configENS1_35radix_sort_onesweep_config_selectorIjN6thrust23THRUST_200600_302600_NS5tupleIffNS6_9null_typeES8_S8_S8_S8_S8_S8_S8_EEEEZNS1_34radix_sort_onesweep_global_offsetsIS3_Lb0ENS6_6detail15normal_iteratorINS6_10device_ptrIjEEEENSD_INSE_IS9_EEEEjNS0_19identity_decomposerEEE10hipError_tT1_T2_PT3_SN_jT4_jjP12ihipStream_tbEUlT_E_NS1_11comp_targetILNS1_3genE10ELNS1_11target_archE1201ELNS1_3gpuE5ELNS1_3repE0EEENS1_52radix_sort_onesweep_histogram_config_static_selectorELNS0_4arch9wavefront6targetE0EEEvSL_, .Lfunc_end145-_ZN7rocprim17ROCPRIM_400000_NS6detail17trampoline_kernelINS0_14default_configENS1_35radix_sort_onesweep_config_selectorIjN6thrust23THRUST_200600_302600_NS5tupleIffNS6_9null_typeES8_S8_S8_S8_S8_S8_S8_EEEEZNS1_34radix_sort_onesweep_global_offsetsIS3_Lb0ENS6_6detail15normal_iteratorINS6_10device_ptrIjEEEENSD_INSE_IS9_EEEEjNS0_19identity_decomposerEEE10hipError_tT1_T2_PT3_SN_jT4_jjP12ihipStream_tbEUlT_E_NS1_11comp_targetILNS1_3genE10ELNS1_11target_archE1201ELNS1_3gpuE5ELNS1_3repE0EEENS1_52radix_sort_onesweep_histogram_config_static_selectorELNS0_4arch9wavefront6targetE0EEEvSL_
                                        ; -- End function
	.set _ZN7rocprim17ROCPRIM_400000_NS6detail17trampoline_kernelINS0_14default_configENS1_35radix_sort_onesweep_config_selectorIjN6thrust23THRUST_200600_302600_NS5tupleIffNS6_9null_typeES8_S8_S8_S8_S8_S8_S8_EEEEZNS1_34radix_sort_onesweep_global_offsetsIS3_Lb0ENS6_6detail15normal_iteratorINS6_10device_ptrIjEEEENSD_INSE_IS9_EEEEjNS0_19identity_decomposerEEE10hipError_tT1_T2_PT3_SN_jT4_jjP12ihipStream_tbEUlT_E_NS1_11comp_targetILNS1_3genE10ELNS1_11target_archE1201ELNS1_3gpuE5ELNS1_3repE0EEENS1_52radix_sort_onesweep_histogram_config_static_selectorELNS0_4arch9wavefront6targetE0EEEvSL_.num_vgpr, 0
	.set _ZN7rocprim17ROCPRIM_400000_NS6detail17trampoline_kernelINS0_14default_configENS1_35radix_sort_onesweep_config_selectorIjN6thrust23THRUST_200600_302600_NS5tupleIffNS6_9null_typeES8_S8_S8_S8_S8_S8_S8_EEEEZNS1_34radix_sort_onesweep_global_offsetsIS3_Lb0ENS6_6detail15normal_iteratorINS6_10device_ptrIjEEEENSD_INSE_IS9_EEEEjNS0_19identity_decomposerEEE10hipError_tT1_T2_PT3_SN_jT4_jjP12ihipStream_tbEUlT_E_NS1_11comp_targetILNS1_3genE10ELNS1_11target_archE1201ELNS1_3gpuE5ELNS1_3repE0EEENS1_52radix_sort_onesweep_histogram_config_static_selectorELNS0_4arch9wavefront6targetE0EEEvSL_.num_agpr, 0
	.set _ZN7rocprim17ROCPRIM_400000_NS6detail17trampoline_kernelINS0_14default_configENS1_35radix_sort_onesweep_config_selectorIjN6thrust23THRUST_200600_302600_NS5tupleIffNS6_9null_typeES8_S8_S8_S8_S8_S8_S8_EEEEZNS1_34radix_sort_onesweep_global_offsetsIS3_Lb0ENS6_6detail15normal_iteratorINS6_10device_ptrIjEEEENSD_INSE_IS9_EEEEjNS0_19identity_decomposerEEE10hipError_tT1_T2_PT3_SN_jT4_jjP12ihipStream_tbEUlT_E_NS1_11comp_targetILNS1_3genE10ELNS1_11target_archE1201ELNS1_3gpuE5ELNS1_3repE0EEENS1_52radix_sort_onesweep_histogram_config_static_selectorELNS0_4arch9wavefront6targetE0EEEvSL_.numbered_sgpr, 0
	.set _ZN7rocprim17ROCPRIM_400000_NS6detail17trampoline_kernelINS0_14default_configENS1_35radix_sort_onesweep_config_selectorIjN6thrust23THRUST_200600_302600_NS5tupleIffNS6_9null_typeES8_S8_S8_S8_S8_S8_S8_EEEEZNS1_34radix_sort_onesweep_global_offsetsIS3_Lb0ENS6_6detail15normal_iteratorINS6_10device_ptrIjEEEENSD_INSE_IS9_EEEEjNS0_19identity_decomposerEEE10hipError_tT1_T2_PT3_SN_jT4_jjP12ihipStream_tbEUlT_E_NS1_11comp_targetILNS1_3genE10ELNS1_11target_archE1201ELNS1_3gpuE5ELNS1_3repE0EEENS1_52radix_sort_onesweep_histogram_config_static_selectorELNS0_4arch9wavefront6targetE0EEEvSL_.num_named_barrier, 0
	.set _ZN7rocprim17ROCPRIM_400000_NS6detail17trampoline_kernelINS0_14default_configENS1_35radix_sort_onesweep_config_selectorIjN6thrust23THRUST_200600_302600_NS5tupleIffNS6_9null_typeES8_S8_S8_S8_S8_S8_S8_EEEEZNS1_34radix_sort_onesweep_global_offsetsIS3_Lb0ENS6_6detail15normal_iteratorINS6_10device_ptrIjEEEENSD_INSE_IS9_EEEEjNS0_19identity_decomposerEEE10hipError_tT1_T2_PT3_SN_jT4_jjP12ihipStream_tbEUlT_E_NS1_11comp_targetILNS1_3genE10ELNS1_11target_archE1201ELNS1_3gpuE5ELNS1_3repE0EEENS1_52radix_sort_onesweep_histogram_config_static_selectorELNS0_4arch9wavefront6targetE0EEEvSL_.private_seg_size, 0
	.set _ZN7rocprim17ROCPRIM_400000_NS6detail17trampoline_kernelINS0_14default_configENS1_35radix_sort_onesweep_config_selectorIjN6thrust23THRUST_200600_302600_NS5tupleIffNS6_9null_typeES8_S8_S8_S8_S8_S8_S8_EEEEZNS1_34radix_sort_onesweep_global_offsetsIS3_Lb0ENS6_6detail15normal_iteratorINS6_10device_ptrIjEEEENSD_INSE_IS9_EEEEjNS0_19identity_decomposerEEE10hipError_tT1_T2_PT3_SN_jT4_jjP12ihipStream_tbEUlT_E_NS1_11comp_targetILNS1_3genE10ELNS1_11target_archE1201ELNS1_3gpuE5ELNS1_3repE0EEENS1_52radix_sort_onesweep_histogram_config_static_selectorELNS0_4arch9wavefront6targetE0EEEvSL_.uses_vcc, 0
	.set _ZN7rocprim17ROCPRIM_400000_NS6detail17trampoline_kernelINS0_14default_configENS1_35radix_sort_onesweep_config_selectorIjN6thrust23THRUST_200600_302600_NS5tupleIffNS6_9null_typeES8_S8_S8_S8_S8_S8_S8_EEEEZNS1_34radix_sort_onesweep_global_offsetsIS3_Lb0ENS6_6detail15normal_iteratorINS6_10device_ptrIjEEEENSD_INSE_IS9_EEEEjNS0_19identity_decomposerEEE10hipError_tT1_T2_PT3_SN_jT4_jjP12ihipStream_tbEUlT_E_NS1_11comp_targetILNS1_3genE10ELNS1_11target_archE1201ELNS1_3gpuE5ELNS1_3repE0EEENS1_52radix_sort_onesweep_histogram_config_static_selectorELNS0_4arch9wavefront6targetE0EEEvSL_.uses_flat_scratch, 0
	.set _ZN7rocprim17ROCPRIM_400000_NS6detail17trampoline_kernelINS0_14default_configENS1_35radix_sort_onesweep_config_selectorIjN6thrust23THRUST_200600_302600_NS5tupleIffNS6_9null_typeES8_S8_S8_S8_S8_S8_S8_EEEEZNS1_34radix_sort_onesweep_global_offsetsIS3_Lb0ENS6_6detail15normal_iteratorINS6_10device_ptrIjEEEENSD_INSE_IS9_EEEEjNS0_19identity_decomposerEEE10hipError_tT1_T2_PT3_SN_jT4_jjP12ihipStream_tbEUlT_E_NS1_11comp_targetILNS1_3genE10ELNS1_11target_archE1201ELNS1_3gpuE5ELNS1_3repE0EEENS1_52radix_sort_onesweep_histogram_config_static_selectorELNS0_4arch9wavefront6targetE0EEEvSL_.has_dyn_sized_stack, 0
	.set _ZN7rocprim17ROCPRIM_400000_NS6detail17trampoline_kernelINS0_14default_configENS1_35radix_sort_onesweep_config_selectorIjN6thrust23THRUST_200600_302600_NS5tupleIffNS6_9null_typeES8_S8_S8_S8_S8_S8_S8_EEEEZNS1_34radix_sort_onesweep_global_offsetsIS3_Lb0ENS6_6detail15normal_iteratorINS6_10device_ptrIjEEEENSD_INSE_IS9_EEEEjNS0_19identity_decomposerEEE10hipError_tT1_T2_PT3_SN_jT4_jjP12ihipStream_tbEUlT_E_NS1_11comp_targetILNS1_3genE10ELNS1_11target_archE1201ELNS1_3gpuE5ELNS1_3repE0EEENS1_52radix_sort_onesweep_histogram_config_static_selectorELNS0_4arch9wavefront6targetE0EEEvSL_.has_recursion, 0
	.set _ZN7rocprim17ROCPRIM_400000_NS6detail17trampoline_kernelINS0_14default_configENS1_35radix_sort_onesweep_config_selectorIjN6thrust23THRUST_200600_302600_NS5tupleIffNS6_9null_typeES8_S8_S8_S8_S8_S8_S8_EEEEZNS1_34radix_sort_onesweep_global_offsetsIS3_Lb0ENS6_6detail15normal_iteratorINS6_10device_ptrIjEEEENSD_INSE_IS9_EEEEjNS0_19identity_decomposerEEE10hipError_tT1_T2_PT3_SN_jT4_jjP12ihipStream_tbEUlT_E_NS1_11comp_targetILNS1_3genE10ELNS1_11target_archE1201ELNS1_3gpuE5ELNS1_3repE0EEENS1_52radix_sort_onesweep_histogram_config_static_selectorELNS0_4arch9wavefront6targetE0EEEvSL_.has_indirect_call, 0
	.section	.AMDGPU.csdata,"",@progbits
; Kernel info:
; codeLenInByte = 0
; TotalNumSgprs: 0
; NumVgprs: 0
; ScratchSize: 0
; MemoryBound: 0
; FloatMode: 240
; IeeeMode: 1
; LDSByteSize: 0 bytes/workgroup (compile time only)
; SGPRBlocks: 0
; VGPRBlocks: 0
; NumSGPRsForWavesPerEU: 1
; NumVGPRsForWavesPerEU: 1
; NamedBarCnt: 0
; Occupancy: 16
; WaveLimiterHint : 0
; COMPUTE_PGM_RSRC2:SCRATCH_EN: 0
; COMPUTE_PGM_RSRC2:USER_SGPR: 2
; COMPUTE_PGM_RSRC2:TRAP_HANDLER: 0
; COMPUTE_PGM_RSRC2:TGID_X_EN: 1
; COMPUTE_PGM_RSRC2:TGID_Y_EN: 0
; COMPUTE_PGM_RSRC2:TGID_Z_EN: 0
; COMPUTE_PGM_RSRC2:TIDIG_COMP_CNT: 0
	.section	.text._ZN7rocprim17ROCPRIM_400000_NS6detail17trampoline_kernelINS0_14default_configENS1_35radix_sort_onesweep_config_selectorIjN6thrust23THRUST_200600_302600_NS5tupleIffNS6_9null_typeES8_S8_S8_S8_S8_S8_S8_EEEEZNS1_34radix_sort_onesweep_global_offsetsIS3_Lb0ENS6_6detail15normal_iteratorINS6_10device_ptrIjEEEENSD_INSE_IS9_EEEEjNS0_19identity_decomposerEEE10hipError_tT1_T2_PT3_SN_jT4_jjP12ihipStream_tbEUlT_E_NS1_11comp_targetILNS1_3genE9ELNS1_11target_archE1100ELNS1_3gpuE3ELNS1_3repE0EEENS1_52radix_sort_onesweep_histogram_config_static_selectorELNS0_4arch9wavefront6targetE0EEEvSL_,"axG",@progbits,_ZN7rocprim17ROCPRIM_400000_NS6detail17trampoline_kernelINS0_14default_configENS1_35radix_sort_onesweep_config_selectorIjN6thrust23THRUST_200600_302600_NS5tupleIffNS6_9null_typeES8_S8_S8_S8_S8_S8_S8_EEEEZNS1_34radix_sort_onesweep_global_offsetsIS3_Lb0ENS6_6detail15normal_iteratorINS6_10device_ptrIjEEEENSD_INSE_IS9_EEEEjNS0_19identity_decomposerEEE10hipError_tT1_T2_PT3_SN_jT4_jjP12ihipStream_tbEUlT_E_NS1_11comp_targetILNS1_3genE9ELNS1_11target_archE1100ELNS1_3gpuE3ELNS1_3repE0EEENS1_52radix_sort_onesweep_histogram_config_static_selectorELNS0_4arch9wavefront6targetE0EEEvSL_,comdat
	.protected	_ZN7rocprim17ROCPRIM_400000_NS6detail17trampoline_kernelINS0_14default_configENS1_35radix_sort_onesweep_config_selectorIjN6thrust23THRUST_200600_302600_NS5tupleIffNS6_9null_typeES8_S8_S8_S8_S8_S8_S8_EEEEZNS1_34radix_sort_onesweep_global_offsetsIS3_Lb0ENS6_6detail15normal_iteratorINS6_10device_ptrIjEEEENSD_INSE_IS9_EEEEjNS0_19identity_decomposerEEE10hipError_tT1_T2_PT3_SN_jT4_jjP12ihipStream_tbEUlT_E_NS1_11comp_targetILNS1_3genE9ELNS1_11target_archE1100ELNS1_3gpuE3ELNS1_3repE0EEENS1_52radix_sort_onesweep_histogram_config_static_selectorELNS0_4arch9wavefront6targetE0EEEvSL_ ; -- Begin function _ZN7rocprim17ROCPRIM_400000_NS6detail17trampoline_kernelINS0_14default_configENS1_35radix_sort_onesweep_config_selectorIjN6thrust23THRUST_200600_302600_NS5tupleIffNS6_9null_typeES8_S8_S8_S8_S8_S8_S8_EEEEZNS1_34radix_sort_onesweep_global_offsetsIS3_Lb0ENS6_6detail15normal_iteratorINS6_10device_ptrIjEEEENSD_INSE_IS9_EEEEjNS0_19identity_decomposerEEE10hipError_tT1_T2_PT3_SN_jT4_jjP12ihipStream_tbEUlT_E_NS1_11comp_targetILNS1_3genE9ELNS1_11target_archE1100ELNS1_3gpuE3ELNS1_3repE0EEENS1_52radix_sort_onesweep_histogram_config_static_selectorELNS0_4arch9wavefront6targetE0EEEvSL_
	.globl	_ZN7rocprim17ROCPRIM_400000_NS6detail17trampoline_kernelINS0_14default_configENS1_35radix_sort_onesweep_config_selectorIjN6thrust23THRUST_200600_302600_NS5tupleIffNS6_9null_typeES8_S8_S8_S8_S8_S8_S8_EEEEZNS1_34radix_sort_onesweep_global_offsetsIS3_Lb0ENS6_6detail15normal_iteratorINS6_10device_ptrIjEEEENSD_INSE_IS9_EEEEjNS0_19identity_decomposerEEE10hipError_tT1_T2_PT3_SN_jT4_jjP12ihipStream_tbEUlT_E_NS1_11comp_targetILNS1_3genE9ELNS1_11target_archE1100ELNS1_3gpuE3ELNS1_3repE0EEENS1_52radix_sort_onesweep_histogram_config_static_selectorELNS0_4arch9wavefront6targetE0EEEvSL_
	.p2align	8
	.type	_ZN7rocprim17ROCPRIM_400000_NS6detail17trampoline_kernelINS0_14default_configENS1_35radix_sort_onesweep_config_selectorIjN6thrust23THRUST_200600_302600_NS5tupleIffNS6_9null_typeES8_S8_S8_S8_S8_S8_S8_EEEEZNS1_34radix_sort_onesweep_global_offsetsIS3_Lb0ENS6_6detail15normal_iteratorINS6_10device_ptrIjEEEENSD_INSE_IS9_EEEEjNS0_19identity_decomposerEEE10hipError_tT1_T2_PT3_SN_jT4_jjP12ihipStream_tbEUlT_E_NS1_11comp_targetILNS1_3genE9ELNS1_11target_archE1100ELNS1_3gpuE3ELNS1_3repE0EEENS1_52radix_sort_onesweep_histogram_config_static_selectorELNS0_4arch9wavefront6targetE0EEEvSL_,@function
_ZN7rocprim17ROCPRIM_400000_NS6detail17trampoline_kernelINS0_14default_configENS1_35radix_sort_onesweep_config_selectorIjN6thrust23THRUST_200600_302600_NS5tupleIffNS6_9null_typeES8_S8_S8_S8_S8_S8_S8_EEEEZNS1_34radix_sort_onesweep_global_offsetsIS3_Lb0ENS6_6detail15normal_iteratorINS6_10device_ptrIjEEEENSD_INSE_IS9_EEEEjNS0_19identity_decomposerEEE10hipError_tT1_T2_PT3_SN_jT4_jjP12ihipStream_tbEUlT_E_NS1_11comp_targetILNS1_3genE9ELNS1_11target_archE1100ELNS1_3gpuE3ELNS1_3repE0EEENS1_52radix_sort_onesweep_histogram_config_static_selectorELNS0_4arch9wavefront6targetE0EEEvSL_: ; @_ZN7rocprim17ROCPRIM_400000_NS6detail17trampoline_kernelINS0_14default_configENS1_35radix_sort_onesweep_config_selectorIjN6thrust23THRUST_200600_302600_NS5tupleIffNS6_9null_typeES8_S8_S8_S8_S8_S8_S8_EEEEZNS1_34radix_sort_onesweep_global_offsetsIS3_Lb0ENS6_6detail15normal_iteratorINS6_10device_ptrIjEEEENSD_INSE_IS9_EEEEjNS0_19identity_decomposerEEE10hipError_tT1_T2_PT3_SN_jT4_jjP12ihipStream_tbEUlT_E_NS1_11comp_targetILNS1_3genE9ELNS1_11target_archE1100ELNS1_3gpuE3ELNS1_3repE0EEENS1_52radix_sort_onesweep_histogram_config_static_selectorELNS0_4arch9wavefront6targetE0EEEvSL_
; %bb.0:
	.section	.rodata,"a",@progbits
	.p2align	6, 0x0
	.amdhsa_kernel _ZN7rocprim17ROCPRIM_400000_NS6detail17trampoline_kernelINS0_14default_configENS1_35radix_sort_onesweep_config_selectorIjN6thrust23THRUST_200600_302600_NS5tupleIffNS6_9null_typeES8_S8_S8_S8_S8_S8_S8_EEEEZNS1_34radix_sort_onesweep_global_offsetsIS3_Lb0ENS6_6detail15normal_iteratorINS6_10device_ptrIjEEEENSD_INSE_IS9_EEEEjNS0_19identity_decomposerEEE10hipError_tT1_T2_PT3_SN_jT4_jjP12ihipStream_tbEUlT_E_NS1_11comp_targetILNS1_3genE9ELNS1_11target_archE1100ELNS1_3gpuE3ELNS1_3repE0EEENS1_52radix_sort_onesweep_histogram_config_static_selectorELNS0_4arch9wavefront6targetE0EEEvSL_
		.amdhsa_group_segment_fixed_size 0
		.amdhsa_private_segment_fixed_size 0
		.amdhsa_kernarg_size 40
		.amdhsa_user_sgpr_count 2
		.amdhsa_user_sgpr_dispatch_ptr 0
		.amdhsa_user_sgpr_queue_ptr 0
		.amdhsa_user_sgpr_kernarg_segment_ptr 1
		.amdhsa_user_sgpr_dispatch_id 0
		.amdhsa_user_sgpr_kernarg_preload_length 0
		.amdhsa_user_sgpr_kernarg_preload_offset 0
		.amdhsa_user_sgpr_private_segment_size 0
		.amdhsa_wavefront_size32 1
		.amdhsa_uses_dynamic_stack 0
		.amdhsa_enable_private_segment 0
		.amdhsa_system_sgpr_workgroup_id_x 1
		.amdhsa_system_sgpr_workgroup_id_y 0
		.amdhsa_system_sgpr_workgroup_id_z 0
		.amdhsa_system_sgpr_workgroup_info 0
		.amdhsa_system_vgpr_workitem_id 0
		.amdhsa_next_free_vgpr 1
		.amdhsa_next_free_sgpr 1
		.amdhsa_named_barrier_count 0
		.amdhsa_reserve_vcc 0
		.amdhsa_float_round_mode_32 0
		.amdhsa_float_round_mode_16_64 0
		.amdhsa_float_denorm_mode_32 3
		.amdhsa_float_denorm_mode_16_64 3
		.amdhsa_fp16_overflow 0
		.amdhsa_memory_ordered 1
		.amdhsa_forward_progress 1
		.amdhsa_inst_pref_size 0
		.amdhsa_round_robin_scheduling 0
		.amdhsa_exception_fp_ieee_invalid_op 0
		.amdhsa_exception_fp_denorm_src 0
		.amdhsa_exception_fp_ieee_div_zero 0
		.amdhsa_exception_fp_ieee_overflow 0
		.amdhsa_exception_fp_ieee_underflow 0
		.amdhsa_exception_fp_ieee_inexact 0
		.amdhsa_exception_int_div_zero 0
	.end_amdhsa_kernel
	.section	.text._ZN7rocprim17ROCPRIM_400000_NS6detail17trampoline_kernelINS0_14default_configENS1_35radix_sort_onesweep_config_selectorIjN6thrust23THRUST_200600_302600_NS5tupleIffNS6_9null_typeES8_S8_S8_S8_S8_S8_S8_EEEEZNS1_34radix_sort_onesweep_global_offsetsIS3_Lb0ENS6_6detail15normal_iteratorINS6_10device_ptrIjEEEENSD_INSE_IS9_EEEEjNS0_19identity_decomposerEEE10hipError_tT1_T2_PT3_SN_jT4_jjP12ihipStream_tbEUlT_E_NS1_11comp_targetILNS1_3genE9ELNS1_11target_archE1100ELNS1_3gpuE3ELNS1_3repE0EEENS1_52radix_sort_onesweep_histogram_config_static_selectorELNS0_4arch9wavefront6targetE0EEEvSL_,"axG",@progbits,_ZN7rocprim17ROCPRIM_400000_NS6detail17trampoline_kernelINS0_14default_configENS1_35radix_sort_onesweep_config_selectorIjN6thrust23THRUST_200600_302600_NS5tupleIffNS6_9null_typeES8_S8_S8_S8_S8_S8_S8_EEEEZNS1_34radix_sort_onesweep_global_offsetsIS3_Lb0ENS6_6detail15normal_iteratorINS6_10device_ptrIjEEEENSD_INSE_IS9_EEEEjNS0_19identity_decomposerEEE10hipError_tT1_T2_PT3_SN_jT4_jjP12ihipStream_tbEUlT_E_NS1_11comp_targetILNS1_3genE9ELNS1_11target_archE1100ELNS1_3gpuE3ELNS1_3repE0EEENS1_52radix_sort_onesweep_histogram_config_static_selectorELNS0_4arch9wavefront6targetE0EEEvSL_,comdat
.Lfunc_end146:
	.size	_ZN7rocprim17ROCPRIM_400000_NS6detail17trampoline_kernelINS0_14default_configENS1_35radix_sort_onesweep_config_selectorIjN6thrust23THRUST_200600_302600_NS5tupleIffNS6_9null_typeES8_S8_S8_S8_S8_S8_S8_EEEEZNS1_34radix_sort_onesweep_global_offsetsIS3_Lb0ENS6_6detail15normal_iteratorINS6_10device_ptrIjEEEENSD_INSE_IS9_EEEEjNS0_19identity_decomposerEEE10hipError_tT1_T2_PT3_SN_jT4_jjP12ihipStream_tbEUlT_E_NS1_11comp_targetILNS1_3genE9ELNS1_11target_archE1100ELNS1_3gpuE3ELNS1_3repE0EEENS1_52radix_sort_onesweep_histogram_config_static_selectorELNS0_4arch9wavefront6targetE0EEEvSL_, .Lfunc_end146-_ZN7rocprim17ROCPRIM_400000_NS6detail17trampoline_kernelINS0_14default_configENS1_35radix_sort_onesweep_config_selectorIjN6thrust23THRUST_200600_302600_NS5tupleIffNS6_9null_typeES8_S8_S8_S8_S8_S8_S8_EEEEZNS1_34radix_sort_onesweep_global_offsetsIS3_Lb0ENS6_6detail15normal_iteratorINS6_10device_ptrIjEEEENSD_INSE_IS9_EEEEjNS0_19identity_decomposerEEE10hipError_tT1_T2_PT3_SN_jT4_jjP12ihipStream_tbEUlT_E_NS1_11comp_targetILNS1_3genE9ELNS1_11target_archE1100ELNS1_3gpuE3ELNS1_3repE0EEENS1_52radix_sort_onesweep_histogram_config_static_selectorELNS0_4arch9wavefront6targetE0EEEvSL_
                                        ; -- End function
	.set _ZN7rocprim17ROCPRIM_400000_NS6detail17trampoline_kernelINS0_14default_configENS1_35radix_sort_onesweep_config_selectorIjN6thrust23THRUST_200600_302600_NS5tupleIffNS6_9null_typeES8_S8_S8_S8_S8_S8_S8_EEEEZNS1_34radix_sort_onesweep_global_offsetsIS3_Lb0ENS6_6detail15normal_iteratorINS6_10device_ptrIjEEEENSD_INSE_IS9_EEEEjNS0_19identity_decomposerEEE10hipError_tT1_T2_PT3_SN_jT4_jjP12ihipStream_tbEUlT_E_NS1_11comp_targetILNS1_3genE9ELNS1_11target_archE1100ELNS1_3gpuE3ELNS1_3repE0EEENS1_52radix_sort_onesweep_histogram_config_static_selectorELNS0_4arch9wavefront6targetE0EEEvSL_.num_vgpr, 0
	.set _ZN7rocprim17ROCPRIM_400000_NS6detail17trampoline_kernelINS0_14default_configENS1_35radix_sort_onesweep_config_selectorIjN6thrust23THRUST_200600_302600_NS5tupleIffNS6_9null_typeES8_S8_S8_S8_S8_S8_S8_EEEEZNS1_34radix_sort_onesweep_global_offsetsIS3_Lb0ENS6_6detail15normal_iteratorINS6_10device_ptrIjEEEENSD_INSE_IS9_EEEEjNS0_19identity_decomposerEEE10hipError_tT1_T2_PT3_SN_jT4_jjP12ihipStream_tbEUlT_E_NS1_11comp_targetILNS1_3genE9ELNS1_11target_archE1100ELNS1_3gpuE3ELNS1_3repE0EEENS1_52radix_sort_onesweep_histogram_config_static_selectorELNS0_4arch9wavefront6targetE0EEEvSL_.num_agpr, 0
	.set _ZN7rocprim17ROCPRIM_400000_NS6detail17trampoline_kernelINS0_14default_configENS1_35radix_sort_onesweep_config_selectorIjN6thrust23THRUST_200600_302600_NS5tupleIffNS6_9null_typeES8_S8_S8_S8_S8_S8_S8_EEEEZNS1_34radix_sort_onesweep_global_offsetsIS3_Lb0ENS6_6detail15normal_iteratorINS6_10device_ptrIjEEEENSD_INSE_IS9_EEEEjNS0_19identity_decomposerEEE10hipError_tT1_T2_PT3_SN_jT4_jjP12ihipStream_tbEUlT_E_NS1_11comp_targetILNS1_3genE9ELNS1_11target_archE1100ELNS1_3gpuE3ELNS1_3repE0EEENS1_52radix_sort_onesweep_histogram_config_static_selectorELNS0_4arch9wavefront6targetE0EEEvSL_.numbered_sgpr, 0
	.set _ZN7rocprim17ROCPRIM_400000_NS6detail17trampoline_kernelINS0_14default_configENS1_35radix_sort_onesweep_config_selectorIjN6thrust23THRUST_200600_302600_NS5tupleIffNS6_9null_typeES8_S8_S8_S8_S8_S8_S8_EEEEZNS1_34radix_sort_onesweep_global_offsetsIS3_Lb0ENS6_6detail15normal_iteratorINS6_10device_ptrIjEEEENSD_INSE_IS9_EEEEjNS0_19identity_decomposerEEE10hipError_tT1_T2_PT3_SN_jT4_jjP12ihipStream_tbEUlT_E_NS1_11comp_targetILNS1_3genE9ELNS1_11target_archE1100ELNS1_3gpuE3ELNS1_3repE0EEENS1_52radix_sort_onesweep_histogram_config_static_selectorELNS0_4arch9wavefront6targetE0EEEvSL_.num_named_barrier, 0
	.set _ZN7rocprim17ROCPRIM_400000_NS6detail17trampoline_kernelINS0_14default_configENS1_35radix_sort_onesweep_config_selectorIjN6thrust23THRUST_200600_302600_NS5tupleIffNS6_9null_typeES8_S8_S8_S8_S8_S8_S8_EEEEZNS1_34radix_sort_onesweep_global_offsetsIS3_Lb0ENS6_6detail15normal_iteratorINS6_10device_ptrIjEEEENSD_INSE_IS9_EEEEjNS0_19identity_decomposerEEE10hipError_tT1_T2_PT3_SN_jT4_jjP12ihipStream_tbEUlT_E_NS1_11comp_targetILNS1_3genE9ELNS1_11target_archE1100ELNS1_3gpuE3ELNS1_3repE0EEENS1_52radix_sort_onesweep_histogram_config_static_selectorELNS0_4arch9wavefront6targetE0EEEvSL_.private_seg_size, 0
	.set _ZN7rocprim17ROCPRIM_400000_NS6detail17trampoline_kernelINS0_14default_configENS1_35radix_sort_onesweep_config_selectorIjN6thrust23THRUST_200600_302600_NS5tupleIffNS6_9null_typeES8_S8_S8_S8_S8_S8_S8_EEEEZNS1_34radix_sort_onesweep_global_offsetsIS3_Lb0ENS6_6detail15normal_iteratorINS6_10device_ptrIjEEEENSD_INSE_IS9_EEEEjNS0_19identity_decomposerEEE10hipError_tT1_T2_PT3_SN_jT4_jjP12ihipStream_tbEUlT_E_NS1_11comp_targetILNS1_3genE9ELNS1_11target_archE1100ELNS1_3gpuE3ELNS1_3repE0EEENS1_52radix_sort_onesweep_histogram_config_static_selectorELNS0_4arch9wavefront6targetE0EEEvSL_.uses_vcc, 0
	.set _ZN7rocprim17ROCPRIM_400000_NS6detail17trampoline_kernelINS0_14default_configENS1_35radix_sort_onesweep_config_selectorIjN6thrust23THRUST_200600_302600_NS5tupleIffNS6_9null_typeES8_S8_S8_S8_S8_S8_S8_EEEEZNS1_34radix_sort_onesweep_global_offsetsIS3_Lb0ENS6_6detail15normal_iteratorINS6_10device_ptrIjEEEENSD_INSE_IS9_EEEEjNS0_19identity_decomposerEEE10hipError_tT1_T2_PT3_SN_jT4_jjP12ihipStream_tbEUlT_E_NS1_11comp_targetILNS1_3genE9ELNS1_11target_archE1100ELNS1_3gpuE3ELNS1_3repE0EEENS1_52radix_sort_onesweep_histogram_config_static_selectorELNS0_4arch9wavefront6targetE0EEEvSL_.uses_flat_scratch, 0
	.set _ZN7rocprim17ROCPRIM_400000_NS6detail17trampoline_kernelINS0_14default_configENS1_35radix_sort_onesweep_config_selectorIjN6thrust23THRUST_200600_302600_NS5tupleIffNS6_9null_typeES8_S8_S8_S8_S8_S8_S8_EEEEZNS1_34radix_sort_onesweep_global_offsetsIS3_Lb0ENS6_6detail15normal_iteratorINS6_10device_ptrIjEEEENSD_INSE_IS9_EEEEjNS0_19identity_decomposerEEE10hipError_tT1_T2_PT3_SN_jT4_jjP12ihipStream_tbEUlT_E_NS1_11comp_targetILNS1_3genE9ELNS1_11target_archE1100ELNS1_3gpuE3ELNS1_3repE0EEENS1_52radix_sort_onesweep_histogram_config_static_selectorELNS0_4arch9wavefront6targetE0EEEvSL_.has_dyn_sized_stack, 0
	.set _ZN7rocprim17ROCPRIM_400000_NS6detail17trampoline_kernelINS0_14default_configENS1_35radix_sort_onesweep_config_selectorIjN6thrust23THRUST_200600_302600_NS5tupleIffNS6_9null_typeES8_S8_S8_S8_S8_S8_S8_EEEEZNS1_34radix_sort_onesweep_global_offsetsIS3_Lb0ENS6_6detail15normal_iteratorINS6_10device_ptrIjEEEENSD_INSE_IS9_EEEEjNS0_19identity_decomposerEEE10hipError_tT1_T2_PT3_SN_jT4_jjP12ihipStream_tbEUlT_E_NS1_11comp_targetILNS1_3genE9ELNS1_11target_archE1100ELNS1_3gpuE3ELNS1_3repE0EEENS1_52radix_sort_onesweep_histogram_config_static_selectorELNS0_4arch9wavefront6targetE0EEEvSL_.has_recursion, 0
	.set _ZN7rocprim17ROCPRIM_400000_NS6detail17trampoline_kernelINS0_14default_configENS1_35radix_sort_onesweep_config_selectorIjN6thrust23THRUST_200600_302600_NS5tupleIffNS6_9null_typeES8_S8_S8_S8_S8_S8_S8_EEEEZNS1_34radix_sort_onesweep_global_offsetsIS3_Lb0ENS6_6detail15normal_iteratorINS6_10device_ptrIjEEEENSD_INSE_IS9_EEEEjNS0_19identity_decomposerEEE10hipError_tT1_T2_PT3_SN_jT4_jjP12ihipStream_tbEUlT_E_NS1_11comp_targetILNS1_3genE9ELNS1_11target_archE1100ELNS1_3gpuE3ELNS1_3repE0EEENS1_52radix_sort_onesweep_histogram_config_static_selectorELNS0_4arch9wavefront6targetE0EEEvSL_.has_indirect_call, 0
	.section	.AMDGPU.csdata,"",@progbits
; Kernel info:
; codeLenInByte = 0
; TotalNumSgprs: 0
; NumVgprs: 0
; ScratchSize: 0
; MemoryBound: 0
; FloatMode: 240
; IeeeMode: 1
; LDSByteSize: 0 bytes/workgroup (compile time only)
; SGPRBlocks: 0
; VGPRBlocks: 0
; NumSGPRsForWavesPerEU: 1
; NumVGPRsForWavesPerEU: 1
; NamedBarCnt: 0
; Occupancy: 16
; WaveLimiterHint : 0
; COMPUTE_PGM_RSRC2:SCRATCH_EN: 0
; COMPUTE_PGM_RSRC2:USER_SGPR: 2
; COMPUTE_PGM_RSRC2:TRAP_HANDLER: 0
; COMPUTE_PGM_RSRC2:TGID_X_EN: 1
; COMPUTE_PGM_RSRC2:TGID_Y_EN: 0
; COMPUTE_PGM_RSRC2:TGID_Z_EN: 0
; COMPUTE_PGM_RSRC2:TIDIG_COMP_CNT: 0
	.section	.text._ZN7rocprim17ROCPRIM_400000_NS6detail17trampoline_kernelINS0_14default_configENS1_35radix_sort_onesweep_config_selectorIjN6thrust23THRUST_200600_302600_NS5tupleIffNS6_9null_typeES8_S8_S8_S8_S8_S8_S8_EEEEZNS1_34radix_sort_onesweep_global_offsetsIS3_Lb0ENS6_6detail15normal_iteratorINS6_10device_ptrIjEEEENSD_INSE_IS9_EEEEjNS0_19identity_decomposerEEE10hipError_tT1_T2_PT3_SN_jT4_jjP12ihipStream_tbEUlT_E_NS1_11comp_targetILNS1_3genE8ELNS1_11target_archE1030ELNS1_3gpuE2ELNS1_3repE0EEENS1_52radix_sort_onesweep_histogram_config_static_selectorELNS0_4arch9wavefront6targetE0EEEvSL_,"axG",@progbits,_ZN7rocprim17ROCPRIM_400000_NS6detail17trampoline_kernelINS0_14default_configENS1_35radix_sort_onesweep_config_selectorIjN6thrust23THRUST_200600_302600_NS5tupleIffNS6_9null_typeES8_S8_S8_S8_S8_S8_S8_EEEEZNS1_34radix_sort_onesweep_global_offsetsIS3_Lb0ENS6_6detail15normal_iteratorINS6_10device_ptrIjEEEENSD_INSE_IS9_EEEEjNS0_19identity_decomposerEEE10hipError_tT1_T2_PT3_SN_jT4_jjP12ihipStream_tbEUlT_E_NS1_11comp_targetILNS1_3genE8ELNS1_11target_archE1030ELNS1_3gpuE2ELNS1_3repE0EEENS1_52radix_sort_onesweep_histogram_config_static_selectorELNS0_4arch9wavefront6targetE0EEEvSL_,comdat
	.protected	_ZN7rocprim17ROCPRIM_400000_NS6detail17trampoline_kernelINS0_14default_configENS1_35radix_sort_onesweep_config_selectorIjN6thrust23THRUST_200600_302600_NS5tupleIffNS6_9null_typeES8_S8_S8_S8_S8_S8_S8_EEEEZNS1_34radix_sort_onesweep_global_offsetsIS3_Lb0ENS6_6detail15normal_iteratorINS6_10device_ptrIjEEEENSD_INSE_IS9_EEEEjNS0_19identity_decomposerEEE10hipError_tT1_T2_PT3_SN_jT4_jjP12ihipStream_tbEUlT_E_NS1_11comp_targetILNS1_3genE8ELNS1_11target_archE1030ELNS1_3gpuE2ELNS1_3repE0EEENS1_52radix_sort_onesweep_histogram_config_static_selectorELNS0_4arch9wavefront6targetE0EEEvSL_ ; -- Begin function _ZN7rocprim17ROCPRIM_400000_NS6detail17trampoline_kernelINS0_14default_configENS1_35radix_sort_onesweep_config_selectorIjN6thrust23THRUST_200600_302600_NS5tupleIffNS6_9null_typeES8_S8_S8_S8_S8_S8_S8_EEEEZNS1_34radix_sort_onesweep_global_offsetsIS3_Lb0ENS6_6detail15normal_iteratorINS6_10device_ptrIjEEEENSD_INSE_IS9_EEEEjNS0_19identity_decomposerEEE10hipError_tT1_T2_PT3_SN_jT4_jjP12ihipStream_tbEUlT_E_NS1_11comp_targetILNS1_3genE8ELNS1_11target_archE1030ELNS1_3gpuE2ELNS1_3repE0EEENS1_52radix_sort_onesweep_histogram_config_static_selectorELNS0_4arch9wavefront6targetE0EEEvSL_
	.globl	_ZN7rocprim17ROCPRIM_400000_NS6detail17trampoline_kernelINS0_14default_configENS1_35radix_sort_onesweep_config_selectorIjN6thrust23THRUST_200600_302600_NS5tupleIffNS6_9null_typeES8_S8_S8_S8_S8_S8_S8_EEEEZNS1_34radix_sort_onesweep_global_offsetsIS3_Lb0ENS6_6detail15normal_iteratorINS6_10device_ptrIjEEEENSD_INSE_IS9_EEEEjNS0_19identity_decomposerEEE10hipError_tT1_T2_PT3_SN_jT4_jjP12ihipStream_tbEUlT_E_NS1_11comp_targetILNS1_3genE8ELNS1_11target_archE1030ELNS1_3gpuE2ELNS1_3repE0EEENS1_52radix_sort_onesweep_histogram_config_static_selectorELNS0_4arch9wavefront6targetE0EEEvSL_
	.p2align	8
	.type	_ZN7rocprim17ROCPRIM_400000_NS6detail17trampoline_kernelINS0_14default_configENS1_35radix_sort_onesweep_config_selectorIjN6thrust23THRUST_200600_302600_NS5tupleIffNS6_9null_typeES8_S8_S8_S8_S8_S8_S8_EEEEZNS1_34radix_sort_onesweep_global_offsetsIS3_Lb0ENS6_6detail15normal_iteratorINS6_10device_ptrIjEEEENSD_INSE_IS9_EEEEjNS0_19identity_decomposerEEE10hipError_tT1_T2_PT3_SN_jT4_jjP12ihipStream_tbEUlT_E_NS1_11comp_targetILNS1_3genE8ELNS1_11target_archE1030ELNS1_3gpuE2ELNS1_3repE0EEENS1_52radix_sort_onesweep_histogram_config_static_selectorELNS0_4arch9wavefront6targetE0EEEvSL_,@function
_ZN7rocprim17ROCPRIM_400000_NS6detail17trampoline_kernelINS0_14default_configENS1_35radix_sort_onesweep_config_selectorIjN6thrust23THRUST_200600_302600_NS5tupleIffNS6_9null_typeES8_S8_S8_S8_S8_S8_S8_EEEEZNS1_34radix_sort_onesweep_global_offsetsIS3_Lb0ENS6_6detail15normal_iteratorINS6_10device_ptrIjEEEENSD_INSE_IS9_EEEEjNS0_19identity_decomposerEEE10hipError_tT1_T2_PT3_SN_jT4_jjP12ihipStream_tbEUlT_E_NS1_11comp_targetILNS1_3genE8ELNS1_11target_archE1030ELNS1_3gpuE2ELNS1_3repE0EEENS1_52radix_sort_onesweep_histogram_config_static_selectorELNS0_4arch9wavefront6targetE0EEEvSL_: ; @_ZN7rocprim17ROCPRIM_400000_NS6detail17trampoline_kernelINS0_14default_configENS1_35radix_sort_onesweep_config_selectorIjN6thrust23THRUST_200600_302600_NS5tupleIffNS6_9null_typeES8_S8_S8_S8_S8_S8_S8_EEEEZNS1_34radix_sort_onesweep_global_offsetsIS3_Lb0ENS6_6detail15normal_iteratorINS6_10device_ptrIjEEEENSD_INSE_IS9_EEEEjNS0_19identity_decomposerEEE10hipError_tT1_T2_PT3_SN_jT4_jjP12ihipStream_tbEUlT_E_NS1_11comp_targetILNS1_3genE8ELNS1_11target_archE1030ELNS1_3gpuE2ELNS1_3repE0EEENS1_52radix_sort_onesweep_histogram_config_static_selectorELNS0_4arch9wavefront6targetE0EEEvSL_
; %bb.0:
	.section	.rodata,"a",@progbits
	.p2align	6, 0x0
	.amdhsa_kernel _ZN7rocprim17ROCPRIM_400000_NS6detail17trampoline_kernelINS0_14default_configENS1_35radix_sort_onesweep_config_selectorIjN6thrust23THRUST_200600_302600_NS5tupleIffNS6_9null_typeES8_S8_S8_S8_S8_S8_S8_EEEEZNS1_34radix_sort_onesweep_global_offsetsIS3_Lb0ENS6_6detail15normal_iteratorINS6_10device_ptrIjEEEENSD_INSE_IS9_EEEEjNS0_19identity_decomposerEEE10hipError_tT1_T2_PT3_SN_jT4_jjP12ihipStream_tbEUlT_E_NS1_11comp_targetILNS1_3genE8ELNS1_11target_archE1030ELNS1_3gpuE2ELNS1_3repE0EEENS1_52radix_sort_onesweep_histogram_config_static_selectorELNS0_4arch9wavefront6targetE0EEEvSL_
		.amdhsa_group_segment_fixed_size 0
		.amdhsa_private_segment_fixed_size 0
		.amdhsa_kernarg_size 40
		.amdhsa_user_sgpr_count 2
		.amdhsa_user_sgpr_dispatch_ptr 0
		.amdhsa_user_sgpr_queue_ptr 0
		.amdhsa_user_sgpr_kernarg_segment_ptr 1
		.amdhsa_user_sgpr_dispatch_id 0
		.amdhsa_user_sgpr_kernarg_preload_length 0
		.amdhsa_user_sgpr_kernarg_preload_offset 0
		.amdhsa_user_sgpr_private_segment_size 0
		.amdhsa_wavefront_size32 1
		.amdhsa_uses_dynamic_stack 0
		.amdhsa_enable_private_segment 0
		.amdhsa_system_sgpr_workgroup_id_x 1
		.amdhsa_system_sgpr_workgroup_id_y 0
		.amdhsa_system_sgpr_workgroup_id_z 0
		.amdhsa_system_sgpr_workgroup_info 0
		.amdhsa_system_vgpr_workitem_id 0
		.amdhsa_next_free_vgpr 1
		.amdhsa_next_free_sgpr 1
		.amdhsa_named_barrier_count 0
		.amdhsa_reserve_vcc 0
		.amdhsa_float_round_mode_32 0
		.amdhsa_float_round_mode_16_64 0
		.amdhsa_float_denorm_mode_32 3
		.amdhsa_float_denorm_mode_16_64 3
		.amdhsa_fp16_overflow 0
		.amdhsa_memory_ordered 1
		.amdhsa_forward_progress 1
		.amdhsa_inst_pref_size 0
		.amdhsa_round_robin_scheduling 0
		.amdhsa_exception_fp_ieee_invalid_op 0
		.amdhsa_exception_fp_denorm_src 0
		.amdhsa_exception_fp_ieee_div_zero 0
		.amdhsa_exception_fp_ieee_overflow 0
		.amdhsa_exception_fp_ieee_underflow 0
		.amdhsa_exception_fp_ieee_inexact 0
		.amdhsa_exception_int_div_zero 0
	.end_amdhsa_kernel
	.section	.text._ZN7rocprim17ROCPRIM_400000_NS6detail17trampoline_kernelINS0_14default_configENS1_35radix_sort_onesweep_config_selectorIjN6thrust23THRUST_200600_302600_NS5tupleIffNS6_9null_typeES8_S8_S8_S8_S8_S8_S8_EEEEZNS1_34radix_sort_onesweep_global_offsetsIS3_Lb0ENS6_6detail15normal_iteratorINS6_10device_ptrIjEEEENSD_INSE_IS9_EEEEjNS0_19identity_decomposerEEE10hipError_tT1_T2_PT3_SN_jT4_jjP12ihipStream_tbEUlT_E_NS1_11comp_targetILNS1_3genE8ELNS1_11target_archE1030ELNS1_3gpuE2ELNS1_3repE0EEENS1_52radix_sort_onesweep_histogram_config_static_selectorELNS0_4arch9wavefront6targetE0EEEvSL_,"axG",@progbits,_ZN7rocprim17ROCPRIM_400000_NS6detail17trampoline_kernelINS0_14default_configENS1_35radix_sort_onesweep_config_selectorIjN6thrust23THRUST_200600_302600_NS5tupleIffNS6_9null_typeES8_S8_S8_S8_S8_S8_S8_EEEEZNS1_34radix_sort_onesweep_global_offsetsIS3_Lb0ENS6_6detail15normal_iteratorINS6_10device_ptrIjEEEENSD_INSE_IS9_EEEEjNS0_19identity_decomposerEEE10hipError_tT1_T2_PT3_SN_jT4_jjP12ihipStream_tbEUlT_E_NS1_11comp_targetILNS1_3genE8ELNS1_11target_archE1030ELNS1_3gpuE2ELNS1_3repE0EEENS1_52radix_sort_onesweep_histogram_config_static_selectorELNS0_4arch9wavefront6targetE0EEEvSL_,comdat
.Lfunc_end147:
	.size	_ZN7rocprim17ROCPRIM_400000_NS6detail17trampoline_kernelINS0_14default_configENS1_35radix_sort_onesweep_config_selectorIjN6thrust23THRUST_200600_302600_NS5tupleIffNS6_9null_typeES8_S8_S8_S8_S8_S8_S8_EEEEZNS1_34radix_sort_onesweep_global_offsetsIS3_Lb0ENS6_6detail15normal_iteratorINS6_10device_ptrIjEEEENSD_INSE_IS9_EEEEjNS0_19identity_decomposerEEE10hipError_tT1_T2_PT3_SN_jT4_jjP12ihipStream_tbEUlT_E_NS1_11comp_targetILNS1_3genE8ELNS1_11target_archE1030ELNS1_3gpuE2ELNS1_3repE0EEENS1_52radix_sort_onesweep_histogram_config_static_selectorELNS0_4arch9wavefront6targetE0EEEvSL_, .Lfunc_end147-_ZN7rocprim17ROCPRIM_400000_NS6detail17trampoline_kernelINS0_14default_configENS1_35radix_sort_onesweep_config_selectorIjN6thrust23THRUST_200600_302600_NS5tupleIffNS6_9null_typeES8_S8_S8_S8_S8_S8_S8_EEEEZNS1_34radix_sort_onesweep_global_offsetsIS3_Lb0ENS6_6detail15normal_iteratorINS6_10device_ptrIjEEEENSD_INSE_IS9_EEEEjNS0_19identity_decomposerEEE10hipError_tT1_T2_PT3_SN_jT4_jjP12ihipStream_tbEUlT_E_NS1_11comp_targetILNS1_3genE8ELNS1_11target_archE1030ELNS1_3gpuE2ELNS1_3repE0EEENS1_52radix_sort_onesweep_histogram_config_static_selectorELNS0_4arch9wavefront6targetE0EEEvSL_
                                        ; -- End function
	.set _ZN7rocprim17ROCPRIM_400000_NS6detail17trampoline_kernelINS0_14default_configENS1_35radix_sort_onesweep_config_selectorIjN6thrust23THRUST_200600_302600_NS5tupleIffNS6_9null_typeES8_S8_S8_S8_S8_S8_S8_EEEEZNS1_34radix_sort_onesweep_global_offsetsIS3_Lb0ENS6_6detail15normal_iteratorINS6_10device_ptrIjEEEENSD_INSE_IS9_EEEEjNS0_19identity_decomposerEEE10hipError_tT1_T2_PT3_SN_jT4_jjP12ihipStream_tbEUlT_E_NS1_11comp_targetILNS1_3genE8ELNS1_11target_archE1030ELNS1_3gpuE2ELNS1_3repE0EEENS1_52radix_sort_onesweep_histogram_config_static_selectorELNS0_4arch9wavefront6targetE0EEEvSL_.num_vgpr, 0
	.set _ZN7rocprim17ROCPRIM_400000_NS6detail17trampoline_kernelINS0_14default_configENS1_35radix_sort_onesweep_config_selectorIjN6thrust23THRUST_200600_302600_NS5tupleIffNS6_9null_typeES8_S8_S8_S8_S8_S8_S8_EEEEZNS1_34radix_sort_onesweep_global_offsetsIS3_Lb0ENS6_6detail15normal_iteratorINS6_10device_ptrIjEEEENSD_INSE_IS9_EEEEjNS0_19identity_decomposerEEE10hipError_tT1_T2_PT3_SN_jT4_jjP12ihipStream_tbEUlT_E_NS1_11comp_targetILNS1_3genE8ELNS1_11target_archE1030ELNS1_3gpuE2ELNS1_3repE0EEENS1_52radix_sort_onesweep_histogram_config_static_selectorELNS0_4arch9wavefront6targetE0EEEvSL_.num_agpr, 0
	.set _ZN7rocprim17ROCPRIM_400000_NS6detail17trampoline_kernelINS0_14default_configENS1_35radix_sort_onesweep_config_selectorIjN6thrust23THRUST_200600_302600_NS5tupleIffNS6_9null_typeES8_S8_S8_S8_S8_S8_S8_EEEEZNS1_34radix_sort_onesweep_global_offsetsIS3_Lb0ENS6_6detail15normal_iteratorINS6_10device_ptrIjEEEENSD_INSE_IS9_EEEEjNS0_19identity_decomposerEEE10hipError_tT1_T2_PT3_SN_jT4_jjP12ihipStream_tbEUlT_E_NS1_11comp_targetILNS1_3genE8ELNS1_11target_archE1030ELNS1_3gpuE2ELNS1_3repE0EEENS1_52radix_sort_onesweep_histogram_config_static_selectorELNS0_4arch9wavefront6targetE0EEEvSL_.numbered_sgpr, 0
	.set _ZN7rocprim17ROCPRIM_400000_NS6detail17trampoline_kernelINS0_14default_configENS1_35radix_sort_onesweep_config_selectorIjN6thrust23THRUST_200600_302600_NS5tupleIffNS6_9null_typeES8_S8_S8_S8_S8_S8_S8_EEEEZNS1_34radix_sort_onesweep_global_offsetsIS3_Lb0ENS6_6detail15normal_iteratorINS6_10device_ptrIjEEEENSD_INSE_IS9_EEEEjNS0_19identity_decomposerEEE10hipError_tT1_T2_PT3_SN_jT4_jjP12ihipStream_tbEUlT_E_NS1_11comp_targetILNS1_3genE8ELNS1_11target_archE1030ELNS1_3gpuE2ELNS1_3repE0EEENS1_52radix_sort_onesweep_histogram_config_static_selectorELNS0_4arch9wavefront6targetE0EEEvSL_.num_named_barrier, 0
	.set _ZN7rocprim17ROCPRIM_400000_NS6detail17trampoline_kernelINS0_14default_configENS1_35radix_sort_onesweep_config_selectorIjN6thrust23THRUST_200600_302600_NS5tupleIffNS6_9null_typeES8_S8_S8_S8_S8_S8_S8_EEEEZNS1_34radix_sort_onesweep_global_offsetsIS3_Lb0ENS6_6detail15normal_iteratorINS6_10device_ptrIjEEEENSD_INSE_IS9_EEEEjNS0_19identity_decomposerEEE10hipError_tT1_T2_PT3_SN_jT4_jjP12ihipStream_tbEUlT_E_NS1_11comp_targetILNS1_3genE8ELNS1_11target_archE1030ELNS1_3gpuE2ELNS1_3repE0EEENS1_52radix_sort_onesweep_histogram_config_static_selectorELNS0_4arch9wavefront6targetE0EEEvSL_.private_seg_size, 0
	.set _ZN7rocprim17ROCPRIM_400000_NS6detail17trampoline_kernelINS0_14default_configENS1_35radix_sort_onesweep_config_selectorIjN6thrust23THRUST_200600_302600_NS5tupleIffNS6_9null_typeES8_S8_S8_S8_S8_S8_S8_EEEEZNS1_34radix_sort_onesweep_global_offsetsIS3_Lb0ENS6_6detail15normal_iteratorINS6_10device_ptrIjEEEENSD_INSE_IS9_EEEEjNS0_19identity_decomposerEEE10hipError_tT1_T2_PT3_SN_jT4_jjP12ihipStream_tbEUlT_E_NS1_11comp_targetILNS1_3genE8ELNS1_11target_archE1030ELNS1_3gpuE2ELNS1_3repE0EEENS1_52radix_sort_onesweep_histogram_config_static_selectorELNS0_4arch9wavefront6targetE0EEEvSL_.uses_vcc, 0
	.set _ZN7rocprim17ROCPRIM_400000_NS6detail17trampoline_kernelINS0_14default_configENS1_35radix_sort_onesweep_config_selectorIjN6thrust23THRUST_200600_302600_NS5tupleIffNS6_9null_typeES8_S8_S8_S8_S8_S8_S8_EEEEZNS1_34radix_sort_onesweep_global_offsetsIS3_Lb0ENS6_6detail15normal_iteratorINS6_10device_ptrIjEEEENSD_INSE_IS9_EEEEjNS0_19identity_decomposerEEE10hipError_tT1_T2_PT3_SN_jT4_jjP12ihipStream_tbEUlT_E_NS1_11comp_targetILNS1_3genE8ELNS1_11target_archE1030ELNS1_3gpuE2ELNS1_3repE0EEENS1_52radix_sort_onesweep_histogram_config_static_selectorELNS0_4arch9wavefront6targetE0EEEvSL_.uses_flat_scratch, 0
	.set _ZN7rocprim17ROCPRIM_400000_NS6detail17trampoline_kernelINS0_14default_configENS1_35radix_sort_onesweep_config_selectorIjN6thrust23THRUST_200600_302600_NS5tupleIffNS6_9null_typeES8_S8_S8_S8_S8_S8_S8_EEEEZNS1_34radix_sort_onesweep_global_offsetsIS3_Lb0ENS6_6detail15normal_iteratorINS6_10device_ptrIjEEEENSD_INSE_IS9_EEEEjNS0_19identity_decomposerEEE10hipError_tT1_T2_PT3_SN_jT4_jjP12ihipStream_tbEUlT_E_NS1_11comp_targetILNS1_3genE8ELNS1_11target_archE1030ELNS1_3gpuE2ELNS1_3repE0EEENS1_52radix_sort_onesweep_histogram_config_static_selectorELNS0_4arch9wavefront6targetE0EEEvSL_.has_dyn_sized_stack, 0
	.set _ZN7rocprim17ROCPRIM_400000_NS6detail17trampoline_kernelINS0_14default_configENS1_35radix_sort_onesweep_config_selectorIjN6thrust23THRUST_200600_302600_NS5tupleIffNS6_9null_typeES8_S8_S8_S8_S8_S8_S8_EEEEZNS1_34radix_sort_onesweep_global_offsetsIS3_Lb0ENS6_6detail15normal_iteratorINS6_10device_ptrIjEEEENSD_INSE_IS9_EEEEjNS0_19identity_decomposerEEE10hipError_tT1_T2_PT3_SN_jT4_jjP12ihipStream_tbEUlT_E_NS1_11comp_targetILNS1_3genE8ELNS1_11target_archE1030ELNS1_3gpuE2ELNS1_3repE0EEENS1_52radix_sort_onesweep_histogram_config_static_selectorELNS0_4arch9wavefront6targetE0EEEvSL_.has_recursion, 0
	.set _ZN7rocprim17ROCPRIM_400000_NS6detail17trampoline_kernelINS0_14default_configENS1_35radix_sort_onesweep_config_selectorIjN6thrust23THRUST_200600_302600_NS5tupleIffNS6_9null_typeES8_S8_S8_S8_S8_S8_S8_EEEEZNS1_34radix_sort_onesweep_global_offsetsIS3_Lb0ENS6_6detail15normal_iteratorINS6_10device_ptrIjEEEENSD_INSE_IS9_EEEEjNS0_19identity_decomposerEEE10hipError_tT1_T2_PT3_SN_jT4_jjP12ihipStream_tbEUlT_E_NS1_11comp_targetILNS1_3genE8ELNS1_11target_archE1030ELNS1_3gpuE2ELNS1_3repE0EEENS1_52radix_sort_onesweep_histogram_config_static_selectorELNS0_4arch9wavefront6targetE0EEEvSL_.has_indirect_call, 0
	.section	.AMDGPU.csdata,"",@progbits
; Kernel info:
; codeLenInByte = 0
; TotalNumSgprs: 0
; NumVgprs: 0
; ScratchSize: 0
; MemoryBound: 0
; FloatMode: 240
; IeeeMode: 1
; LDSByteSize: 0 bytes/workgroup (compile time only)
; SGPRBlocks: 0
; VGPRBlocks: 0
; NumSGPRsForWavesPerEU: 1
; NumVGPRsForWavesPerEU: 1
; NamedBarCnt: 0
; Occupancy: 16
; WaveLimiterHint : 0
; COMPUTE_PGM_RSRC2:SCRATCH_EN: 0
; COMPUTE_PGM_RSRC2:USER_SGPR: 2
; COMPUTE_PGM_RSRC2:TRAP_HANDLER: 0
; COMPUTE_PGM_RSRC2:TGID_X_EN: 1
; COMPUTE_PGM_RSRC2:TGID_Y_EN: 0
; COMPUTE_PGM_RSRC2:TGID_Z_EN: 0
; COMPUTE_PGM_RSRC2:TIDIG_COMP_CNT: 0
	.section	.text._ZN7rocprim17ROCPRIM_400000_NS6detail17trampoline_kernelINS0_14default_configENS1_35radix_sort_onesweep_config_selectorIjN6thrust23THRUST_200600_302600_NS5tupleIffNS6_9null_typeES8_S8_S8_S8_S8_S8_S8_EEEEZNS1_34radix_sort_onesweep_global_offsetsIS3_Lb0ENS6_6detail15normal_iteratorINS6_10device_ptrIjEEEENSD_INSE_IS9_EEEEjNS0_19identity_decomposerEEE10hipError_tT1_T2_PT3_SN_jT4_jjP12ihipStream_tbEUlT_E0_NS1_11comp_targetILNS1_3genE0ELNS1_11target_archE4294967295ELNS1_3gpuE0ELNS1_3repE0EEENS1_52radix_sort_onesweep_histogram_config_static_selectorELNS0_4arch9wavefront6targetE0EEEvSL_,"axG",@progbits,_ZN7rocprim17ROCPRIM_400000_NS6detail17trampoline_kernelINS0_14default_configENS1_35radix_sort_onesweep_config_selectorIjN6thrust23THRUST_200600_302600_NS5tupleIffNS6_9null_typeES8_S8_S8_S8_S8_S8_S8_EEEEZNS1_34radix_sort_onesweep_global_offsetsIS3_Lb0ENS6_6detail15normal_iteratorINS6_10device_ptrIjEEEENSD_INSE_IS9_EEEEjNS0_19identity_decomposerEEE10hipError_tT1_T2_PT3_SN_jT4_jjP12ihipStream_tbEUlT_E0_NS1_11comp_targetILNS1_3genE0ELNS1_11target_archE4294967295ELNS1_3gpuE0ELNS1_3repE0EEENS1_52radix_sort_onesweep_histogram_config_static_selectorELNS0_4arch9wavefront6targetE0EEEvSL_,comdat
	.protected	_ZN7rocprim17ROCPRIM_400000_NS6detail17trampoline_kernelINS0_14default_configENS1_35radix_sort_onesweep_config_selectorIjN6thrust23THRUST_200600_302600_NS5tupleIffNS6_9null_typeES8_S8_S8_S8_S8_S8_S8_EEEEZNS1_34radix_sort_onesweep_global_offsetsIS3_Lb0ENS6_6detail15normal_iteratorINS6_10device_ptrIjEEEENSD_INSE_IS9_EEEEjNS0_19identity_decomposerEEE10hipError_tT1_T2_PT3_SN_jT4_jjP12ihipStream_tbEUlT_E0_NS1_11comp_targetILNS1_3genE0ELNS1_11target_archE4294967295ELNS1_3gpuE0ELNS1_3repE0EEENS1_52radix_sort_onesweep_histogram_config_static_selectorELNS0_4arch9wavefront6targetE0EEEvSL_ ; -- Begin function _ZN7rocprim17ROCPRIM_400000_NS6detail17trampoline_kernelINS0_14default_configENS1_35radix_sort_onesweep_config_selectorIjN6thrust23THRUST_200600_302600_NS5tupleIffNS6_9null_typeES8_S8_S8_S8_S8_S8_S8_EEEEZNS1_34radix_sort_onesweep_global_offsetsIS3_Lb0ENS6_6detail15normal_iteratorINS6_10device_ptrIjEEEENSD_INSE_IS9_EEEEjNS0_19identity_decomposerEEE10hipError_tT1_T2_PT3_SN_jT4_jjP12ihipStream_tbEUlT_E0_NS1_11comp_targetILNS1_3genE0ELNS1_11target_archE4294967295ELNS1_3gpuE0ELNS1_3repE0EEENS1_52radix_sort_onesweep_histogram_config_static_selectorELNS0_4arch9wavefront6targetE0EEEvSL_
	.globl	_ZN7rocprim17ROCPRIM_400000_NS6detail17trampoline_kernelINS0_14default_configENS1_35radix_sort_onesweep_config_selectorIjN6thrust23THRUST_200600_302600_NS5tupleIffNS6_9null_typeES8_S8_S8_S8_S8_S8_S8_EEEEZNS1_34radix_sort_onesweep_global_offsetsIS3_Lb0ENS6_6detail15normal_iteratorINS6_10device_ptrIjEEEENSD_INSE_IS9_EEEEjNS0_19identity_decomposerEEE10hipError_tT1_T2_PT3_SN_jT4_jjP12ihipStream_tbEUlT_E0_NS1_11comp_targetILNS1_3genE0ELNS1_11target_archE4294967295ELNS1_3gpuE0ELNS1_3repE0EEENS1_52radix_sort_onesweep_histogram_config_static_selectorELNS0_4arch9wavefront6targetE0EEEvSL_
	.p2align	8
	.type	_ZN7rocprim17ROCPRIM_400000_NS6detail17trampoline_kernelINS0_14default_configENS1_35radix_sort_onesweep_config_selectorIjN6thrust23THRUST_200600_302600_NS5tupleIffNS6_9null_typeES8_S8_S8_S8_S8_S8_S8_EEEEZNS1_34radix_sort_onesweep_global_offsetsIS3_Lb0ENS6_6detail15normal_iteratorINS6_10device_ptrIjEEEENSD_INSE_IS9_EEEEjNS0_19identity_decomposerEEE10hipError_tT1_T2_PT3_SN_jT4_jjP12ihipStream_tbEUlT_E0_NS1_11comp_targetILNS1_3genE0ELNS1_11target_archE4294967295ELNS1_3gpuE0ELNS1_3repE0EEENS1_52radix_sort_onesweep_histogram_config_static_selectorELNS0_4arch9wavefront6targetE0EEEvSL_,@function
_ZN7rocprim17ROCPRIM_400000_NS6detail17trampoline_kernelINS0_14default_configENS1_35radix_sort_onesweep_config_selectorIjN6thrust23THRUST_200600_302600_NS5tupleIffNS6_9null_typeES8_S8_S8_S8_S8_S8_S8_EEEEZNS1_34radix_sort_onesweep_global_offsetsIS3_Lb0ENS6_6detail15normal_iteratorINS6_10device_ptrIjEEEENSD_INSE_IS9_EEEEjNS0_19identity_decomposerEEE10hipError_tT1_T2_PT3_SN_jT4_jjP12ihipStream_tbEUlT_E0_NS1_11comp_targetILNS1_3genE0ELNS1_11target_archE4294967295ELNS1_3gpuE0ELNS1_3repE0EEENS1_52radix_sort_onesweep_histogram_config_static_selectorELNS0_4arch9wavefront6targetE0EEEvSL_: ; @_ZN7rocprim17ROCPRIM_400000_NS6detail17trampoline_kernelINS0_14default_configENS1_35radix_sort_onesweep_config_selectorIjN6thrust23THRUST_200600_302600_NS5tupleIffNS6_9null_typeES8_S8_S8_S8_S8_S8_S8_EEEEZNS1_34radix_sort_onesweep_global_offsetsIS3_Lb0ENS6_6detail15normal_iteratorINS6_10device_ptrIjEEEENSD_INSE_IS9_EEEEjNS0_19identity_decomposerEEE10hipError_tT1_T2_PT3_SN_jT4_jjP12ihipStream_tbEUlT_E0_NS1_11comp_targetILNS1_3genE0ELNS1_11target_archE4294967295ELNS1_3gpuE0ELNS1_3repE0EEENS1_52radix_sort_onesweep_histogram_config_static_selectorELNS0_4arch9wavefront6targetE0EEEvSL_
; %bb.0:
	s_load_b64 s[0:1], s[0:1], 0x0
	s_bfe_u32 s2, ttmp6, 0x4000c
	s_and_b32 s3, ttmp6, 15
	s_add_co_i32 s2, s2, 1
	s_getreg_b32 s4, hwreg(HW_REG_IB_STS2, 6, 4)
	s_mul_i32 s2, ttmp9, s2
	v_cmp_gt_u32_e32 vcc_lo, 0x100, v0
	s_add_co_i32 s3, s3, s2
	s_cmp_eq_u32 s4, 0
                                        ; implicit-def: $vgpr2
	s_cselect_b32 s2, ttmp9, s3
	s_mov_b32 s3, 0
	s_lshl_b32 s2, s2, 8
	s_delay_alu instid0(SALU_CYCLE_1)
	s_lshl_b64 s[2:3], s[2:3], 2
	s_wait_kmcnt 0x0
	s_add_nc_u64 s[6:7], s[0:1], s[2:3]
	s_and_saveexec_b32 s0, vcc_lo
	s_cbranch_execz .LBB148_2
; %bb.1:
	global_load_b32 v2, v0, s[6:7] scale_offset
.LBB148_2:
	s_wait_xcnt 0x0
	s_or_b32 exec_lo, exec_lo, s0
	v_mbcnt_lo_u32_b32 v1, -1, 0
	s_wait_loadcnt 0x0
	v_mov_b32_dpp v4, v2 row_shr:1 row_mask:0xf bank_mask:0xf
	v_or_b32_e32 v5, 31, v0
	s_mov_b32 s5, exec_lo
	v_and_b32_e32 v3, 15, v1
	s_delay_alu instid0(VALU_DEP_1) | instskip(NEXT) | instid1(VALU_DEP_1)
	v_cmp_eq_u32_e64 s0, 0, v3
	v_cndmask_b32_e64 v4, v4, 0, s0
	s_delay_alu instid0(VALU_DEP_1) | instskip(SKIP_3) | instid1(VALU_DEP_4)
	v_add_nc_u32_e32 v2, v4, v2
	v_cmp_lt_u32_e64 s1, 1, v3
	v_cmp_lt_u32_e64 s2, 3, v3
	;; [unrolled: 1-line block ×3, first 2 shown]
	v_mov_b32_dpp v4, v2 row_shr:2 row_mask:0xf bank_mask:0xf
	s_delay_alu instid0(VALU_DEP_1) | instskip(NEXT) | instid1(VALU_DEP_1)
	v_cndmask_b32_e64 v4, 0, v4, s1
	v_add_nc_u32_e32 v2, v2, v4
	s_delay_alu instid0(VALU_DEP_1) | instskip(NEXT) | instid1(VALU_DEP_1)
	v_mov_b32_dpp v4, v2 row_shr:4 row_mask:0xf bank_mask:0xf
	v_cndmask_b32_e64 v4, 0, v4, s2
	s_delay_alu instid0(VALU_DEP_1) | instskip(NEXT) | instid1(VALU_DEP_1)
	v_add_nc_u32_e32 v2, v2, v4
	v_mov_b32_dpp v4, v2 row_shr:8 row_mask:0xf bank_mask:0xf
	s_delay_alu instid0(VALU_DEP_1) | instskip(SKIP_1) | instid1(VALU_DEP_2)
	v_cndmask_b32_e64 v3, 0, v4, s3
	v_bfe_i32 v4, v1, 4, 1
	v_add_nc_u32_e32 v2, v2, v3
	ds_swizzle_b32 v3, v2 offset:swizzle(BROADCAST,32,15)
	s_wait_dscnt 0x0
	v_dual_lshrrev_b32 v3, 5, v0 :: v_dual_bitop2_b32 v4, v4, v3 bitop3:0x40
	s_delay_alu instid0(VALU_DEP_1)
	v_add_nc_u32_e32 v2, v2, v4
	v_cmpx_eq_u32_e64 v0, v5
; %bb.3:
	s_delay_alu instid0(VALU_DEP_3)
	v_lshlrev_b32_e32 v4, 2, v3
	ds_store_b32 v4, v2
; %bb.4:
	s_or_b32 exec_lo, exec_lo, s5
	s_delay_alu instid0(SALU_CYCLE_1)
	s_mov_b32 s5, exec_lo
	s_wait_dscnt 0x0
	s_barrier_signal -1
	s_barrier_wait -1
	v_cmpx_gt_u32_e32 16, v0
	s_cbranch_execz .LBB148_6
; %bb.5:
	v_lshlrev_b32_e32 v4, 2, v0
	ds_load_b32 v5, v4
	s_wait_dscnt 0x0
	v_mov_b32_dpp v6, v5 row_shr:1 row_mask:0xf bank_mask:0xf
	s_delay_alu instid0(VALU_DEP_1) | instskip(NEXT) | instid1(VALU_DEP_1)
	v_cndmask_b32_e64 v6, v6, 0, s0
	v_add_nc_u32_e32 v5, v6, v5
	s_delay_alu instid0(VALU_DEP_1) | instskip(NEXT) | instid1(VALU_DEP_1)
	v_mov_b32_dpp v6, v5 row_shr:2 row_mask:0xf bank_mask:0xf
	v_cndmask_b32_e64 v6, 0, v6, s1
	s_delay_alu instid0(VALU_DEP_1) | instskip(NEXT) | instid1(VALU_DEP_1)
	v_add_nc_u32_e32 v5, v5, v6
	v_mov_b32_dpp v6, v5 row_shr:4 row_mask:0xf bank_mask:0xf
	s_delay_alu instid0(VALU_DEP_1) | instskip(NEXT) | instid1(VALU_DEP_1)
	v_cndmask_b32_e64 v6, 0, v6, s2
	v_add_nc_u32_e32 v5, v5, v6
	s_delay_alu instid0(VALU_DEP_1) | instskip(NEXT) | instid1(VALU_DEP_1)
	v_mov_b32_dpp v6, v5 row_shr:8 row_mask:0xf bank_mask:0xf
	v_cndmask_b32_e64 v6, 0, v6, s3
	s_delay_alu instid0(VALU_DEP_1)
	v_add_nc_u32_e32 v5, v5, v6
	ds_store_b32 v4, v5
.LBB148_6:
	s_or_b32 exec_lo, exec_lo, s5
	v_mov_b32_e32 v4, 0
	s_mov_b32 s1, exec_lo
	s_wait_dscnt 0x0
	s_barrier_signal -1
	s_barrier_wait -1
	v_cmpx_lt_u32_e32 31, v0
; %bb.7:
	v_lshl_add_u32 v3, v3, 2, -4
	ds_load_b32 v4, v3
; %bb.8:
	s_or_b32 exec_lo, exec_lo, s1
	s_wait_dscnt 0x0
	v_dual_add_nc_u32 v3, -1, v1 :: v_dual_add_nc_u32 v2, v4, v2
	s_delay_alu instid0(VALU_DEP_1) | instskip(NEXT) | instid1(VALU_DEP_1)
	v_cmp_gt_i32_e64 s0, 0, v3
	v_cndmask_b32_e64 v3, v3, v1, s0
	s_delay_alu instid0(VALU_DEP_1)
	v_lshlrev_b32_e32 v3, 2, v3
	ds_bpermute_b32 v2, v3, v2
	s_and_saveexec_b32 s0, vcc_lo
	s_cbranch_execz .LBB148_10
; %bb.9:
	v_cmp_eq_u32_e32 vcc_lo, 0, v1
	s_wait_dscnt 0x0
	v_cndmask_b32_e32 v1, v2, v4, vcc_lo
	global_store_b32 v0, v1, s[6:7] scale_offset
.LBB148_10:
	s_endpgm
	.section	.rodata,"a",@progbits
	.p2align	6, 0x0
	.amdhsa_kernel _ZN7rocprim17ROCPRIM_400000_NS6detail17trampoline_kernelINS0_14default_configENS1_35radix_sort_onesweep_config_selectorIjN6thrust23THRUST_200600_302600_NS5tupleIffNS6_9null_typeES8_S8_S8_S8_S8_S8_S8_EEEEZNS1_34radix_sort_onesweep_global_offsetsIS3_Lb0ENS6_6detail15normal_iteratorINS6_10device_ptrIjEEEENSD_INSE_IS9_EEEEjNS0_19identity_decomposerEEE10hipError_tT1_T2_PT3_SN_jT4_jjP12ihipStream_tbEUlT_E0_NS1_11comp_targetILNS1_3genE0ELNS1_11target_archE4294967295ELNS1_3gpuE0ELNS1_3repE0EEENS1_52radix_sort_onesweep_histogram_config_static_selectorELNS0_4arch9wavefront6targetE0EEEvSL_
		.amdhsa_group_segment_fixed_size 64
		.amdhsa_private_segment_fixed_size 0
		.amdhsa_kernarg_size 8
		.amdhsa_user_sgpr_count 2
		.amdhsa_user_sgpr_dispatch_ptr 0
		.amdhsa_user_sgpr_queue_ptr 0
		.amdhsa_user_sgpr_kernarg_segment_ptr 1
		.amdhsa_user_sgpr_dispatch_id 0
		.amdhsa_user_sgpr_kernarg_preload_length 0
		.amdhsa_user_sgpr_kernarg_preload_offset 0
		.amdhsa_user_sgpr_private_segment_size 0
		.amdhsa_wavefront_size32 1
		.amdhsa_uses_dynamic_stack 0
		.amdhsa_enable_private_segment 0
		.amdhsa_system_sgpr_workgroup_id_x 1
		.amdhsa_system_sgpr_workgroup_id_y 0
		.amdhsa_system_sgpr_workgroup_id_z 0
		.amdhsa_system_sgpr_workgroup_info 0
		.amdhsa_system_vgpr_workitem_id 0
		.amdhsa_next_free_vgpr 7
		.amdhsa_next_free_sgpr 8
		.amdhsa_named_barrier_count 0
		.amdhsa_reserve_vcc 1
		.amdhsa_float_round_mode_32 0
		.amdhsa_float_round_mode_16_64 0
		.amdhsa_float_denorm_mode_32 3
		.amdhsa_float_denorm_mode_16_64 3
		.amdhsa_fp16_overflow 0
		.amdhsa_memory_ordered 1
		.amdhsa_forward_progress 1
		.amdhsa_inst_pref_size 5
		.amdhsa_round_robin_scheduling 0
		.amdhsa_exception_fp_ieee_invalid_op 0
		.amdhsa_exception_fp_denorm_src 0
		.amdhsa_exception_fp_ieee_div_zero 0
		.amdhsa_exception_fp_ieee_overflow 0
		.amdhsa_exception_fp_ieee_underflow 0
		.amdhsa_exception_fp_ieee_inexact 0
		.amdhsa_exception_int_div_zero 0
	.end_amdhsa_kernel
	.section	.text._ZN7rocprim17ROCPRIM_400000_NS6detail17trampoline_kernelINS0_14default_configENS1_35radix_sort_onesweep_config_selectorIjN6thrust23THRUST_200600_302600_NS5tupleIffNS6_9null_typeES8_S8_S8_S8_S8_S8_S8_EEEEZNS1_34radix_sort_onesweep_global_offsetsIS3_Lb0ENS6_6detail15normal_iteratorINS6_10device_ptrIjEEEENSD_INSE_IS9_EEEEjNS0_19identity_decomposerEEE10hipError_tT1_T2_PT3_SN_jT4_jjP12ihipStream_tbEUlT_E0_NS1_11comp_targetILNS1_3genE0ELNS1_11target_archE4294967295ELNS1_3gpuE0ELNS1_3repE0EEENS1_52radix_sort_onesweep_histogram_config_static_selectorELNS0_4arch9wavefront6targetE0EEEvSL_,"axG",@progbits,_ZN7rocprim17ROCPRIM_400000_NS6detail17trampoline_kernelINS0_14default_configENS1_35radix_sort_onesweep_config_selectorIjN6thrust23THRUST_200600_302600_NS5tupleIffNS6_9null_typeES8_S8_S8_S8_S8_S8_S8_EEEEZNS1_34radix_sort_onesweep_global_offsetsIS3_Lb0ENS6_6detail15normal_iteratorINS6_10device_ptrIjEEEENSD_INSE_IS9_EEEEjNS0_19identity_decomposerEEE10hipError_tT1_T2_PT3_SN_jT4_jjP12ihipStream_tbEUlT_E0_NS1_11comp_targetILNS1_3genE0ELNS1_11target_archE4294967295ELNS1_3gpuE0ELNS1_3repE0EEENS1_52radix_sort_onesweep_histogram_config_static_selectorELNS0_4arch9wavefront6targetE0EEEvSL_,comdat
.Lfunc_end148:
	.size	_ZN7rocprim17ROCPRIM_400000_NS6detail17trampoline_kernelINS0_14default_configENS1_35radix_sort_onesweep_config_selectorIjN6thrust23THRUST_200600_302600_NS5tupleIffNS6_9null_typeES8_S8_S8_S8_S8_S8_S8_EEEEZNS1_34radix_sort_onesweep_global_offsetsIS3_Lb0ENS6_6detail15normal_iteratorINS6_10device_ptrIjEEEENSD_INSE_IS9_EEEEjNS0_19identity_decomposerEEE10hipError_tT1_T2_PT3_SN_jT4_jjP12ihipStream_tbEUlT_E0_NS1_11comp_targetILNS1_3genE0ELNS1_11target_archE4294967295ELNS1_3gpuE0ELNS1_3repE0EEENS1_52radix_sort_onesweep_histogram_config_static_selectorELNS0_4arch9wavefront6targetE0EEEvSL_, .Lfunc_end148-_ZN7rocprim17ROCPRIM_400000_NS6detail17trampoline_kernelINS0_14default_configENS1_35radix_sort_onesweep_config_selectorIjN6thrust23THRUST_200600_302600_NS5tupleIffNS6_9null_typeES8_S8_S8_S8_S8_S8_S8_EEEEZNS1_34radix_sort_onesweep_global_offsetsIS3_Lb0ENS6_6detail15normal_iteratorINS6_10device_ptrIjEEEENSD_INSE_IS9_EEEEjNS0_19identity_decomposerEEE10hipError_tT1_T2_PT3_SN_jT4_jjP12ihipStream_tbEUlT_E0_NS1_11comp_targetILNS1_3genE0ELNS1_11target_archE4294967295ELNS1_3gpuE0ELNS1_3repE0EEENS1_52radix_sort_onesweep_histogram_config_static_selectorELNS0_4arch9wavefront6targetE0EEEvSL_
                                        ; -- End function
	.set _ZN7rocprim17ROCPRIM_400000_NS6detail17trampoline_kernelINS0_14default_configENS1_35radix_sort_onesweep_config_selectorIjN6thrust23THRUST_200600_302600_NS5tupleIffNS6_9null_typeES8_S8_S8_S8_S8_S8_S8_EEEEZNS1_34radix_sort_onesweep_global_offsetsIS3_Lb0ENS6_6detail15normal_iteratorINS6_10device_ptrIjEEEENSD_INSE_IS9_EEEEjNS0_19identity_decomposerEEE10hipError_tT1_T2_PT3_SN_jT4_jjP12ihipStream_tbEUlT_E0_NS1_11comp_targetILNS1_3genE0ELNS1_11target_archE4294967295ELNS1_3gpuE0ELNS1_3repE0EEENS1_52radix_sort_onesweep_histogram_config_static_selectorELNS0_4arch9wavefront6targetE0EEEvSL_.num_vgpr, 7
	.set _ZN7rocprim17ROCPRIM_400000_NS6detail17trampoline_kernelINS0_14default_configENS1_35radix_sort_onesweep_config_selectorIjN6thrust23THRUST_200600_302600_NS5tupleIffNS6_9null_typeES8_S8_S8_S8_S8_S8_S8_EEEEZNS1_34radix_sort_onesweep_global_offsetsIS3_Lb0ENS6_6detail15normal_iteratorINS6_10device_ptrIjEEEENSD_INSE_IS9_EEEEjNS0_19identity_decomposerEEE10hipError_tT1_T2_PT3_SN_jT4_jjP12ihipStream_tbEUlT_E0_NS1_11comp_targetILNS1_3genE0ELNS1_11target_archE4294967295ELNS1_3gpuE0ELNS1_3repE0EEENS1_52radix_sort_onesweep_histogram_config_static_selectorELNS0_4arch9wavefront6targetE0EEEvSL_.num_agpr, 0
	.set _ZN7rocprim17ROCPRIM_400000_NS6detail17trampoline_kernelINS0_14default_configENS1_35radix_sort_onesweep_config_selectorIjN6thrust23THRUST_200600_302600_NS5tupleIffNS6_9null_typeES8_S8_S8_S8_S8_S8_S8_EEEEZNS1_34radix_sort_onesweep_global_offsetsIS3_Lb0ENS6_6detail15normal_iteratorINS6_10device_ptrIjEEEENSD_INSE_IS9_EEEEjNS0_19identity_decomposerEEE10hipError_tT1_T2_PT3_SN_jT4_jjP12ihipStream_tbEUlT_E0_NS1_11comp_targetILNS1_3genE0ELNS1_11target_archE4294967295ELNS1_3gpuE0ELNS1_3repE0EEENS1_52radix_sort_onesweep_histogram_config_static_selectorELNS0_4arch9wavefront6targetE0EEEvSL_.numbered_sgpr, 8
	.set _ZN7rocprim17ROCPRIM_400000_NS6detail17trampoline_kernelINS0_14default_configENS1_35radix_sort_onesweep_config_selectorIjN6thrust23THRUST_200600_302600_NS5tupleIffNS6_9null_typeES8_S8_S8_S8_S8_S8_S8_EEEEZNS1_34radix_sort_onesweep_global_offsetsIS3_Lb0ENS6_6detail15normal_iteratorINS6_10device_ptrIjEEEENSD_INSE_IS9_EEEEjNS0_19identity_decomposerEEE10hipError_tT1_T2_PT3_SN_jT4_jjP12ihipStream_tbEUlT_E0_NS1_11comp_targetILNS1_3genE0ELNS1_11target_archE4294967295ELNS1_3gpuE0ELNS1_3repE0EEENS1_52radix_sort_onesweep_histogram_config_static_selectorELNS0_4arch9wavefront6targetE0EEEvSL_.num_named_barrier, 0
	.set _ZN7rocprim17ROCPRIM_400000_NS6detail17trampoline_kernelINS0_14default_configENS1_35radix_sort_onesweep_config_selectorIjN6thrust23THRUST_200600_302600_NS5tupleIffNS6_9null_typeES8_S8_S8_S8_S8_S8_S8_EEEEZNS1_34radix_sort_onesweep_global_offsetsIS3_Lb0ENS6_6detail15normal_iteratorINS6_10device_ptrIjEEEENSD_INSE_IS9_EEEEjNS0_19identity_decomposerEEE10hipError_tT1_T2_PT3_SN_jT4_jjP12ihipStream_tbEUlT_E0_NS1_11comp_targetILNS1_3genE0ELNS1_11target_archE4294967295ELNS1_3gpuE0ELNS1_3repE0EEENS1_52radix_sort_onesweep_histogram_config_static_selectorELNS0_4arch9wavefront6targetE0EEEvSL_.private_seg_size, 0
	.set _ZN7rocprim17ROCPRIM_400000_NS6detail17trampoline_kernelINS0_14default_configENS1_35radix_sort_onesweep_config_selectorIjN6thrust23THRUST_200600_302600_NS5tupleIffNS6_9null_typeES8_S8_S8_S8_S8_S8_S8_EEEEZNS1_34radix_sort_onesweep_global_offsetsIS3_Lb0ENS6_6detail15normal_iteratorINS6_10device_ptrIjEEEENSD_INSE_IS9_EEEEjNS0_19identity_decomposerEEE10hipError_tT1_T2_PT3_SN_jT4_jjP12ihipStream_tbEUlT_E0_NS1_11comp_targetILNS1_3genE0ELNS1_11target_archE4294967295ELNS1_3gpuE0ELNS1_3repE0EEENS1_52radix_sort_onesweep_histogram_config_static_selectorELNS0_4arch9wavefront6targetE0EEEvSL_.uses_vcc, 1
	.set _ZN7rocprim17ROCPRIM_400000_NS6detail17trampoline_kernelINS0_14default_configENS1_35radix_sort_onesweep_config_selectorIjN6thrust23THRUST_200600_302600_NS5tupleIffNS6_9null_typeES8_S8_S8_S8_S8_S8_S8_EEEEZNS1_34radix_sort_onesweep_global_offsetsIS3_Lb0ENS6_6detail15normal_iteratorINS6_10device_ptrIjEEEENSD_INSE_IS9_EEEEjNS0_19identity_decomposerEEE10hipError_tT1_T2_PT3_SN_jT4_jjP12ihipStream_tbEUlT_E0_NS1_11comp_targetILNS1_3genE0ELNS1_11target_archE4294967295ELNS1_3gpuE0ELNS1_3repE0EEENS1_52radix_sort_onesweep_histogram_config_static_selectorELNS0_4arch9wavefront6targetE0EEEvSL_.uses_flat_scratch, 0
	.set _ZN7rocprim17ROCPRIM_400000_NS6detail17trampoline_kernelINS0_14default_configENS1_35radix_sort_onesweep_config_selectorIjN6thrust23THRUST_200600_302600_NS5tupleIffNS6_9null_typeES8_S8_S8_S8_S8_S8_S8_EEEEZNS1_34radix_sort_onesweep_global_offsetsIS3_Lb0ENS6_6detail15normal_iteratorINS6_10device_ptrIjEEEENSD_INSE_IS9_EEEEjNS0_19identity_decomposerEEE10hipError_tT1_T2_PT3_SN_jT4_jjP12ihipStream_tbEUlT_E0_NS1_11comp_targetILNS1_3genE0ELNS1_11target_archE4294967295ELNS1_3gpuE0ELNS1_3repE0EEENS1_52radix_sort_onesweep_histogram_config_static_selectorELNS0_4arch9wavefront6targetE0EEEvSL_.has_dyn_sized_stack, 0
	.set _ZN7rocprim17ROCPRIM_400000_NS6detail17trampoline_kernelINS0_14default_configENS1_35radix_sort_onesweep_config_selectorIjN6thrust23THRUST_200600_302600_NS5tupleIffNS6_9null_typeES8_S8_S8_S8_S8_S8_S8_EEEEZNS1_34radix_sort_onesweep_global_offsetsIS3_Lb0ENS6_6detail15normal_iteratorINS6_10device_ptrIjEEEENSD_INSE_IS9_EEEEjNS0_19identity_decomposerEEE10hipError_tT1_T2_PT3_SN_jT4_jjP12ihipStream_tbEUlT_E0_NS1_11comp_targetILNS1_3genE0ELNS1_11target_archE4294967295ELNS1_3gpuE0ELNS1_3repE0EEENS1_52radix_sort_onesweep_histogram_config_static_selectorELNS0_4arch9wavefront6targetE0EEEvSL_.has_recursion, 0
	.set _ZN7rocprim17ROCPRIM_400000_NS6detail17trampoline_kernelINS0_14default_configENS1_35radix_sort_onesweep_config_selectorIjN6thrust23THRUST_200600_302600_NS5tupleIffNS6_9null_typeES8_S8_S8_S8_S8_S8_S8_EEEEZNS1_34radix_sort_onesweep_global_offsetsIS3_Lb0ENS6_6detail15normal_iteratorINS6_10device_ptrIjEEEENSD_INSE_IS9_EEEEjNS0_19identity_decomposerEEE10hipError_tT1_T2_PT3_SN_jT4_jjP12ihipStream_tbEUlT_E0_NS1_11comp_targetILNS1_3genE0ELNS1_11target_archE4294967295ELNS1_3gpuE0ELNS1_3repE0EEENS1_52radix_sort_onesweep_histogram_config_static_selectorELNS0_4arch9wavefront6targetE0EEEvSL_.has_indirect_call, 0
	.section	.AMDGPU.csdata,"",@progbits
; Kernel info:
; codeLenInByte = 624
; TotalNumSgprs: 10
; NumVgprs: 7
; ScratchSize: 0
; MemoryBound: 0
; FloatMode: 240
; IeeeMode: 1
; LDSByteSize: 64 bytes/workgroup (compile time only)
; SGPRBlocks: 0
; VGPRBlocks: 0
; NumSGPRsForWavesPerEU: 10
; NumVGPRsForWavesPerEU: 7
; NamedBarCnt: 0
; Occupancy: 16
; WaveLimiterHint : 0
; COMPUTE_PGM_RSRC2:SCRATCH_EN: 0
; COMPUTE_PGM_RSRC2:USER_SGPR: 2
; COMPUTE_PGM_RSRC2:TRAP_HANDLER: 0
; COMPUTE_PGM_RSRC2:TGID_X_EN: 1
; COMPUTE_PGM_RSRC2:TGID_Y_EN: 0
; COMPUTE_PGM_RSRC2:TGID_Z_EN: 0
; COMPUTE_PGM_RSRC2:TIDIG_COMP_CNT: 0
	.section	.text._ZN7rocprim17ROCPRIM_400000_NS6detail17trampoline_kernelINS0_14default_configENS1_35radix_sort_onesweep_config_selectorIjN6thrust23THRUST_200600_302600_NS5tupleIffNS6_9null_typeES8_S8_S8_S8_S8_S8_S8_EEEEZNS1_34radix_sort_onesweep_global_offsetsIS3_Lb0ENS6_6detail15normal_iteratorINS6_10device_ptrIjEEEENSD_INSE_IS9_EEEEjNS0_19identity_decomposerEEE10hipError_tT1_T2_PT3_SN_jT4_jjP12ihipStream_tbEUlT_E0_NS1_11comp_targetILNS1_3genE6ELNS1_11target_archE950ELNS1_3gpuE13ELNS1_3repE0EEENS1_52radix_sort_onesweep_histogram_config_static_selectorELNS0_4arch9wavefront6targetE0EEEvSL_,"axG",@progbits,_ZN7rocprim17ROCPRIM_400000_NS6detail17trampoline_kernelINS0_14default_configENS1_35radix_sort_onesweep_config_selectorIjN6thrust23THRUST_200600_302600_NS5tupleIffNS6_9null_typeES8_S8_S8_S8_S8_S8_S8_EEEEZNS1_34radix_sort_onesweep_global_offsetsIS3_Lb0ENS6_6detail15normal_iteratorINS6_10device_ptrIjEEEENSD_INSE_IS9_EEEEjNS0_19identity_decomposerEEE10hipError_tT1_T2_PT3_SN_jT4_jjP12ihipStream_tbEUlT_E0_NS1_11comp_targetILNS1_3genE6ELNS1_11target_archE950ELNS1_3gpuE13ELNS1_3repE0EEENS1_52radix_sort_onesweep_histogram_config_static_selectorELNS0_4arch9wavefront6targetE0EEEvSL_,comdat
	.protected	_ZN7rocprim17ROCPRIM_400000_NS6detail17trampoline_kernelINS0_14default_configENS1_35radix_sort_onesweep_config_selectorIjN6thrust23THRUST_200600_302600_NS5tupleIffNS6_9null_typeES8_S8_S8_S8_S8_S8_S8_EEEEZNS1_34radix_sort_onesweep_global_offsetsIS3_Lb0ENS6_6detail15normal_iteratorINS6_10device_ptrIjEEEENSD_INSE_IS9_EEEEjNS0_19identity_decomposerEEE10hipError_tT1_T2_PT3_SN_jT4_jjP12ihipStream_tbEUlT_E0_NS1_11comp_targetILNS1_3genE6ELNS1_11target_archE950ELNS1_3gpuE13ELNS1_3repE0EEENS1_52radix_sort_onesweep_histogram_config_static_selectorELNS0_4arch9wavefront6targetE0EEEvSL_ ; -- Begin function _ZN7rocprim17ROCPRIM_400000_NS6detail17trampoline_kernelINS0_14default_configENS1_35radix_sort_onesweep_config_selectorIjN6thrust23THRUST_200600_302600_NS5tupleIffNS6_9null_typeES8_S8_S8_S8_S8_S8_S8_EEEEZNS1_34radix_sort_onesweep_global_offsetsIS3_Lb0ENS6_6detail15normal_iteratorINS6_10device_ptrIjEEEENSD_INSE_IS9_EEEEjNS0_19identity_decomposerEEE10hipError_tT1_T2_PT3_SN_jT4_jjP12ihipStream_tbEUlT_E0_NS1_11comp_targetILNS1_3genE6ELNS1_11target_archE950ELNS1_3gpuE13ELNS1_3repE0EEENS1_52radix_sort_onesweep_histogram_config_static_selectorELNS0_4arch9wavefront6targetE0EEEvSL_
	.globl	_ZN7rocprim17ROCPRIM_400000_NS6detail17trampoline_kernelINS0_14default_configENS1_35radix_sort_onesweep_config_selectorIjN6thrust23THRUST_200600_302600_NS5tupleIffNS6_9null_typeES8_S8_S8_S8_S8_S8_S8_EEEEZNS1_34radix_sort_onesweep_global_offsetsIS3_Lb0ENS6_6detail15normal_iteratorINS6_10device_ptrIjEEEENSD_INSE_IS9_EEEEjNS0_19identity_decomposerEEE10hipError_tT1_T2_PT3_SN_jT4_jjP12ihipStream_tbEUlT_E0_NS1_11comp_targetILNS1_3genE6ELNS1_11target_archE950ELNS1_3gpuE13ELNS1_3repE0EEENS1_52radix_sort_onesweep_histogram_config_static_selectorELNS0_4arch9wavefront6targetE0EEEvSL_
	.p2align	8
	.type	_ZN7rocprim17ROCPRIM_400000_NS6detail17trampoline_kernelINS0_14default_configENS1_35radix_sort_onesweep_config_selectorIjN6thrust23THRUST_200600_302600_NS5tupleIffNS6_9null_typeES8_S8_S8_S8_S8_S8_S8_EEEEZNS1_34radix_sort_onesweep_global_offsetsIS3_Lb0ENS6_6detail15normal_iteratorINS6_10device_ptrIjEEEENSD_INSE_IS9_EEEEjNS0_19identity_decomposerEEE10hipError_tT1_T2_PT3_SN_jT4_jjP12ihipStream_tbEUlT_E0_NS1_11comp_targetILNS1_3genE6ELNS1_11target_archE950ELNS1_3gpuE13ELNS1_3repE0EEENS1_52radix_sort_onesweep_histogram_config_static_selectorELNS0_4arch9wavefront6targetE0EEEvSL_,@function
_ZN7rocprim17ROCPRIM_400000_NS6detail17trampoline_kernelINS0_14default_configENS1_35radix_sort_onesweep_config_selectorIjN6thrust23THRUST_200600_302600_NS5tupleIffNS6_9null_typeES8_S8_S8_S8_S8_S8_S8_EEEEZNS1_34radix_sort_onesweep_global_offsetsIS3_Lb0ENS6_6detail15normal_iteratorINS6_10device_ptrIjEEEENSD_INSE_IS9_EEEEjNS0_19identity_decomposerEEE10hipError_tT1_T2_PT3_SN_jT4_jjP12ihipStream_tbEUlT_E0_NS1_11comp_targetILNS1_3genE6ELNS1_11target_archE950ELNS1_3gpuE13ELNS1_3repE0EEENS1_52radix_sort_onesweep_histogram_config_static_selectorELNS0_4arch9wavefront6targetE0EEEvSL_: ; @_ZN7rocprim17ROCPRIM_400000_NS6detail17trampoline_kernelINS0_14default_configENS1_35radix_sort_onesweep_config_selectorIjN6thrust23THRUST_200600_302600_NS5tupleIffNS6_9null_typeES8_S8_S8_S8_S8_S8_S8_EEEEZNS1_34radix_sort_onesweep_global_offsetsIS3_Lb0ENS6_6detail15normal_iteratorINS6_10device_ptrIjEEEENSD_INSE_IS9_EEEEjNS0_19identity_decomposerEEE10hipError_tT1_T2_PT3_SN_jT4_jjP12ihipStream_tbEUlT_E0_NS1_11comp_targetILNS1_3genE6ELNS1_11target_archE950ELNS1_3gpuE13ELNS1_3repE0EEENS1_52radix_sort_onesweep_histogram_config_static_selectorELNS0_4arch9wavefront6targetE0EEEvSL_
; %bb.0:
	.section	.rodata,"a",@progbits
	.p2align	6, 0x0
	.amdhsa_kernel _ZN7rocprim17ROCPRIM_400000_NS6detail17trampoline_kernelINS0_14default_configENS1_35radix_sort_onesweep_config_selectorIjN6thrust23THRUST_200600_302600_NS5tupleIffNS6_9null_typeES8_S8_S8_S8_S8_S8_S8_EEEEZNS1_34radix_sort_onesweep_global_offsetsIS3_Lb0ENS6_6detail15normal_iteratorINS6_10device_ptrIjEEEENSD_INSE_IS9_EEEEjNS0_19identity_decomposerEEE10hipError_tT1_T2_PT3_SN_jT4_jjP12ihipStream_tbEUlT_E0_NS1_11comp_targetILNS1_3genE6ELNS1_11target_archE950ELNS1_3gpuE13ELNS1_3repE0EEENS1_52radix_sort_onesweep_histogram_config_static_selectorELNS0_4arch9wavefront6targetE0EEEvSL_
		.amdhsa_group_segment_fixed_size 0
		.amdhsa_private_segment_fixed_size 0
		.amdhsa_kernarg_size 8
		.amdhsa_user_sgpr_count 2
		.amdhsa_user_sgpr_dispatch_ptr 0
		.amdhsa_user_sgpr_queue_ptr 0
		.amdhsa_user_sgpr_kernarg_segment_ptr 1
		.amdhsa_user_sgpr_dispatch_id 0
		.amdhsa_user_sgpr_kernarg_preload_length 0
		.amdhsa_user_sgpr_kernarg_preload_offset 0
		.amdhsa_user_sgpr_private_segment_size 0
		.amdhsa_wavefront_size32 1
		.amdhsa_uses_dynamic_stack 0
		.amdhsa_enable_private_segment 0
		.amdhsa_system_sgpr_workgroup_id_x 1
		.amdhsa_system_sgpr_workgroup_id_y 0
		.amdhsa_system_sgpr_workgroup_id_z 0
		.amdhsa_system_sgpr_workgroup_info 0
		.amdhsa_system_vgpr_workitem_id 0
		.amdhsa_next_free_vgpr 1
		.amdhsa_next_free_sgpr 1
		.amdhsa_named_barrier_count 0
		.amdhsa_reserve_vcc 0
		.amdhsa_float_round_mode_32 0
		.amdhsa_float_round_mode_16_64 0
		.amdhsa_float_denorm_mode_32 3
		.amdhsa_float_denorm_mode_16_64 3
		.amdhsa_fp16_overflow 0
		.amdhsa_memory_ordered 1
		.amdhsa_forward_progress 1
		.amdhsa_inst_pref_size 0
		.amdhsa_round_robin_scheduling 0
		.amdhsa_exception_fp_ieee_invalid_op 0
		.amdhsa_exception_fp_denorm_src 0
		.amdhsa_exception_fp_ieee_div_zero 0
		.amdhsa_exception_fp_ieee_overflow 0
		.amdhsa_exception_fp_ieee_underflow 0
		.amdhsa_exception_fp_ieee_inexact 0
		.amdhsa_exception_int_div_zero 0
	.end_amdhsa_kernel
	.section	.text._ZN7rocprim17ROCPRIM_400000_NS6detail17trampoline_kernelINS0_14default_configENS1_35radix_sort_onesweep_config_selectorIjN6thrust23THRUST_200600_302600_NS5tupleIffNS6_9null_typeES8_S8_S8_S8_S8_S8_S8_EEEEZNS1_34radix_sort_onesweep_global_offsetsIS3_Lb0ENS6_6detail15normal_iteratorINS6_10device_ptrIjEEEENSD_INSE_IS9_EEEEjNS0_19identity_decomposerEEE10hipError_tT1_T2_PT3_SN_jT4_jjP12ihipStream_tbEUlT_E0_NS1_11comp_targetILNS1_3genE6ELNS1_11target_archE950ELNS1_3gpuE13ELNS1_3repE0EEENS1_52radix_sort_onesweep_histogram_config_static_selectorELNS0_4arch9wavefront6targetE0EEEvSL_,"axG",@progbits,_ZN7rocprim17ROCPRIM_400000_NS6detail17trampoline_kernelINS0_14default_configENS1_35radix_sort_onesweep_config_selectorIjN6thrust23THRUST_200600_302600_NS5tupleIffNS6_9null_typeES8_S8_S8_S8_S8_S8_S8_EEEEZNS1_34radix_sort_onesweep_global_offsetsIS3_Lb0ENS6_6detail15normal_iteratorINS6_10device_ptrIjEEEENSD_INSE_IS9_EEEEjNS0_19identity_decomposerEEE10hipError_tT1_T2_PT3_SN_jT4_jjP12ihipStream_tbEUlT_E0_NS1_11comp_targetILNS1_3genE6ELNS1_11target_archE950ELNS1_3gpuE13ELNS1_3repE0EEENS1_52radix_sort_onesweep_histogram_config_static_selectorELNS0_4arch9wavefront6targetE0EEEvSL_,comdat
.Lfunc_end149:
	.size	_ZN7rocprim17ROCPRIM_400000_NS6detail17trampoline_kernelINS0_14default_configENS1_35radix_sort_onesweep_config_selectorIjN6thrust23THRUST_200600_302600_NS5tupleIffNS6_9null_typeES8_S8_S8_S8_S8_S8_S8_EEEEZNS1_34radix_sort_onesweep_global_offsetsIS3_Lb0ENS6_6detail15normal_iteratorINS6_10device_ptrIjEEEENSD_INSE_IS9_EEEEjNS0_19identity_decomposerEEE10hipError_tT1_T2_PT3_SN_jT4_jjP12ihipStream_tbEUlT_E0_NS1_11comp_targetILNS1_3genE6ELNS1_11target_archE950ELNS1_3gpuE13ELNS1_3repE0EEENS1_52radix_sort_onesweep_histogram_config_static_selectorELNS0_4arch9wavefront6targetE0EEEvSL_, .Lfunc_end149-_ZN7rocprim17ROCPRIM_400000_NS6detail17trampoline_kernelINS0_14default_configENS1_35radix_sort_onesweep_config_selectorIjN6thrust23THRUST_200600_302600_NS5tupleIffNS6_9null_typeES8_S8_S8_S8_S8_S8_S8_EEEEZNS1_34radix_sort_onesweep_global_offsetsIS3_Lb0ENS6_6detail15normal_iteratorINS6_10device_ptrIjEEEENSD_INSE_IS9_EEEEjNS0_19identity_decomposerEEE10hipError_tT1_T2_PT3_SN_jT4_jjP12ihipStream_tbEUlT_E0_NS1_11comp_targetILNS1_3genE6ELNS1_11target_archE950ELNS1_3gpuE13ELNS1_3repE0EEENS1_52radix_sort_onesweep_histogram_config_static_selectorELNS0_4arch9wavefront6targetE0EEEvSL_
                                        ; -- End function
	.set _ZN7rocprim17ROCPRIM_400000_NS6detail17trampoline_kernelINS0_14default_configENS1_35radix_sort_onesweep_config_selectorIjN6thrust23THRUST_200600_302600_NS5tupleIffNS6_9null_typeES8_S8_S8_S8_S8_S8_S8_EEEEZNS1_34radix_sort_onesweep_global_offsetsIS3_Lb0ENS6_6detail15normal_iteratorINS6_10device_ptrIjEEEENSD_INSE_IS9_EEEEjNS0_19identity_decomposerEEE10hipError_tT1_T2_PT3_SN_jT4_jjP12ihipStream_tbEUlT_E0_NS1_11comp_targetILNS1_3genE6ELNS1_11target_archE950ELNS1_3gpuE13ELNS1_3repE0EEENS1_52radix_sort_onesweep_histogram_config_static_selectorELNS0_4arch9wavefront6targetE0EEEvSL_.num_vgpr, 0
	.set _ZN7rocprim17ROCPRIM_400000_NS6detail17trampoline_kernelINS0_14default_configENS1_35radix_sort_onesweep_config_selectorIjN6thrust23THRUST_200600_302600_NS5tupleIffNS6_9null_typeES8_S8_S8_S8_S8_S8_S8_EEEEZNS1_34radix_sort_onesweep_global_offsetsIS3_Lb0ENS6_6detail15normal_iteratorINS6_10device_ptrIjEEEENSD_INSE_IS9_EEEEjNS0_19identity_decomposerEEE10hipError_tT1_T2_PT3_SN_jT4_jjP12ihipStream_tbEUlT_E0_NS1_11comp_targetILNS1_3genE6ELNS1_11target_archE950ELNS1_3gpuE13ELNS1_3repE0EEENS1_52radix_sort_onesweep_histogram_config_static_selectorELNS0_4arch9wavefront6targetE0EEEvSL_.num_agpr, 0
	.set _ZN7rocprim17ROCPRIM_400000_NS6detail17trampoline_kernelINS0_14default_configENS1_35radix_sort_onesweep_config_selectorIjN6thrust23THRUST_200600_302600_NS5tupleIffNS6_9null_typeES8_S8_S8_S8_S8_S8_S8_EEEEZNS1_34radix_sort_onesweep_global_offsetsIS3_Lb0ENS6_6detail15normal_iteratorINS6_10device_ptrIjEEEENSD_INSE_IS9_EEEEjNS0_19identity_decomposerEEE10hipError_tT1_T2_PT3_SN_jT4_jjP12ihipStream_tbEUlT_E0_NS1_11comp_targetILNS1_3genE6ELNS1_11target_archE950ELNS1_3gpuE13ELNS1_3repE0EEENS1_52radix_sort_onesweep_histogram_config_static_selectorELNS0_4arch9wavefront6targetE0EEEvSL_.numbered_sgpr, 0
	.set _ZN7rocprim17ROCPRIM_400000_NS6detail17trampoline_kernelINS0_14default_configENS1_35radix_sort_onesweep_config_selectorIjN6thrust23THRUST_200600_302600_NS5tupleIffNS6_9null_typeES8_S8_S8_S8_S8_S8_S8_EEEEZNS1_34radix_sort_onesweep_global_offsetsIS3_Lb0ENS6_6detail15normal_iteratorINS6_10device_ptrIjEEEENSD_INSE_IS9_EEEEjNS0_19identity_decomposerEEE10hipError_tT1_T2_PT3_SN_jT4_jjP12ihipStream_tbEUlT_E0_NS1_11comp_targetILNS1_3genE6ELNS1_11target_archE950ELNS1_3gpuE13ELNS1_3repE0EEENS1_52radix_sort_onesweep_histogram_config_static_selectorELNS0_4arch9wavefront6targetE0EEEvSL_.num_named_barrier, 0
	.set _ZN7rocprim17ROCPRIM_400000_NS6detail17trampoline_kernelINS0_14default_configENS1_35radix_sort_onesweep_config_selectorIjN6thrust23THRUST_200600_302600_NS5tupleIffNS6_9null_typeES8_S8_S8_S8_S8_S8_S8_EEEEZNS1_34radix_sort_onesweep_global_offsetsIS3_Lb0ENS6_6detail15normal_iteratorINS6_10device_ptrIjEEEENSD_INSE_IS9_EEEEjNS0_19identity_decomposerEEE10hipError_tT1_T2_PT3_SN_jT4_jjP12ihipStream_tbEUlT_E0_NS1_11comp_targetILNS1_3genE6ELNS1_11target_archE950ELNS1_3gpuE13ELNS1_3repE0EEENS1_52radix_sort_onesweep_histogram_config_static_selectorELNS0_4arch9wavefront6targetE0EEEvSL_.private_seg_size, 0
	.set _ZN7rocprim17ROCPRIM_400000_NS6detail17trampoline_kernelINS0_14default_configENS1_35radix_sort_onesweep_config_selectorIjN6thrust23THRUST_200600_302600_NS5tupleIffNS6_9null_typeES8_S8_S8_S8_S8_S8_S8_EEEEZNS1_34radix_sort_onesweep_global_offsetsIS3_Lb0ENS6_6detail15normal_iteratorINS6_10device_ptrIjEEEENSD_INSE_IS9_EEEEjNS0_19identity_decomposerEEE10hipError_tT1_T2_PT3_SN_jT4_jjP12ihipStream_tbEUlT_E0_NS1_11comp_targetILNS1_3genE6ELNS1_11target_archE950ELNS1_3gpuE13ELNS1_3repE0EEENS1_52radix_sort_onesweep_histogram_config_static_selectorELNS0_4arch9wavefront6targetE0EEEvSL_.uses_vcc, 0
	.set _ZN7rocprim17ROCPRIM_400000_NS6detail17trampoline_kernelINS0_14default_configENS1_35radix_sort_onesweep_config_selectorIjN6thrust23THRUST_200600_302600_NS5tupleIffNS6_9null_typeES8_S8_S8_S8_S8_S8_S8_EEEEZNS1_34radix_sort_onesweep_global_offsetsIS3_Lb0ENS6_6detail15normal_iteratorINS6_10device_ptrIjEEEENSD_INSE_IS9_EEEEjNS0_19identity_decomposerEEE10hipError_tT1_T2_PT3_SN_jT4_jjP12ihipStream_tbEUlT_E0_NS1_11comp_targetILNS1_3genE6ELNS1_11target_archE950ELNS1_3gpuE13ELNS1_3repE0EEENS1_52radix_sort_onesweep_histogram_config_static_selectorELNS0_4arch9wavefront6targetE0EEEvSL_.uses_flat_scratch, 0
	.set _ZN7rocprim17ROCPRIM_400000_NS6detail17trampoline_kernelINS0_14default_configENS1_35radix_sort_onesweep_config_selectorIjN6thrust23THRUST_200600_302600_NS5tupleIffNS6_9null_typeES8_S8_S8_S8_S8_S8_S8_EEEEZNS1_34radix_sort_onesweep_global_offsetsIS3_Lb0ENS6_6detail15normal_iteratorINS6_10device_ptrIjEEEENSD_INSE_IS9_EEEEjNS0_19identity_decomposerEEE10hipError_tT1_T2_PT3_SN_jT4_jjP12ihipStream_tbEUlT_E0_NS1_11comp_targetILNS1_3genE6ELNS1_11target_archE950ELNS1_3gpuE13ELNS1_3repE0EEENS1_52radix_sort_onesweep_histogram_config_static_selectorELNS0_4arch9wavefront6targetE0EEEvSL_.has_dyn_sized_stack, 0
	.set _ZN7rocprim17ROCPRIM_400000_NS6detail17trampoline_kernelINS0_14default_configENS1_35radix_sort_onesweep_config_selectorIjN6thrust23THRUST_200600_302600_NS5tupleIffNS6_9null_typeES8_S8_S8_S8_S8_S8_S8_EEEEZNS1_34radix_sort_onesweep_global_offsetsIS3_Lb0ENS6_6detail15normal_iteratorINS6_10device_ptrIjEEEENSD_INSE_IS9_EEEEjNS0_19identity_decomposerEEE10hipError_tT1_T2_PT3_SN_jT4_jjP12ihipStream_tbEUlT_E0_NS1_11comp_targetILNS1_3genE6ELNS1_11target_archE950ELNS1_3gpuE13ELNS1_3repE0EEENS1_52radix_sort_onesweep_histogram_config_static_selectorELNS0_4arch9wavefront6targetE0EEEvSL_.has_recursion, 0
	.set _ZN7rocprim17ROCPRIM_400000_NS6detail17trampoline_kernelINS0_14default_configENS1_35radix_sort_onesweep_config_selectorIjN6thrust23THRUST_200600_302600_NS5tupleIffNS6_9null_typeES8_S8_S8_S8_S8_S8_S8_EEEEZNS1_34radix_sort_onesweep_global_offsetsIS3_Lb0ENS6_6detail15normal_iteratorINS6_10device_ptrIjEEEENSD_INSE_IS9_EEEEjNS0_19identity_decomposerEEE10hipError_tT1_T2_PT3_SN_jT4_jjP12ihipStream_tbEUlT_E0_NS1_11comp_targetILNS1_3genE6ELNS1_11target_archE950ELNS1_3gpuE13ELNS1_3repE0EEENS1_52radix_sort_onesweep_histogram_config_static_selectorELNS0_4arch9wavefront6targetE0EEEvSL_.has_indirect_call, 0
	.section	.AMDGPU.csdata,"",@progbits
; Kernel info:
; codeLenInByte = 0
; TotalNumSgprs: 0
; NumVgprs: 0
; ScratchSize: 0
; MemoryBound: 0
; FloatMode: 240
; IeeeMode: 1
; LDSByteSize: 0 bytes/workgroup (compile time only)
; SGPRBlocks: 0
; VGPRBlocks: 0
; NumSGPRsForWavesPerEU: 1
; NumVGPRsForWavesPerEU: 1
; NamedBarCnt: 0
; Occupancy: 16
; WaveLimiterHint : 0
; COMPUTE_PGM_RSRC2:SCRATCH_EN: 0
; COMPUTE_PGM_RSRC2:USER_SGPR: 2
; COMPUTE_PGM_RSRC2:TRAP_HANDLER: 0
; COMPUTE_PGM_RSRC2:TGID_X_EN: 1
; COMPUTE_PGM_RSRC2:TGID_Y_EN: 0
; COMPUTE_PGM_RSRC2:TGID_Z_EN: 0
; COMPUTE_PGM_RSRC2:TIDIG_COMP_CNT: 0
	.section	.text._ZN7rocprim17ROCPRIM_400000_NS6detail17trampoline_kernelINS0_14default_configENS1_35radix_sort_onesweep_config_selectorIjN6thrust23THRUST_200600_302600_NS5tupleIffNS6_9null_typeES8_S8_S8_S8_S8_S8_S8_EEEEZNS1_34radix_sort_onesweep_global_offsetsIS3_Lb0ENS6_6detail15normal_iteratorINS6_10device_ptrIjEEEENSD_INSE_IS9_EEEEjNS0_19identity_decomposerEEE10hipError_tT1_T2_PT3_SN_jT4_jjP12ihipStream_tbEUlT_E0_NS1_11comp_targetILNS1_3genE5ELNS1_11target_archE942ELNS1_3gpuE9ELNS1_3repE0EEENS1_52radix_sort_onesweep_histogram_config_static_selectorELNS0_4arch9wavefront6targetE0EEEvSL_,"axG",@progbits,_ZN7rocprim17ROCPRIM_400000_NS6detail17trampoline_kernelINS0_14default_configENS1_35radix_sort_onesweep_config_selectorIjN6thrust23THRUST_200600_302600_NS5tupleIffNS6_9null_typeES8_S8_S8_S8_S8_S8_S8_EEEEZNS1_34radix_sort_onesweep_global_offsetsIS3_Lb0ENS6_6detail15normal_iteratorINS6_10device_ptrIjEEEENSD_INSE_IS9_EEEEjNS0_19identity_decomposerEEE10hipError_tT1_T2_PT3_SN_jT4_jjP12ihipStream_tbEUlT_E0_NS1_11comp_targetILNS1_3genE5ELNS1_11target_archE942ELNS1_3gpuE9ELNS1_3repE0EEENS1_52radix_sort_onesweep_histogram_config_static_selectorELNS0_4arch9wavefront6targetE0EEEvSL_,comdat
	.protected	_ZN7rocprim17ROCPRIM_400000_NS6detail17trampoline_kernelINS0_14default_configENS1_35radix_sort_onesweep_config_selectorIjN6thrust23THRUST_200600_302600_NS5tupleIffNS6_9null_typeES8_S8_S8_S8_S8_S8_S8_EEEEZNS1_34radix_sort_onesweep_global_offsetsIS3_Lb0ENS6_6detail15normal_iteratorINS6_10device_ptrIjEEEENSD_INSE_IS9_EEEEjNS0_19identity_decomposerEEE10hipError_tT1_T2_PT3_SN_jT4_jjP12ihipStream_tbEUlT_E0_NS1_11comp_targetILNS1_3genE5ELNS1_11target_archE942ELNS1_3gpuE9ELNS1_3repE0EEENS1_52radix_sort_onesweep_histogram_config_static_selectorELNS0_4arch9wavefront6targetE0EEEvSL_ ; -- Begin function _ZN7rocprim17ROCPRIM_400000_NS6detail17trampoline_kernelINS0_14default_configENS1_35radix_sort_onesweep_config_selectorIjN6thrust23THRUST_200600_302600_NS5tupleIffNS6_9null_typeES8_S8_S8_S8_S8_S8_S8_EEEEZNS1_34radix_sort_onesweep_global_offsetsIS3_Lb0ENS6_6detail15normal_iteratorINS6_10device_ptrIjEEEENSD_INSE_IS9_EEEEjNS0_19identity_decomposerEEE10hipError_tT1_T2_PT3_SN_jT4_jjP12ihipStream_tbEUlT_E0_NS1_11comp_targetILNS1_3genE5ELNS1_11target_archE942ELNS1_3gpuE9ELNS1_3repE0EEENS1_52radix_sort_onesweep_histogram_config_static_selectorELNS0_4arch9wavefront6targetE0EEEvSL_
	.globl	_ZN7rocprim17ROCPRIM_400000_NS6detail17trampoline_kernelINS0_14default_configENS1_35radix_sort_onesweep_config_selectorIjN6thrust23THRUST_200600_302600_NS5tupleIffNS6_9null_typeES8_S8_S8_S8_S8_S8_S8_EEEEZNS1_34radix_sort_onesweep_global_offsetsIS3_Lb0ENS6_6detail15normal_iteratorINS6_10device_ptrIjEEEENSD_INSE_IS9_EEEEjNS0_19identity_decomposerEEE10hipError_tT1_T2_PT3_SN_jT4_jjP12ihipStream_tbEUlT_E0_NS1_11comp_targetILNS1_3genE5ELNS1_11target_archE942ELNS1_3gpuE9ELNS1_3repE0EEENS1_52radix_sort_onesweep_histogram_config_static_selectorELNS0_4arch9wavefront6targetE0EEEvSL_
	.p2align	8
	.type	_ZN7rocprim17ROCPRIM_400000_NS6detail17trampoline_kernelINS0_14default_configENS1_35radix_sort_onesweep_config_selectorIjN6thrust23THRUST_200600_302600_NS5tupleIffNS6_9null_typeES8_S8_S8_S8_S8_S8_S8_EEEEZNS1_34radix_sort_onesweep_global_offsetsIS3_Lb0ENS6_6detail15normal_iteratorINS6_10device_ptrIjEEEENSD_INSE_IS9_EEEEjNS0_19identity_decomposerEEE10hipError_tT1_T2_PT3_SN_jT4_jjP12ihipStream_tbEUlT_E0_NS1_11comp_targetILNS1_3genE5ELNS1_11target_archE942ELNS1_3gpuE9ELNS1_3repE0EEENS1_52radix_sort_onesweep_histogram_config_static_selectorELNS0_4arch9wavefront6targetE0EEEvSL_,@function
_ZN7rocprim17ROCPRIM_400000_NS6detail17trampoline_kernelINS0_14default_configENS1_35radix_sort_onesweep_config_selectorIjN6thrust23THRUST_200600_302600_NS5tupleIffNS6_9null_typeES8_S8_S8_S8_S8_S8_S8_EEEEZNS1_34radix_sort_onesweep_global_offsetsIS3_Lb0ENS6_6detail15normal_iteratorINS6_10device_ptrIjEEEENSD_INSE_IS9_EEEEjNS0_19identity_decomposerEEE10hipError_tT1_T2_PT3_SN_jT4_jjP12ihipStream_tbEUlT_E0_NS1_11comp_targetILNS1_3genE5ELNS1_11target_archE942ELNS1_3gpuE9ELNS1_3repE0EEENS1_52radix_sort_onesweep_histogram_config_static_selectorELNS0_4arch9wavefront6targetE0EEEvSL_: ; @_ZN7rocprim17ROCPRIM_400000_NS6detail17trampoline_kernelINS0_14default_configENS1_35radix_sort_onesweep_config_selectorIjN6thrust23THRUST_200600_302600_NS5tupleIffNS6_9null_typeES8_S8_S8_S8_S8_S8_S8_EEEEZNS1_34radix_sort_onesweep_global_offsetsIS3_Lb0ENS6_6detail15normal_iteratorINS6_10device_ptrIjEEEENSD_INSE_IS9_EEEEjNS0_19identity_decomposerEEE10hipError_tT1_T2_PT3_SN_jT4_jjP12ihipStream_tbEUlT_E0_NS1_11comp_targetILNS1_3genE5ELNS1_11target_archE942ELNS1_3gpuE9ELNS1_3repE0EEENS1_52radix_sort_onesweep_histogram_config_static_selectorELNS0_4arch9wavefront6targetE0EEEvSL_
; %bb.0:
	.section	.rodata,"a",@progbits
	.p2align	6, 0x0
	.amdhsa_kernel _ZN7rocprim17ROCPRIM_400000_NS6detail17trampoline_kernelINS0_14default_configENS1_35radix_sort_onesweep_config_selectorIjN6thrust23THRUST_200600_302600_NS5tupleIffNS6_9null_typeES8_S8_S8_S8_S8_S8_S8_EEEEZNS1_34radix_sort_onesweep_global_offsetsIS3_Lb0ENS6_6detail15normal_iteratorINS6_10device_ptrIjEEEENSD_INSE_IS9_EEEEjNS0_19identity_decomposerEEE10hipError_tT1_T2_PT3_SN_jT4_jjP12ihipStream_tbEUlT_E0_NS1_11comp_targetILNS1_3genE5ELNS1_11target_archE942ELNS1_3gpuE9ELNS1_3repE0EEENS1_52radix_sort_onesweep_histogram_config_static_selectorELNS0_4arch9wavefront6targetE0EEEvSL_
		.amdhsa_group_segment_fixed_size 0
		.amdhsa_private_segment_fixed_size 0
		.amdhsa_kernarg_size 8
		.amdhsa_user_sgpr_count 2
		.amdhsa_user_sgpr_dispatch_ptr 0
		.amdhsa_user_sgpr_queue_ptr 0
		.amdhsa_user_sgpr_kernarg_segment_ptr 1
		.amdhsa_user_sgpr_dispatch_id 0
		.amdhsa_user_sgpr_kernarg_preload_length 0
		.amdhsa_user_sgpr_kernarg_preload_offset 0
		.amdhsa_user_sgpr_private_segment_size 0
		.amdhsa_wavefront_size32 1
		.amdhsa_uses_dynamic_stack 0
		.amdhsa_enable_private_segment 0
		.amdhsa_system_sgpr_workgroup_id_x 1
		.amdhsa_system_sgpr_workgroup_id_y 0
		.amdhsa_system_sgpr_workgroup_id_z 0
		.amdhsa_system_sgpr_workgroup_info 0
		.amdhsa_system_vgpr_workitem_id 0
		.amdhsa_next_free_vgpr 1
		.amdhsa_next_free_sgpr 1
		.amdhsa_named_barrier_count 0
		.amdhsa_reserve_vcc 0
		.amdhsa_float_round_mode_32 0
		.amdhsa_float_round_mode_16_64 0
		.amdhsa_float_denorm_mode_32 3
		.amdhsa_float_denorm_mode_16_64 3
		.amdhsa_fp16_overflow 0
		.amdhsa_memory_ordered 1
		.amdhsa_forward_progress 1
		.amdhsa_inst_pref_size 0
		.amdhsa_round_robin_scheduling 0
		.amdhsa_exception_fp_ieee_invalid_op 0
		.amdhsa_exception_fp_denorm_src 0
		.amdhsa_exception_fp_ieee_div_zero 0
		.amdhsa_exception_fp_ieee_overflow 0
		.amdhsa_exception_fp_ieee_underflow 0
		.amdhsa_exception_fp_ieee_inexact 0
		.amdhsa_exception_int_div_zero 0
	.end_amdhsa_kernel
	.section	.text._ZN7rocprim17ROCPRIM_400000_NS6detail17trampoline_kernelINS0_14default_configENS1_35radix_sort_onesweep_config_selectorIjN6thrust23THRUST_200600_302600_NS5tupleIffNS6_9null_typeES8_S8_S8_S8_S8_S8_S8_EEEEZNS1_34radix_sort_onesweep_global_offsetsIS3_Lb0ENS6_6detail15normal_iteratorINS6_10device_ptrIjEEEENSD_INSE_IS9_EEEEjNS0_19identity_decomposerEEE10hipError_tT1_T2_PT3_SN_jT4_jjP12ihipStream_tbEUlT_E0_NS1_11comp_targetILNS1_3genE5ELNS1_11target_archE942ELNS1_3gpuE9ELNS1_3repE0EEENS1_52radix_sort_onesweep_histogram_config_static_selectorELNS0_4arch9wavefront6targetE0EEEvSL_,"axG",@progbits,_ZN7rocprim17ROCPRIM_400000_NS6detail17trampoline_kernelINS0_14default_configENS1_35radix_sort_onesweep_config_selectorIjN6thrust23THRUST_200600_302600_NS5tupleIffNS6_9null_typeES8_S8_S8_S8_S8_S8_S8_EEEEZNS1_34radix_sort_onesweep_global_offsetsIS3_Lb0ENS6_6detail15normal_iteratorINS6_10device_ptrIjEEEENSD_INSE_IS9_EEEEjNS0_19identity_decomposerEEE10hipError_tT1_T2_PT3_SN_jT4_jjP12ihipStream_tbEUlT_E0_NS1_11comp_targetILNS1_3genE5ELNS1_11target_archE942ELNS1_3gpuE9ELNS1_3repE0EEENS1_52radix_sort_onesweep_histogram_config_static_selectorELNS0_4arch9wavefront6targetE0EEEvSL_,comdat
.Lfunc_end150:
	.size	_ZN7rocprim17ROCPRIM_400000_NS6detail17trampoline_kernelINS0_14default_configENS1_35radix_sort_onesweep_config_selectorIjN6thrust23THRUST_200600_302600_NS5tupleIffNS6_9null_typeES8_S8_S8_S8_S8_S8_S8_EEEEZNS1_34radix_sort_onesweep_global_offsetsIS3_Lb0ENS6_6detail15normal_iteratorINS6_10device_ptrIjEEEENSD_INSE_IS9_EEEEjNS0_19identity_decomposerEEE10hipError_tT1_T2_PT3_SN_jT4_jjP12ihipStream_tbEUlT_E0_NS1_11comp_targetILNS1_3genE5ELNS1_11target_archE942ELNS1_3gpuE9ELNS1_3repE0EEENS1_52radix_sort_onesweep_histogram_config_static_selectorELNS0_4arch9wavefront6targetE0EEEvSL_, .Lfunc_end150-_ZN7rocprim17ROCPRIM_400000_NS6detail17trampoline_kernelINS0_14default_configENS1_35radix_sort_onesweep_config_selectorIjN6thrust23THRUST_200600_302600_NS5tupleIffNS6_9null_typeES8_S8_S8_S8_S8_S8_S8_EEEEZNS1_34radix_sort_onesweep_global_offsetsIS3_Lb0ENS6_6detail15normal_iteratorINS6_10device_ptrIjEEEENSD_INSE_IS9_EEEEjNS0_19identity_decomposerEEE10hipError_tT1_T2_PT3_SN_jT4_jjP12ihipStream_tbEUlT_E0_NS1_11comp_targetILNS1_3genE5ELNS1_11target_archE942ELNS1_3gpuE9ELNS1_3repE0EEENS1_52radix_sort_onesweep_histogram_config_static_selectorELNS0_4arch9wavefront6targetE0EEEvSL_
                                        ; -- End function
	.set _ZN7rocprim17ROCPRIM_400000_NS6detail17trampoline_kernelINS0_14default_configENS1_35radix_sort_onesweep_config_selectorIjN6thrust23THRUST_200600_302600_NS5tupleIffNS6_9null_typeES8_S8_S8_S8_S8_S8_S8_EEEEZNS1_34radix_sort_onesweep_global_offsetsIS3_Lb0ENS6_6detail15normal_iteratorINS6_10device_ptrIjEEEENSD_INSE_IS9_EEEEjNS0_19identity_decomposerEEE10hipError_tT1_T2_PT3_SN_jT4_jjP12ihipStream_tbEUlT_E0_NS1_11comp_targetILNS1_3genE5ELNS1_11target_archE942ELNS1_3gpuE9ELNS1_3repE0EEENS1_52radix_sort_onesweep_histogram_config_static_selectorELNS0_4arch9wavefront6targetE0EEEvSL_.num_vgpr, 0
	.set _ZN7rocprim17ROCPRIM_400000_NS6detail17trampoline_kernelINS0_14default_configENS1_35radix_sort_onesweep_config_selectorIjN6thrust23THRUST_200600_302600_NS5tupleIffNS6_9null_typeES8_S8_S8_S8_S8_S8_S8_EEEEZNS1_34radix_sort_onesweep_global_offsetsIS3_Lb0ENS6_6detail15normal_iteratorINS6_10device_ptrIjEEEENSD_INSE_IS9_EEEEjNS0_19identity_decomposerEEE10hipError_tT1_T2_PT3_SN_jT4_jjP12ihipStream_tbEUlT_E0_NS1_11comp_targetILNS1_3genE5ELNS1_11target_archE942ELNS1_3gpuE9ELNS1_3repE0EEENS1_52radix_sort_onesweep_histogram_config_static_selectorELNS0_4arch9wavefront6targetE0EEEvSL_.num_agpr, 0
	.set _ZN7rocprim17ROCPRIM_400000_NS6detail17trampoline_kernelINS0_14default_configENS1_35radix_sort_onesweep_config_selectorIjN6thrust23THRUST_200600_302600_NS5tupleIffNS6_9null_typeES8_S8_S8_S8_S8_S8_S8_EEEEZNS1_34radix_sort_onesweep_global_offsetsIS3_Lb0ENS6_6detail15normal_iteratorINS6_10device_ptrIjEEEENSD_INSE_IS9_EEEEjNS0_19identity_decomposerEEE10hipError_tT1_T2_PT3_SN_jT4_jjP12ihipStream_tbEUlT_E0_NS1_11comp_targetILNS1_3genE5ELNS1_11target_archE942ELNS1_3gpuE9ELNS1_3repE0EEENS1_52radix_sort_onesweep_histogram_config_static_selectorELNS0_4arch9wavefront6targetE0EEEvSL_.numbered_sgpr, 0
	.set _ZN7rocprim17ROCPRIM_400000_NS6detail17trampoline_kernelINS0_14default_configENS1_35radix_sort_onesweep_config_selectorIjN6thrust23THRUST_200600_302600_NS5tupleIffNS6_9null_typeES8_S8_S8_S8_S8_S8_S8_EEEEZNS1_34radix_sort_onesweep_global_offsetsIS3_Lb0ENS6_6detail15normal_iteratorINS6_10device_ptrIjEEEENSD_INSE_IS9_EEEEjNS0_19identity_decomposerEEE10hipError_tT1_T2_PT3_SN_jT4_jjP12ihipStream_tbEUlT_E0_NS1_11comp_targetILNS1_3genE5ELNS1_11target_archE942ELNS1_3gpuE9ELNS1_3repE0EEENS1_52radix_sort_onesweep_histogram_config_static_selectorELNS0_4arch9wavefront6targetE0EEEvSL_.num_named_barrier, 0
	.set _ZN7rocprim17ROCPRIM_400000_NS6detail17trampoline_kernelINS0_14default_configENS1_35radix_sort_onesweep_config_selectorIjN6thrust23THRUST_200600_302600_NS5tupleIffNS6_9null_typeES8_S8_S8_S8_S8_S8_S8_EEEEZNS1_34radix_sort_onesweep_global_offsetsIS3_Lb0ENS6_6detail15normal_iteratorINS6_10device_ptrIjEEEENSD_INSE_IS9_EEEEjNS0_19identity_decomposerEEE10hipError_tT1_T2_PT3_SN_jT4_jjP12ihipStream_tbEUlT_E0_NS1_11comp_targetILNS1_3genE5ELNS1_11target_archE942ELNS1_3gpuE9ELNS1_3repE0EEENS1_52radix_sort_onesweep_histogram_config_static_selectorELNS0_4arch9wavefront6targetE0EEEvSL_.private_seg_size, 0
	.set _ZN7rocprim17ROCPRIM_400000_NS6detail17trampoline_kernelINS0_14default_configENS1_35radix_sort_onesweep_config_selectorIjN6thrust23THRUST_200600_302600_NS5tupleIffNS6_9null_typeES8_S8_S8_S8_S8_S8_S8_EEEEZNS1_34radix_sort_onesweep_global_offsetsIS3_Lb0ENS6_6detail15normal_iteratorINS6_10device_ptrIjEEEENSD_INSE_IS9_EEEEjNS0_19identity_decomposerEEE10hipError_tT1_T2_PT3_SN_jT4_jjP12ihipStream_tbEUlT_E0_NS1_11comp_targetILNS1_3genE5ELNS1_11target_archE942ELNS1_3gpuE9ELNS1_3repE0EEENS1_52radix_sort_onesweep_histogram_config_static_selectorELNS0_4arch9wavefront6targetE0EEEvSL_.uses_vcc, 0
	.set _ZN7rocprim17ROCPRIM_400000_NS6detail17trampoline_kernelINS0_14default_configENS1_35radix_sort_onesweep_config_selectorIjN6thrust23THRUST_200600_302600_NS5tupleIffNS6_9null_typeES8_S8_S8_S8_S8_S8_S8_EEEEZNS1_34radix_sort_onesweep_global_offsetsIS3_Lb0ENS6_6detail15normal_iteratorINS6_10device_ptrIjEEEENSD_INSE_IS9_EEEEjNS0_19identity_decomposerEEE10hipError_tT1_T2_PT3_SN_jT4_jjP12ihipStream_tbEUlT_E0_NS1_11comp_targetILNS1_3genE5ELNS1_11target_archE942ELNS1_3gpuE9ELNS1_3repE0EEENS1_52radix_sort_onesweep_histogram_config_static_selectorELNS0_4arch9wavefront6targetE0EEEvSL_.uses_flat_scratch, 0
	.set _ZN7rocprim17ROCPRIM_400000_NS6detail17trampoline_kernelINS0_14default_configENS1_35radix_sort_onesweep_config_selectorIjN6thrust23THRUST_200600_302600_NS5tupleIffNS6_9null_typeES8_S8_S8_S8_S8_S8_S8_EEEEZNS1_34radix_sort_onesweep_global_offsetsIS3_Lb0ENS6_6detail15normal_iteratorINS6_10device_ptrIjEEEENSD_INSE_IS9_EEEEjNS0_19identity_decomposerEEE10hipError_tT1_T2_PT3_SN_jT4_jjP12ihipStream_tbEUlT_E0_NS1_11comp_targetILNS1_3genE5ELNS1_11target_archE942ELNS1_3gpuE9ELNS1_3repE0EEENS1_52radix_sort_onesweep_histogram_config_static_selectorELNS0_4arch9wavefront6targetE0EEEvSL_.has_dyn_sized_stack, 0
	.set _ZN7rocprim17ROCPRIM_400000_NS6detail17trampoline_kernelINS0_14default_configENS1_35radix_sort_onesweep_config_selectorIjN6thrust23THRUST_200600_302600_NS5tupleIffNS6_9null_typeES8_S8_S8_S8_S8_S8_S8_EEEEZNS1_34radix_sort_onesweep_global_offsetsIS3_Lb0ENS6_6detail15normal_iteratorINS6_10device_ptrIjEEEENSD_INSE_IS9_EEEEjNS0_19identity_decomposerEEE10hipError_tT1_T2_PT3_SN_jT4_jjP12ihipStream_tbEUlT_E0_NS1_11comp_targetILNS1_3genE5ELNS1_11target_archE942ELNS1_3gpuE9ELNS1_3repE0EEENS1_52radix_sort_onesweep_histogram_config_static_selectorELNS0_4arch9wavefront6targetE0EEEvSL_.has_recursion, 0
	.set _ZN7rocprim17ROCPRIM_400000_NS6detail17trampoline_kernelINS0_14default_configENS1_35radix_sort_onesweep_config_selectorIjN6thrust23THRUST_200600_302600_NS5tupleIffNS6_9null_typeES8_S8_S8_S8_S8_S8_S8_EEEEZNS1_34radix_sort_onesweep_global_offsetsIS3_Lb0ENS6_6detail15normal_iteratorINS6_10device_ptrIjEEEENSD_INSE_IS9_EEEEjNS0_19identity_decomposerEEE10hipError_tT1_T2_PT3_SN_jT4_jjP12ihipStream_tbEUlT_E0_NS1_11comp_targetILNS1_3genE5ELNS1_11target_archE942ELNS1_3gpuE9ELNS1_3repE0EEENS1_52radix_sort_onesweep_histogram_config_static_selectorELNS0_4arch9wavefront6targetE0EEEvSL_.has_indirect_call, 0
	.section	.AMDGPU.csdata,"",@progbits
; Kernel info:
; codeLenInByte = 0
; TotalNumSgprs: 0
; NumVgprs: 0
; ScratchSize: 0
; MemoryBound: 0
; FloatMode: 240
; IeeeMode: 1
; LDSByteSize: 0 bytes/workgroup (compile time only)
; SGPRBlocks: 0
; VGPRBlocks: 0
; NumSGPRsForWavesPerEU: 1
; NumVGPRsForWavesPerEU: 1
; NamedBarCnt: 0
; Occupancy: 16
; WaveLimiterHint : 0
; COMPUTE_PGM_RSRC2:SCRATCH_EN: 0
; COMPUTE_PGM_RSRC2:USER_SGPR: 2
; COMPUTE_PGM_RSRC2:TRAP_HANDLER: 0
; COMPUTE_PGM_RSRC2:TGID_X_EN: 1
; COMPUTE_PGM_RSRC2:TGID_Y_EN: 0
; COMPUTE_PGM_RSRC2:TGID_Z_EN: 0
; COMPUTE_PGM_RSRC2:TIDIG_COMP_CNT: 0
	.section	.text._ZN7rocprim17ROCPRIM_400000_NS6detail17trampoline_kernelINS0_14default_configENS1_35radix_sort_onesweep_config_selectorIjN6thrust23THRUST_200600_302600_NS5tupleIffNS6_9null_typeES8_S8_S8_S8_S8_S8_S8_EEEEZNS1_34radix_sort_onesweep_global_offsetsIS3_Lb0ENS6_6detail15normal_iteratorINS6_10device_ptrIjEEEENSD_INSE_IS9_EEEEjNS0_19identity_decomposerEEE10hipError_tT1_T2_PT3_SN_jT4_jjP12ihipStream_tbEUlT_E0_NS1_11comp_targetILNS1_3genE2ELNS1_11target_archE906ELNS1_3gpuE6ELNS1_3repE0EEENS1_52radix_sort_onesweep_histogram_config_static_selectorELNS0_4arch9wavefront6targetE0EEEvSL_,"axG",@progbits,_ZN7rocprim17ROCPRIM_400000_NS6detail17trampoline_kernelINS0_14default_configENS1_35radix_sort_onesweep_config_selectorIjN6thrust23THRUST_200600_302600_NS5tupleIffNS6_9null_typeES8_S8_S8_S8_S8_S8_S8_EEEEZNS1_34radix_sort_onesweep_global_offsetsIS3_Lb0ENS6_6detail15normal_iteratorINS6_10device_ptrIjEEEENSD_INSE_IS9_EEEEjNS0_19identity_decomposerEEE10hipError_tT1_T2_PT3_SN_jT4_jjP12ihipStream_tbEUlT_E0_NS1_11comp_targetILNS1_3genE2ELNS1_11target_archE906ELNS1_3gpuE6ELNS1_3repE0EEENS1_52radix_sort_onesweep_histogram_config_static_selectorELNS0_4arch9wavefront6targetE0EEEvSL_,comdat
	.protected	_ZN7rocprim17ROCPRIM_400000_NS6detail17trampoline_kernelINS0_14default_configENS1_35radix_sort_onesweep_config_selectorIjN6thrust23THRUST_200600_302600_NS5tupleIffNS6_9null_typeES8_S8_S8_S8_S8_S8_S8_EEEEZNS1_34radix_sort_onesweep_global_offsetsIS3_Lb0ENS6_6detail15normal_iteratorINS6_10device_ptrIjEEEENSD_INSE_IS9_EEEEjNS0_19identity_decomposerEEE10hipError_tT1_T2_PT3_SN_jT4_jjP12ihipStream_tbEUlT_E0_NS1_11comp_targetILNS1_3genE2ELNS1_11target_archE906ELNS1_3gpuE6ELNS1_3repE0EEENS1_52radix_sort_onesweep_histogram_config_static_selectorELNS0_4arch9wavefront6targetE0EEEvSL_ ; -- Begin function _ZN7rocprim17ROCPRIM_400000_NS6detail17trampoline_kernelINS0_14default_configENS1_35radix_sort_onesweep_config_selectorIjN6thrust23THRUST_200600_302600_NS5tupleIffNS6_9null_typeES8_S8_S8_S8_S8_S8_S8_EEEEZNS1_34radix_sort_onesweep_global_offsetsIS3_Lb0ENS6_6detail15normal_iteratorINS6_10device_ptrIjEEEENSD_INSE_IS9_EEEEjNS0_19identity_decomposerEEE10hipError_tT1_T2_PT3_SN_jT4_jjP12ihipStream_tbEUlT_E0_NS1_11comp_targetILNS1_3genE2ELNS1_11target_archE906ELNS1_3gpuE6ELNS1_3repE0EEENS1_52radix_sort_onesweep_histogram_config_static_selectorELNS0_4arch9wavefront6targetE0EEEvSL_
	.globl	_ZN7rocprim17ROCPRIM_400000_NS6detail17trampoline_kernelINS0_14default_configENS1_35radix_sort_onesweep_config_selectorIjN6thrust23THRUST_200600_302600_NS5tupleIffNS6_9null_typeES8_S8_S8_S8_S8_S8_S8_EEEEZNS1_34radix_sort_onesweep_global_offsetsIS3_Lb0ENS6_6detail15normal_iteratorINS6_10device_ptrIjEEEENSD_INSE_IS9_EEEEjNS0_19identity_decomposerEEE10hipError_tT1_T2_PT3_SN_jT4_jjP12ihipStream_tbEUlT_E0_NS1_11comp_targetILNS1_3genE2ELNS1_11target_archE906ELNS1_3gpuE6ELNS1_3repE0EEENS1_52radix_sort_onesweep_histogram_config_static_selectorELNS0_4arch9wavefront6targetE0EEEvSL_
	.p2align	8
	.type	_ZN7rocprim17ROCPRIM_400000_NS6detail17trampoline_kernelINS0_14default_configENS1_35radix_sort_onesweep_config_selectorIjN6thrust23THRUST_200600_302600_NS5tupleIffNS6_9null_typeES8_S8_S8_S8_S8_S8_S8_EEEEZNS1_34radix_sort_onesweep_global_offsetsIS3_Lb0ENS6_6detail15normal_iteratorINS6_10device_ptrIjEEEENSD_INSE_IS9_EEEEjNS0_19identity_decomposerEEE10hipError_tT1_T2_PT3_SN_jT4_jjP12ihipStream_tbEUlT_E0_NS1_11comp_targetILNS1_3genE2ELNS1_11target_archE906ELNS1_3gpuE6ELNS1_3repE0EEENS1_52radix_sort_onesweep_histogram_config_static_selectorELNS0_4arch9wavefront6targetE0EEEvSL_,@function
_ZN7rocprim17ROCPRIM_400000_NS6detail17trampoline_kernelINS0_14default_configENS1_35radix_sort_onesweep_config_selectorIjN6thrust23THRUST_200600_302600_NS5tupleIffNS6_9null_typeES8_S8_S8_S8_S8_S8_S8_EEEEZNS1_34radix_sort_onesweep_global_offsetsIS3_Lb0ENS6_6detail15normal_iteratorINS6_10device_ptrIjEEEENSD_INSE_IS9_EEEEjNS0_19identity_decomposerEEE10hipError_tT1_T2_PT3_SN_jT4_jjP12ihipStream_tbEUlT_E0_NS1_11comp_targetILNS1_3genE2ELNS1_11target_archE906ELNS1_3gpuE6ELNS1_3repE0EEENS1_52radix_sort_onesweep_histogram_config_static_selectorELNS0_4arch9wavefront6targetE0EEEvSL_: ; @_ZN7rocprim17ROCPRIM_400000_NS6detail17trampoline_kernelINS0_14default_configENS1_35radix_sort_onesweep_config_selectorIjN6thrust23THRUST_200600_302600_NS5tupleIffNS6_9null_typeES8_S8_S8_S8_S8_S8_S8_EEEEZNS1_34radix_sort_onesweep_global_offsetsIS3_Lb0ENS6_6detail15normal_iteratorINS6_10device_ptrIjEEEENSD_INSE_IS9_EEEEjNS0_19identity_decomposerEEE10hipError_tT1_T2_PT3_SN_jT4_jjP12ihipStream_tbEUlT_E0_NS1_11comp_targetILNS1_3genE2ELNS1_11target_archE906ELNS1_3gpuE6ELNS1_3repE0EEENS1_52radix_sort_onesweep_histogram_config_static_selectorELNS0_4arch9wavefront6targetE0EEEvSL_
; %bb.0:
	.section	.rodata,"a",@progbits
	.p2align	6, 0x0
	.amdhsa_kernel _ZN7rocprim17ROCPRIM_400000_NS6detail17trampoline_kernelINS0_14default_configENS1_35radix_sort_onesweep_config_selectorIjN6thrust23THRUST_200600_302600_NS5tupleIffNS6_9null_typeES8_S8_S8_S8_S8_S8_S8_EEEEZNS1_34radix_sort_onesweep_global_offsetsIS3_Lb0ENS6_6detail15normal_iteratorINS6_10device_ptrIjEEEENSD_INSE_IS9_EEEEjNS0_19identity_decomposerEEE10hipError_tT1_T2_PT3_SN_jT4_jjP12ihipStream_tbEUlT_E0_NS1_11comp_targetILNS1_3genE2ELNS1_11target_archE906ELNS1_3gpuE6ELNS1_3repE0EEENS1_52radix_sort_onesweep_histogram_config_static_selectorELNS0_4arch9wavefront6targetE0EEEvSL_
		.amdhsa_group_segment_fixed_size 0
		.amdhsa_private_segment_fixed_size 0
		.amdhsa_kernarg_size 8
		.amdhsa_user_sgpr_count 2
		.amdhsa_user_sgpr_dispatch_ptr 0
		.amdhsa_user_sgpr_queue_ptr 0
		.amdhsa_user_sgpr_kernarg_segment_ptr 1
		.amdhsa_user_sgpr_dispatch_id 0
		.amdhsa_user_sgpr_kernarg_preload_length 0
		.amdhsa_user_sgpr_kernarg_preload_offset 0
		.amdhsa_user_sgpr_private_segment_size 0
		.amdhsa_wavefront_size32 1
		.amdhsa_uses_dynamic_stack 0
		.amdhsa_enable_private_segment 0
		.amdhsa_system_sgpr_workgroup_id_x 1
		.amdhsa_system_sgpr_workgroup_id_y 0
		.amdhsa_system_sgpr_workgroup_id_z 0
		.amdhsa_system_sgpr_workgroup_info 0
		.amdhsa_system_vgpr_workitem_id 0
		.amdhsa_next_free_vgpr 1
		.amdhsa_next_free_sgpr 1
		.amdhsa_named_barrier_count 0
		.amdhsa_reserve_vcc 0
		.amdhsa_float_round_mode_32 0
		.amdhsa_float_round_mode_16_64 0
		.amdhsa_float_denorm_mode_32 3
		.amdhsa_float_denorm_mode_16_64 3
		.amdhsa_fp16_overflow 0
		.amdhsa_memory_ordered 1
		.amdhsa_forward_progress 1
		.amdhsa_inst_pref_size 0
		.amdhsa_round_robin_scheduling 0
		.amdhsa_exception_fp_ieee_invalid_op 0
		.amdhsa_exception_fp_denorm_src 0
		.amdhsa_exception_fp_ieee_div_zero 0
		.amdhsa_exception_fp_ieee_overflow 0
		.amdhsa_exception_fp_ieee_underflow 0
		.amdhsa_exception_fp_ieee_inexact 0
		.amdhsa_exception_int_div_zero 0
	.end_amdhsa_kernel
	.section	.text._ZN7rocprim17ROCPRIM_400000_NS6detail17trampoline_kernelINS0_14default_configENS1_35radix_sort_onesweep_config_selectorIjN6thrust23THRUST_200600_302600_NS5tupleIffNS6_9null_typeES8_S8_S8_S8_S8_S8_S8_EEEEZNS1_34radix_sort_onesweep_global_offsetsIS3_Lb0ENS6_6detail15normal_iteratorINS6_10device_ptrIjEEEENSD_INSE_IS9_EEEEjNS0_19identity_decomposerEEE10hipError_tT1_T2_PT3_SN_jT4_jjP12ihipStream_tbEUlT_E0_NS1_11comp_targetILNS1_3genE2ELNS1_11target_archE906ELNS1_3gpuE6ELNS1_3repE0EEENS1_52radix_sort_onesweep_histogram_config_static_selectorELNS0_4arch9wavefront6targetE0EEEvSL_,"axG",@progbits,_ZN7rocprim17ROCPRIM_400000_NS6detail17trampoline_kernelINS0_14default_configENS1_35radix_sort_onesweep_config_selectorIjN6thrust23THRUST_200600_302600_NS5tupleIffNS6_9null_typeES8_S8_S8_S8_S8_S8_S8_EEEEZNS1_34radix_sort_onesweep_global_offsetsIS3_Lb0ENS6_6detail15normal_iteratorINS6_10device_ptrIjEEEENSD_INSE_IS9_EEEEjNS0_19identity_decomposerEEE10hipError_tT1_T2_PT3_SN_jT4_jjP12ihipStream_tbEUlT_E0_NS1_11comp_targetILNS1_3genE2ELNS1_11target_archE906ELNS1_3gpuE6ELNS1_3repE0EEENS1_52radix_sort_onesweep_histogram_config_static_selectorELNS0_4arch9wavefront6targetE0EEEvSL_,comdat
.Lfunc_end151:
	.size	_ZN7rocprim17ROCPRIM_400000_NS6detail17trampoline_kernelINS0_14default_configENS1_35radix_sort_onesweep_config_selectorIjN6thrust23THRUST_200600_302600_NS5tupleIffNS6_9null_typeES8_S8_S8_S8_S8_S8_S8_EEEEZNS1_34radix_sort_onesweep_global_offsetsIS3_Lb0ENS6_6detail15normal_iteratorINS6_10device_ptrIjEEEENSD_INSE_IS9_EEEEjNS0_19identity_decomposerEEE10hipError_tT1_T2_PT3_SN_jT4_jjP12ihipStream_tbEUlT_E0_NS1_11comp_targetILNS1_3genE2ELNS1_11target_archE906ELNS1_3gpuE6ELNS1_3repE0EEENS1_52radix_sort_onesweep_histogram_config_static_selectorELNS0_4arch9wavefront6targetE0EEEvSL_, .Lfunc_end151-_ZN7rocprim17ROCPRIM_400000_NS6detail17trampoline_kernelINS0_14default_configENS1_35radix_sort_onesweep_config_selectorIjN6thrust23THRUST_200600_302600_NS5tupleIffNS6_9null_typeES8_S8_S8_S8_S8_S8_S8_EEEEZNS1_34radix_sort_onesweep_global_offsetsIS3_Lb0ENS6_6detail15normal_iteratorINS6_10device_ptrIjEEEENSD_INSE_IS9_EEEEjNS0_19identity_decomposerEEE10hipError_tT1_T2_PT3_SN_jT4_jjP12ihipStream_tbEUlT_E0_NS1_11comp_targetILNS1_3genE2ELNS1_11target_archE906ELNS1_3gpuE6ELNS1_3repE0EEENS1_52radix_sort_onesweep_histogram_config_static_selectorELNS0_4arch9wavefront6targetE0EEEvSL_
                                        ; -- End function
	.set _ZN7rocprim17ROCPRIM_400000_NS6detail17trampoline_kernelINS0_14default_configENS1_35radix_sort_onesweep_config_selectorIjN6thrust23THRUST_200600_302600_NS5tupleIffNS6_9null_typeES8_S8_S8_S8_S8_S8_S8_EEEEZNS1_34radix_sort_onesweep_global_offsetsIS3_Lb0ENS6_6detail15normal_iteratorINS6_10device_ptrIjEEEENSD_INSE_IS9_EEEEjNS0_19identity_decomposerEEE10hipError_tT1_T2_PT3_SN_jT4_jjP12ihipStream_tbEUlT_E0_NS1_11comp_targetILNS1_3genE2ELNS1_11target_archE906ELNS1_3gpuE6ELNS1_3repE0EEENS1_52radix_sort_onesweep_histogram_config_static_selectorELNS0_4arch9wavefront6targetE0EEEvSL_.num_vgpr, 0
	.set _ZN7rocprim17ROCPRIM_400000_NS6detail17trampoline_kernelINS0_14default_configENS1_35radix_sort_onesweep_config_selectorIjN6thrust23THRUST_200600_302600_NS5tupleIffNS6_9null_typeES8_S8_S8_S8_S8_S8_S8_EEEEZNS1_34radix_sort_onesweep_global_offsetsIS3_Lb0ENS6_6detail15normal_iteratorINS6_10device_ptrIjEEEENSD_INSE_IS9_EEEEjNS0_19identity_decomposerEEE10hipError_tT1_T2_PT3_SN_jT4_jjP12ihipStream_tbEUlT_E0_NS1_11comp_targetILNS1_3genE2ELNS1_11target_archE906ELNS1_3gpuE6ELNS1_3repE0EEENS1_52radix_sort_onesweep_histogram_config_static_selectorELNS0_4arch9wavefront6targetE0EEEvSL_.num_agpr, 0
	.set _ZN7rocprim17ROCPRIM_400000_NS6detail17trampoline_kernelINS0_14default_configENS1_35radix_sort_onesweep_config_selectorIjN6thrust23THRUST_200600_302600_NS5tupleIffNS6_9null_typeES8_S8_S8_S8_S8_S8_S8_EEEEZNS1_34radix_sort_onesweep_global_offsetsIS3_Lb0ENS6_6detail15normal_iteratorINS6_10device_ptrIjEEEENSD_INSE_IS9_EEEEjNS0_19identity_decomposerEEE10hipError_tT1_T2_PT3_SN_jT4_jjP12ihipStream_tbEUlT_E0_NS1_11comp_targetILNS1_3genE2ELNS1_11target_archE906ELNS1_3gpuE6ELNS1_3repE0EEENS1_52radix_sort_onesweep_histogram_config_static_selectorELNS0_4arch9wavefront6targetE0EEEvSL_.numbered_sgpr, 0
	.set _ZN7rocprim17ROCPRIM_400000_NS6detail17trampoline_kernelINS0_14default_configENS1_35radix_sort_onesweep_config_selectorIjN6thrust23THRUST_200600_302600_NS5tupleIffNS6_9null_typeES8_S8_S8_S8_S8_S8_S8_EEEEZNS1_34radix_sort_onesweep_global_offsetsIS3_Lb0ENS6_6detail15normal_iteratorINS6_10device_ptrIjEEEENSD_INSE_IS9_EEEEjNS0_19identity_decomposerEEE10hipError_tT1_T2_PT3_SN_jT4_jjP12ihipStream_tbEUlT_E0_NS1_11comp_targetILNS1_3genE2ELNS1_11target_archE906ELNS1_3gpuE6ELNS1_3repE0EEENS1_52radix_sort_onesweep_histogram_config_static_selectorELNS0_4arch9wavefront6targetE0EEEvSL_.num_named_barrier, 0
	.set _ZN7rocprim17ROCPRIM_400000_NS6detail17trampoline_kernelINS0_14default_configENS1_35radix_sort_onesweep_config_selectorIjN6thrust23THRUST_200600_302600_NS5tupleIffNS6_9null_typeES8_S8_S8_S8_S8_S8_S8_EEEEZNS1_34radix_sort_onesweep_global_offsetsIS3_Lb0ENS6_6detail15normal_iteratorINS6_10device_ptrIjEEEENSD_INSE_IS9_EEEEjNS0_19identity_decomposerEEE10hipError_tT1_T2_PT3_SN_jT4_jjP12ihipStream_tbEUlT_E0_NS1_11comp_targetILNS1_3genE2ELNS1_11target_archE906ELNS1_3gpuE6ELNS1_3repE0EEENS1_52radix_sort_onesweep_histogram_config_static_selectorELNS0_4arch9wavefront6targetE0EEEvSL_.private_seg_size, 0
	.set _ZN7rocprim17ROCPRIM_400000_NS6detail17trampoline_kernelINS0_14default_configENS1_35radix_sort_onesweep_config_selectorIjN6thrust23THRUST_200600_302600_NS5tupleIffNS6_9null_typeES8_S8_S8_S8_S8_S8_S8_EEEEZNS1_34radix_sort_onesweep_global_offsetsIS3_Lb0ENS6_6detail15normal_iteratorINS6_10device_ptrIjEEEENSD_INSE_IS9_EEEEjNS0_19identity_decomposerEEE10hipError_tT1_T2_PT3_SN_jT4_jjP12ihipStream_tbEUlT_E0_NS1_11comp_targetILNS1_3genE2ELNS1_11target_archE906ELNS1_3gpuE6ELNS1_3repE0EEENS1_52radix_sort_onesweep_histogram_config_static_selectorELNS0_4arch9wavefront6targetE0EEEvSL_.uses_vcc, 0
	.set _ZN7rocprim17ROCPRIM_400000_NS6detail17trampoline_kernelINS0_14default_configENS1_35radix_sort_onesweep_config_selectorIjN6thrust23THRUST_200600_302600_NS5tupleIffNS6_9null_typeES8_S8_S8_S8_S8_S8_S8_EEEEZNS1_34radix_sort_onesweep_global_offsetsIS3_Lb0ENS6_6detail15normal_iteratorINS6_10device_ptrIjEEEENSD_INSE_IS9_EEEEjNS0_19identity_decomposerEEE10hipError_tT1_T2_PT3_SN_jT4_jjP12ihipStream_tbEUlT_E0_NS1_11comp_targetILNS1_3genE2ELNS1_11target_archE906ELNS1_3gpuE6ELNS1_3repE0EEENS1_52radix_sort_onesweep_histogram_config_static_selectorELNS0_4arch9wavefront6targetE0EEEvSL_.uses_flat_scratch, 0
	.set _ZN7rocprim17ROCPRIM_400000_NS6detail17trampoline_kernelINS0_14default_configENS1_35radix_sort_onesweep_config_selectorIjN6thrust23THRUST_200600_302600_NS5tupleIffNS6_9null_typeES8_S8_S8_S8_S8_S8_S8_EEEEZNS1_34radix_sort_onesweep_global_offsetsIS3_Lb0ENS6_6detail15normal_iteratorINS6_10device_ptrIjEEEENSD_INSE_IS9_EEEEjNS0_19identity_decomposerEEE10hipError_tT1_T2_PT3_SN_jT4_jjP12ihipStream_tbEUlT_E0_NS1_11comp_targetILNS1_3genE2ELNS1_11target_archE906ELNS1_3gpuE6ELNS1_3repE0EEENS1_52radix_sort_onesweep_histogram_config_static_selectorELNS0_4arch9wavefront6targetE0EEEvSL_.has_dyn_sized_stack, 0
	.set _ZN7rocprim17ROCPRIM_400000_NS6detail17trampoline_kernelINS0_14default_configENS1_35radix_sort_onesweep_config_selectorIjN6thrust23THRUST_200600_302600_NS5tupleIffNS6_9null_typeES8_S8_S8_S8_S8_S8_S8_EEEEZNS1_34radix_sort_onesweep_global_offsetsIS3_Lb0ENS6_6detail15normal_iteratorINS6_10device_ptrIjEEEENSD_INSE_IS9_EEEEjNS0_19identity_decomposerEEE10hipError_tT1_T2_PT3_SN_jT4_jjP12ihipStream_tbEUlT_E0_NS1_11comp_targetILNS1_3genE2ELNS1_11target_archE906ELNS1_3gpuE6ELNS1_3repE0EEENS1_52radix_sort_onesweep_histogram_config_static_selectorELNS0_4arch9wavefront6targetE0EEEvSL_.has_recursion, 0
	.set _ZN7rocprim17ROCPRIM_400000_NS6detail17trampoline_kernelINS0_14default_configENS1_35radix_sort_onesweep_config_selectorIjN6thrust23THRUST_200600_302600_NS5tupleIffNS6_9null_typeES8_S8_S8_S8_S8_S8_S8_EEEEZNS1_34radix_sort_onesweep_global_offsetsIS3_Lb0ENS6_6detail15normal_iteratorINS6_10device_ptrIjEEEENSD_INSE_IS9_EEEEjNS0_19identity_decomposerEEE10hipError_tT1_T2_PT3_SN_jT4_jjP12ihipStream_tbEUlT_E0_NS1_11comp_targetILNS1_3genE2ELNS1_11target_archE906ELNS1_3gpuE6ELNS1_3repE0EEENS1_52radix_sort_onesweep_histogram_config_static_selectorELNS0_4arch9wavefront6targetE0EEEvSL_.has_indirect_call, 0
	.section	.AMDGPU.csdata,"",@progbits
; Kernel info:
; codeLenInByte = 0
; TotalNumSgprs: 0
; NumVgprs: 0
; ScratchSize: 0
; MemoryBound: 0
; FloatMode: 240
; IeeeMode: 1
; LDSByteSize: 0 bytes/workgroup (compile time only)
; SGPRBlocks: 0
; VGPRBlocks: 0
; NumSGPRsForWavesPerEU: 1
; NumVGPRsForWavesPerEU: 1
; NamedBarCnt: 0
; Occupancy: 16
; WaveLimiterHint : 0
; COMPUTE_PGM_RSRC2:SCRATCH_EN: 0
; COMPUTE_PGM_RSRC2:USER_SGPR: 2
; COMPUTE_PGM_RSRC2:TRAP_HANDLER: 0
; COMPUTE_PGM_RSRC2:TGID_X_EN: 1
; COMPUTE_PGM_RSRC2:TGID_Y_EN: 0
; COMPUTE_PGM_RSRC2:TGID_Z_EN: 0
; COMPUTE_PGM_RSRC2:TIDIG_COMP_CNT: 0
	.section	.text._ZN7rocprim17ROCPRIM_400000_NS6detail17trampoline_kernelINS0_14default_configENS1_35radix_sort_onesweep_config_selectorIjN6thrust23THRUST_200600_302600_NS5tupleIffNS6_9null_typeES8_S8_S8_S8_S8_S8_S8_EEEEZNS1_34radix_sort_onesweep_global_offsetsIS3_Lb0ENS6_6detail15normal_iteratorINS6_10device_ptrIjEEEENSD_INSE_IS9_EEEEjNS0_19identity_decomposerEEE10hipError_tT1_T2_PT3_SN_jT4_jjP12ihipStream_tbEUlT_E0_NS1_11comp_targetILNS1_3genE4ELNS1_11target_archE910ELNS1_3gpuE8ELNS1_3repE0EEENS1_52radix_sort_onesweep_histogram_config_static_selectorELNS0_4arch9wavefront6targetE0EEEvSL_,"axG",@progbits,_ZN7rocprim17ROCPRIM_400000_NS6detail17trampoline_kernelINS0_14default_configENS1_35radix_sort_onesweep_config_selectorIjN6thrust23THRUST_200600_302600_NS5tupleIffNS6_9null_typeES8_S8_S8_S8_S8_S8_S8_EEEEZNS1_34radix_sort_onesweep_global_offsetsIS3_Lb0ENS6_6detail15normal_iteratorINS6_10device_ptrIjEEEENSD_INSE_IS9_EEEEjNS0_19identity_decomposerEEE10hipError_tT1_T2_PT3_SN_jT4_jjP12ihipStream_tbEUlT_E0_NS1_11comp_targetILNS1_3genE4ELNS1_11target_archE910ELNS1_3gpuE8ELNS1_3repE0EEENS1_52radix_sort_onesweep_histogram_config_static_selectorELNS0_4arch9wavefront6targetE0EEEvSL_,comdat
	.protected	_ZN7rocprim17ROCPRIM_400000_NS6detail17trampoline_kernelINS0_14default_configENS1_35radix_sort_onesweep_config_selectorIjN6thrust23THRUST_200600_302600_NS5tupleIffNS6_9null_typeES8_S8_S8_S8_S8_S8_S8_EEEEZNS1_34radix_sort_onesweep_global_offsetsIS3_Lb0ENS6_6detail15normal_iteratorINS6_10device_ptrIjEEEENSD_INSE_IS9_EEEEjNS0_19identity_decomposerEEE10hipError_tT1_T2_PT3_SN_jT4_jjP12ihipStream_tbEUlT_E0_NS1_11comp_targetILNS1_3genE4ELNS1_11target_archE910ELNS1_3gpuE8ELNS1_3repE0EEENS1_52radix_sort_onesweep_histogram_config_static_selectorELNS0_4arch9wavefront6targetE0EEEvSL_ ; -- Begin function _ZN7rocprim17ROCPRIM_400000_NS6detail17trampoline_kernelINS0_14default_configENS1_35radix_sort_onesweep_config_selectorIjN6thrust23THRUST_200600_302600_NS5tupleIffNS6_9null_typeES8_S8_S8_S8_S8_S8_S8_EEEEZNS1_34radix_sort_onesweep_global_offsetsIS3_Lb0ENS6_6detail15normal_iteratorINS6_10device_ptrIjEEEENSD_INSE_IS9_EEEEjNS0_19identity_decomposerEEE10hipError_tT1_T2_PT3_SN_jT4_jjP12ihipStream_tbEUlT_E0_NS1_11comp_targetILNS1_3genE4ELNS1_11target_archE910ELNS1_3gpuE8ELNS1_3repE0EEENS1_52radix_sort_onesweep_histogram_config_static_selectorELNS0_4arch9wavefront6targetE0EEEvSL_
	.globl	_ZN7rocprim17ROCPRIM_400000_NS6detail17trampoline_kernelINS0_14default_configENS1_35radix_sort_onesweep_config_selectorIjN6thrust23THRUST_200600_302600_NS5tupleIffNS6_9null_typeES8_S8_S8_S8_S8_S8_S8_EEEEZNS1_34radix_sort_onesweep_global_offsetsIS3_Lb0ENS6_6detail15normal_iteratorINS6_10device_ptrIjEEEENSD_INSE_IS9_EEEEjNS0_19identity_decomposerEEE10hipError_tT1_T2_PT3_SN_jT4_jjP12ihipStream_tbEUlT_E0_NS1_11comp_targetILNS1_3genE4ELNS1_11target_archE910ELNS1_3gpuE8ELNS1_3repE0EEENS1_52radix_sort_onesweep_histogram_config_static_selectorELNS0_4arch9wavefront6targetE0EEEvSL_
	.p2align	8
	.type	_ZN7rocprim17ROCPRIM_400000_NS6detail17trampoline_kernelINS0_14default_configENS1_35radix_sort_onesweep_config_selectorIjN6thrust23THRUST_200600_302600_NS5tupleIffNS6_9null_typeES8_S8_S8_S8_S8_S8_S8_EEEEZNS1_34radix_sort_onesweep_global_offsetsIS3_Lb0ENS6_6detail15normal_iteratorINS6_10device_ptrIjEEEENSD_INSE_IS9_EEEEjNS0_19identity_decomposerEEE10hipError_tT1_T2_PT3_SN_jT4_jjP12ihipStream_tbEUlT_E0_NS1_11comp_targetILNS1_3genE4ELNS1_11target_archE910ELNS1_3gpuE8ELNS1_3repE0EEENS1_52radix_sort_onesweep_histogram_config_static_selectorELNS0_4arch9wavefront6targetE0EEEvSL_,@function
_ZN7rocprim17ROCPRIM_400000_NS6detail17trampoline_kernelINS0_14default_configENS1_35radix_sort_onesweep_config_selectorIjN6thrust23THRUST_200600_302600_NS5tupleIffNS6_9null_typeES8_S8_S8_S8_S8_S8_S8_EEEEZNS1_34radix_sort_onesweep_global_offsetsIS3_Lb0ENS6_6detail15normal_iteratorINS6_10device_ptrIjEEEENSD_INSE_IS9_EEEEjNS0_19identity_decomposerEEE10hipError_tT1_T2_PT3_SN_jT4_jjP12ihipStream_tbEUlT_E0_NS1_11comp_targetILNS1_3genE4ELNS1_11target_archE910ELNS1_3gpuE8ELNS1_3repE0EEENS1_52radix_sort_onesweep_histogram_config_static_selectorELNS0_4arch9wavefront6targetE0EEEvSL_: ; @_ZN7rocprim17ROCPRIM_400000_NS6detail17trampoline_kernelINS0_14default_configENS1_35radix_sort_onesweep_config_selectorIjN6thrust23THRUST_200600_302600_NS5tupleIffNS6_9null_typeES8_S8_S8_S8_S8_S8_S8_EEEEZNS1_34radix_sort_onesweep_global_offsetsIS3_Lb0ENS6_6detail15normal_iteratorINS6_10device_ptrIjEEEENSD_INSE_IS9_EEEEjNS0_19identity_decomposerEEE10hipError_tT1_T2_PT3_SN_jT4_jjP12ihipStream_tbEUlT_E0_NS1_11comp_targetILNS1_3genE4ELNS1_11target_archE910ELNS1_3gpuE8ELNS1_3repE0EEENS1_52radix_sort_onesweep_histogram_config_static_selectorELNS0_4arch9wavefront6targetE0EEEvSL_
; %bb.0:
	.section	.rodata,"a",@progbits
	.p2align	6, 0x0
	.amdhsa_kernel _ZN7rocprim17ROCPRIM_400000_NS6detail17trampoline_kernelINS0_14default_configENS1_35radix_sort_onesweep_config_selectorIjN6thrust23THRUST_200600_302600_NS5tupleIffNS6_9null_typeES8_S8_S8_S8_S8_S8_S8_EEEEZNS1_34radix_sort_onesweep_global_offsetsIS3_Lb0ENS6_6detail15normal_iteratorINS6_10device_ptrIjEEEENSD_INSE_IS9_EEEEjNS0_19identity_decomposerEEE10hipError_tT1_T2_PT3_SN_jT4_jjP12ihipStream_tbEUlT_E0_NS1_11comp_targetILNS1_3genE4ELNS1_11target_archE910ELNS1_3gpuE8ELNS1_3repE0EEENS1_52radix_sort_onesweep_histogram_config_static_selectorELNS0_4arch9wavefront6targetE0EEEvSL_
		.amdhsa_group_segment_fixed_size 0
		.amdhsa_private_segment_fixed_size 0
		.amdhsa_kernarg_size 8
		.amdhsa_user_sgpr_count 2
		.amdhsa_user_sgpr_dispatch_ptr 0
		.amdhsa_user_sgpr_queue_ptr 0
		.amdhsa_user_sgpr_kernarg_segment_ptr 1
		.amdhsa_user_sgpr_dispatch_id 0
		.amdhsa_user_sgpr_kernarg_preload_length 0
		.amdhsa_user_sgpr_kernarg_preload_offset 0
		.amdhsa_user_sgpr_private_segment_size 0
		.amdhsa_wavefront_size32 1
		.amdhsa_uses_dynamic_stack 0
		.amdhsa_enable_private_segment 0
		.amdhsa_system_sgpr_workgroup_id_x 1
		.amdhsa_system_sgpr_workgroup_id_y 0
		.amdhsa_system_sgpr_workgroup_id_z 0
		.amdhsa_system_sgpr_workgroup_info 0
		.amdhsa_system_vgpr_workitem_id 0
		.amdhsa_next_free_vgpr 1
		.amdhsa_next_free_sgpr 1
		.amdhsa_named_barrier_count 0
		.amdhsa_reserve_vcc 0
		.amdhsa_float_round_mode_32 0
		.amdhsa_float_round_mode_16_64 0
		.amdhsa_float_denorm_mode_32 3
		.amdhsa_float_denorm_mode_16_64 3
		.amdhsa_fp16_overflow 0
		.amdhsa_memory_ordered 1
		.amdhsa_forward_progress 1
		.amdhsa_inst_pref_size 0
		.amdhsa_round_robin_scheduling 0
		.amdhsa_exception_fp_ieee_invalid_op 0
		.amdhsa_exception_fp_denorm_src 0
		.amdhsa_exception_fp_ieee_div_zero 0
		.amdhsa_exception_fp_ieee_overflow 0
		.amdhsa_exception_fp_ieee_underflow 0
		.amdhsa_exception_fp_ieee_inexact 0
		.amdhsa_exception_int_div_zero 0
	.end_amdhsa_kernel
	.section	.text._ZN7rocprim17ROCPRIM_400000_NS6detail17trampoline_kernelINS0_14default_configENS1_35radix_sort_onesweep_config_selectorIjN6thrust23THRUST_200600_302600_NS5tupleIffNS6_9null_typeES8_S8_S8_S8_S8_S8_S8_EEEEZNS1_34radix_sort_onesweep_global_offsetsIS3_Lb0ENS6_6detail15normal_iteratorINS6_10device_ptrIjEEEENSD_INSE_IS9_EEEEjNS0_19identity_decomposerEEE10hipError_tT1_T2_PT3_SN_jT4_jjP12ihipStream_tbEUlT_E0_NS1_11comp_targetILNS1_3genE4ELNS1_11target_archE910ELNS1_3gpuE8ELNS1_3repE0EEENS1_52radix_sort_onesweep_histogram_config_static_selectorELNS0_4arch9wavefront6targetE0EEEvSL_,"axG",@progbits,_ZN7rocprim17ROCPRIM_400000_NS6detail17trampoline_kernelINS0_14default_configENS1_35radix_sort_onesweep_config_selectorIjN6thrust23THRUST_200600_302600_NS5tupleIffNS6_9null_typeES8_S8_S8_S8_S8_S8_S8_EEEEZNS1_34radix_sort_onesweep_global_offsetsIS3_Lb0ENS6_6detail15normal_iteratorINS6_10device_ptrIjEEEENSD_INSE_IS9_EEEEjNS0_19identity_decomposerEEE10hipError_tT1_T2_PT3_SN_jT4_jjP12ihipStream_tbEUlT_E0_NS1_11comp_targetILNS1_3genE4ELNS1_11target_archE910ELNS1_3gpuE8ELNS1_3repE0EEENS1_52radix_sort_onesweep_histogram_config_static_selectorELNS0_4arch9wavefront6targetE0EEEvSL_,comdat
.Lfunc_end152:
	.size	_ZN7rocprim17ROCPRIM_400000_NS6detail17trampoline_kernelINS0_14default_configENS1_35radix_sort_onesweep_config_selectorIjN6thrust23THRUST_200600_302600_NS5tupleIffNS6_9null_typeES8_S8_S8_S8_S8_S8_S8_EEEEZNS1_34radix_sort_onesweep_global_offsetsIS3_Lb0ENS6_6detail15normal_iteratorINS6_10device_ptrIjEEEENSD_INSE_IS9_EEEEjNS0_19identity_decomposerEEE10hipError_tT1_T2_PT3_SN_jT4_jjP12ihipStream_tbEUlT_E0_NS1_11comp_targetILNS1_3genE4ELNS1_11target_archE910ELNS1_3gpuE8ELNS1_3repE0EEENS1_52radix_sort_onesweep_histogram_config_static_selectorELNS0_4arch9wavefront6targetE0EEEvSL_, .Lfunc_end152-_ZN7rocprim17ROCPRIM_400000_NS6detail17trampoline_kernelINS0_14default_configENS1_35radix_sort_onesweep_config_selectorIjN6thrust23THRUST_200600_302600_NS5tupleIffNS6_9null_typeES8_S8_S8_S8_S8_S8_S8_EEEEZNS1_34radix_sort_onesweep_global_offsetsIS3_Lb0ENS6_6detail15normal_iteratorINS6_10device_ptrIjEEEENSD_INSE_IS9_EEEEjNS0_19identity_decomposerEEE10hipError_tT1_T2_PT3_SN_jT4_jjP12ihipStream_tbEUlT_E0_NS1_11comp_targetILNS1_3genE4ELNS1_11target_archE910ELNS1_3gpuE8ELNS1_3repE0EEENS1_52radix_sort_onesweep_histogram_config_static_selectorELNS0_4arch9wavefront6targetE0EEEvSL_
                                        ; -- End function
	.set _ZN7rocprim17ROCPRIM_400000_NS6detail17trampoline_kernelINS0_14default_configENS1_35radix_sort_onesweep_config_selectorIjN6thrust23THRUST_200600_302600_NS5tupleIffNS6_9null_typeES8_S8_S8_S8_S8_S8_S8_EEEEZNS1_34radix_sort_onesweep_global_offsetsIS3_Lb0ENS6_6detail15normal_iteratorINS6_10device_ptrIjEEEENSD_INSE_IS9_EEEEjNS0_19identity_decomposerEEE10hipError_tT1_T2_PT3_SN_jT4_jjP12ihipStream_tbEUlT_E0_NS1_11comp_targetILNS1_3genE4ELNS1_11target_archE910ELNS1_3gpuE8ELNS1_3repE0EEENS1_52radix_sort_onesweep_histogram_config_static_selectorELNS0_4arch9wavefront6targetE0EEEvSL_.num_vgpr, 0
	.set _ZN7rocprim17ROCPRIM_400000_NS6detail17trampoline_kernelINS0_14default_configENS1_35radix_sort_onesweep_config_selectorIjN6thrust23THRUST_200600_302600_NS5tupleIffNS6_9null_typeES8_S8_S8_S8_S8_S8_S8_EEEEZNS1_34radix_sort_onesweep_global_offsetsIS3_Lb0ENS6_6detail15normal_iteratorINS6_10device_ptrIjEEEENSD_INSE_IS9_EEEEjNS0_19identity_decomposerEEE10hipError_tT1_T2_PT3_SN_jT4_jjP12ihipStream_tbEUlT_E0_NS1_11comp_targetILNS1_3genE4ELNS1_11target_archE910ELNS1_3gpuE8ELNS1_3repE0EEENS1_52radix_sort_onesweep_histogram_config_static_selectorELNS0_4arch9wavefront6targetE0EEEvSL_.num_agpr, 0
	.set _ZN7rocprim17ROCPRIM_400000_NS6detail17trampoline_kernelINS0_14default_configENS1_35radix_sort_onesweep_config_selectorIjN6thrust23THRUST_200600_302600_NS5tupleIffNS6_9null_typeES8_S8_S8_S8_S8_S8_S8_EEEEZNS1_34radix_sort_onesweep_global_offsetsIS3_Lb0ENS6_6detail15normal_iteratorINS6_10device_ptrIjEEEENSD_INSE_IS9_EEEEjNS0_19identity_decomposerEEE10hipError_tT1_T2_PT3_SN_jT4_jjP12ihipStream_tbEUlT_E0_NS1_11comp_targetILNS1_3genE4ELNS1_11target_archE910ELNS1_3gpuE8ELNS1_3repE0EEENS1_52radix_sort_onesweep_histogram_config_static_selectorELNS0_4arch9wavefront6targetE0EEEvSL_.numbered_sgpr, 0
	.set _ZN7rocprim17ROCPRIM_400000_NS6detail17trampoline_kernelINS0_14default_configENS1_35radix_sort_onesweep_config_selectorIjN6thrust23THRUST_200600_302600_NS5tupleIffNS6_9null_typeES8_S8_S8_S8_S8_S8_S8_EEEEZNS1_34radix_sort_onesweep_global_offsetsIS3_Lb0ENS6_6detail15normal_iteratorINS6_10device_ptrIjEEEENSD_INSE_IS9_EEEEjNS0_19identity_decomposerEEE10hipError_tT1_T2_PT3_SN_jT4_jjP12ihipStream_tbEUlT_E0_NS1_11comp_targetILNS1_3genE4ELNS1_11target_archE910ELNS1_3gpuE8ELNS1_3repE0EEENS1_52radix_sort_onesweep_histogram_config_static_selectorELNS0_4arch9wavefront6targetE0EEEvSL_.num_named_barrier, 0
	.set _ZN7rocprim17ROCPRIM_400000_NS6detail17trampoline_kernelINS0_14default_configENS1_35radix_sort_onesweep_config_selectorIjN6thrust23THRUST_200600_302600_NS5tupleIffNS6_9null_typeES8_S8_S8_S8_S8_S8_S8_EEEEZNS1_34radix_sort_onesweep_global_offsetsIS3_Lb0ENS6_6detail15normal_iteratorINS6_10device_ptrIjEEEENSD_INSE_IS9_EEEEjNS0_19identity_decomposerEEE10hipError_tT1_T2_PT3_SN_jT4_jjP12ihipStream_tbEUlT_E0_NS1_11comp_targetILNS1_3genE4ELNS1_11target_archE910ELNS1_3gpuE8ELNS1_3repE0EEENS1_52radix_sort_onesweep_histogram_config_static_selectorELNS0_4arch9wavefront6targetE0EEEvSL_.private_seg_size, 0
	.set _ZN7rocprim17ROCPRIM_400000_NS6detail17trampoline_kernelINS0_14default_configENS1_35radix_sort_onesweep_config_selectorIjN6thrust23THRUST_200600_302600_NS5tupleIffNS6_9null_typeES8_S8_S8_S8_S8_S8_S8_EEEEZNS1_34radix_sort_onesweep_global_offsetsIS3_Lb0ENS6_6detail15normal_iteratorINS6_10device_ptrIjEEEENSD_INSE_IS9_EEEEjNS0_19identity_decomposerEEE10hipError_tT1_T2_PT3_SN_jT4_jjP12ihipStream_tbEUlT_E0_NS1_11comp_targetILNS1_3genE4ELNS1_11target_archE910ELNS1_3gpuE8ELNS1_3repE0EEENS1_52radix_sort_onesweep_histogram_config_static_selectorELNS0_4arch9wavefront6targetE0EEEvSL_.uses_vcc, 0
	.set _ZN7rocprim17ROCPRIM_400000_NS6detail17trampoline_kernelINS0_14default_configENS1_35radix_sort_onesweep_config_selectorIjN6thrust23THRUST_200600_302600_NS5tupleIffNS6_9null_typeES8_S8_S8_S8_S8_S8_S8_EEEEZNS1_34radix_sort_onesweep_global_offsetsIS3_Lb0ENS6_6detail15normal_iteratorINS6_10device_ptrIjEEEENSD_INSE_IS9_EEEEjNS0_19identity_decomposerEEE10hipError_tT1_T2_PT3_SN_jT4_jjP12ihipStream_tbEUlT_E0_NS1_11comp_targetILNS1_3genE4ELNS1_11target_archE910ELNS1_3gpuE8ELNS1_3repE0EEENS1_52radix_sort_onesweep_histogram_config_static_selectorELNS0_4arch9wavefront6targetE0EEEvSL_.uses_flat_scratch, 0
	.set _ZN7rocprim17ROCPRIM_400000_NS6detail17trampoline_kernelINS0_14default_configENS1_35radix_sort_onesweep_config_selectorIjN6thrust23THRUST_200600_302600_NS5tupleIffNS6_9null_typeES8_S8_S8_S8_S8_S8_S8_EEEEZNS1_34radix_sort_onesweep_global_offsetsIS3_Lb0ENS6_6detail15normal_iteratorINS6_10device_ptrIjEEEENSD_INSE_IS9_EEEEjNS0_19identity_decomposerEEE10hipError_tT1_T2_PT3_SN_jT4_jjP12ihipStream_tbEUlT_E0_NS1_11comp_targetILNS1_3genE4ELNS1_11target_archE910ELNS1_3gpuE8ELNS1_3repE0EEENS1_52radix_sort_onesweep_histogram_config_static_selectorELNS0_4arch9wavefront6targetE0EEEvSL_.has_dyn_sized_stack, 0
	.set _ZN7rocprim17ROCPRIM_400000_NS6detail17trampoline_kernelINS0_14default_configENS1_35radix_sort_onesweep_config_selectorIjN6thrust23THRUST_200600_302600_NS5tupleIffNS6_9null_typeES8_S8_S8_S8_S8_S8_S8_EEEEZNS1_34radix_sort_onesweep_global_offsetsIS3_Lb0ENS6_6detail15normal_iteratorINS6_10device_ptrIjEEEENSD_INSE_IS9_EEEEjNS0_19identity_decomposerEEE10hipError_tT1_T2_PT3_SN_jT4_jjP12ihipStream_tbEUlT_E0_NS1_11comp_targetILNS1_3genE4ELNS1_11target_archE910ELNS1_3gpuE8ELNS1_3repE0EEENS1_52radix_sort_onesweep_histogram_config_static_selectorELNS0_4arch9wavefront6targetE0EEEvSL_.has_recursion, 0
	.set _ZN7rocprim17ROCPRIM_400000_NS6detail17trampoline_kernelINS0_14default_configENS1_35radix_sort_onesweep_config_selectorIjN6thrust23THRUST_200600_302600_NS5tupleIffNS6_9null_typeES8_S8_S8_S8_S8_S8_S8_EEEEZNS1_34radix_sort_onesweep_global_offsetsIS3_Lb0ENS6_6detail15normal_iteratorINS6_10device_ptrIjEEEENSD_INSE_IS9_EEEEjNS0_19identity_decomposerEEE10hipError_tT1_T2_PT3_SN_jT4_jjP12ihipStream_tbEUlT_E0_NS1_11comp_targetILNS1_3genE4ELNS1_11target_archE910ELNS1_3gpuE8ELNS1_3repE0EEENS1_52radix_sort_onesweep_histogram_config_static_selectorELNS0_4arch9wavefront6targetE0EEEvSL_.has_indirect_call, 0
	.section	.AMDGPU.csdata,"",@progbits
; Kernel info:
; codeLenInByte = 0
; TotalNumSgprs: 0
; NumVgprs: 0
; ScratchSize: 0
; MemoryBound: 0
; FloatMode: 240
; IeeeMode: 1
; LDSByteSize: 0 bytes/workgroup (compile time only)
; SGPRBlocks: 0
; VGPRBlocks: 0
; NumSGPRsForWavesPerEU: 1
; NumVGPRsForWavesPerEU: 1
; NamedBarCnt: 0
; Occupancy: 16
; WaveLimiterHint : 0
; COMPUTE_PGM_RSRC2:SCRATCH_EN: 0
; COMPUTE_PGM_RSRC2:USER_SGPR: 2
; COMPUTE_PGM_RSRC2:TRAP_HANDLER: 0
; COMPUTE_PGM_RSRC2:TGID_X_EN: 1
; COMPUTE_PGM_RSRC2:TGID_Y_EN: 0
; COMPUTE_PGM_RSRC2:TGID_Z_EN: 0
; COMPUTE_PGM_RSRC2:TIDIG_COMP_CNT: 0
	.section	.text._ZN7rocprim17ROCPRIM_400000_NS6detail17trampoline_kernelINS0_14default_configENS1_35radix_sort_onesweep_config_selectorIjN6thrust23THRUST_200600_302600_NS5tupleIffNS6_9null_typeES8_S8_S8_S8_S8_S8_S8_EEEEZNS1_34radix_sort_onesweep_global_offsetsIS3_Lb0ENS6_6detail15normal_iteratorINS6_10device_ptrIjEEEENSD_INSE_IS9_EEEEjNS0_19identity_decomposerEEE10hipError_tT1_T2_PT3_SN_jT4_jjP12ihipStream_tbEUlT_E0_NS1_11comp_targetILNS1_3genE3ELNS1_11target_archE908ELNS1_3gpuE7ELNS1_3repE0EEENS1_52radix_sort_onesweep_histogram_config_static_selectorELNS0_4arch9wavefront6targetE0EEEvSL_,"axG",@progbits,_ZN7rocprim17ROCPRIM_400000_NS6detail17trampoline_kernelINS0_14default_configENS1_35radix_sort_onesweep_config_selectorIjN6thrust23THRUST_200600_302600_NS5tupleIffNS6_9null_typeES8_S8_S8_S8_S8_S8_S8_EEEEZNS1_34radix_sort_onesweep_global_offsetsIS3_Lb0ENS6_6detail15normal_iteratorINS6_10device_ptrIjEEEENSD_INSE_IS9_EEEEjNS0_19identity_decomposerEEE10hipError_tT1_T2_PT3_SN_jT4_jjP12ihipStream_tbEUlT_E0_NS1_11comp_targetILNS1_3genE3ELNS1_11target_archE908ELNS1_3gpuE7ELNS1_3repE0EEENS1_52radix_sort_onesweep_histogram_config_static_selectorELNS0_4arch9wavefront6targetE0EEEvSL_,comdat
	.protected	_ZN7rocprim17ROCPRIM_400000_NS6detail17trampoline_kernelINS0_14default_configENS1_35radix_sort_onesweep_config_selectorIjN6thrust23THRUST_200600_302600_NS5tupleIffNS6_9null_typeES8_S8_S8_S8_S8_S8_S8_EEEEZNS1_34radix_sort_onesweep_global_offsetsIS3_Lb0ENS6_6detail15normal_iteratorINS6_10device_ptrIjEEEENSD_INSE_IS9_EEEEjNS0_19identity_decomposerEEE10hipError_tT1_T2_PT3_SN_jT4_jjP12ihipStream_tbEUlT_E0_NS1_11comp_targetILNS1_3genE3ELNS1_11target_archE908ELNS1_3gpuE7ELNS1_3repE0EEENS1_52radix_sort_onesweep_histogram_config_static_selectorELNS0_4arch9wavefront6targetE0EEEvSL_ ; -- Begin function _ZN7rocprim17ROCPRIM_400000_NS6detail17trampoline_kernelINS0_14default_configENS1_35radix_sort_onesweep_config_selectorIjN6thrust23THRUST_200600_302600_NS5tupleIffNS6_9null_typeES8_S8_S8_S8_S8_S8_S8_EEEEZNS1_34radix_sort_onesweep_global_offsetsIS3_Lb0ENS6_6detail15normal_iteratorINS6_10device_ptrIjEEEENSD_INSE_IS9_EEEEjNS0_19identity_decomposerEEE10hipError_tT1_T2_PT3_SN_jT4_jjP12ihipStream_tbEUlT_E0_NS1_11comp_targetILNS1_3genE3ELNS1_11target_archE908ELNS1_3gpuE7ELNS1_3repE0EEENS1_52radix_sort_onesweep_histogram_config_static_selectorELNS0_4arch9wavefront6targetE0EEEvSL_
	.globl	_ZN7rocprim17ROCPRIM_400000_NS6detail17trampoline_kernelINS0_14default_configENS1_35radix_sort_onesweep_config_selectorIjN6thrust23THRUST_200600_302600_NS5tupleIffNS6_9null_typeES8_S8_S8_S8_S8_S8_S8_EEEEZNS1_34radix_sort_onesweep_global_offsetsIS3_Lb0ENS6_6detail15normal_iteratorINS6_10device_ptrIjEEEENSD_INSE_IS9_EEEEjNS0_19identity_decomposerEEE10hipError_tT1_T2_PT3_SN_jT4_jjP12ihipStream_tbEUlT_E0_NS1_11comp_targetILNS1_3genE3ELNS1_11target_archE908ELNS1_3gpuE7ELNS1_3repE0EEENS1_52radix_sort_onesweep_histogram_config_static_selectorELNS0_4arch9wavefront6targetE0EEEvSL_
	.p2align	8
	.type	_ZN7rocprim17ROCPRIM_400000_NS6detail17trampoline_kernelINS0_14default_configENS1_35radix_sort_onesweep_config_selectorIjN6thrust23THRUST_200600_302600_NS5tupleIffNS6_9null_typeES8_S8_S8_S8_S8_S8_S8_EEEEZNS1_34radix_sort_onesweep_global_offsetsIS3_Lb0ENS6_6detail15normal_iteratorINS6_10device_ptrIjEEEENSD_INSE_IS9_EEEEjNS0_19identity_decomposerEEE10hipError_tT1_T2_PT3_SN_jT4_jjP12ihipStream_tbEUlT_E0_NS1_11comp_targetILNS1_3genE3ELNS1_11target_archE908ELNS1_3gpuE7ELNS1_3repE0EEENS1_52radix_sort_onesweep_histogram_config_static_selectorELNS0_4arch9wavefront6targetE0EEEvSL_,@function
_ZN7rocprim17ROCPRIM_400000_NS6detail17trampoline_kernelINS0_14default_configENS1_35radix_sort_onesweep_config_selectorIjN6thrust23THRUST_200600_302600_NS5tupleIffNS6_9null_typeES8_S8_S8_S8_S8_S8_S8_EEEEZNS1_34radix_sort_onesweep_global_offsetsIS3_Lb0ENS6_6detail15normal_iteratorINS6_10device_ptrIjEEEENSD_INSE_IS9_EEEEjNS0_19identity_decomposerEEE10hipError_tT1_T2_PT3_SN_jT4_jjP12ihipStream_tbEUlT_E0_NS1_11comp_targetILNS1_3genE3ELNS1_11target_archE908ELNS1_3gpuE7ELNS1_3repE0EEENS1_52radix_sort_onesweep_histogram_config_static_selectorELNS0_4arch9wavefront6targetE0EEEvSL_: ; @_ZN7rocprim17ROCPRIM_400000_NS6detail17trampoline_kernelINS0_14default_configENS1_35radix_sort_onesweep_config_selectorIjN6thrust23THRUST_200600_302600_NS5tupleIffNS6_9null_typeES8_S8_S8_S8_S8_S8_S8_EEEEZNS1_34radix_sort_onesweep_global_offsetsIS3_Lb0ENS6_6detail15normal_iteratorINS6_10device_ptrIjEEEENSD_INSE_IS9_EEEEjNS0_19identity_decomposerEEE10hipError_tT1_T2_PT3_SN_jT4_jjP12ihipStream_tbEUlT_E0_NS1_11comp_targetILNS1_3genE3ELNS1_11target_archE908ELNS1_3gpuE7ELNS1_3repE0EEENS1_52radix_sort_onesweep_histogram_config_static_selectorELNS0_4arch9wavefront6targetE0EEEvSL_
; %bb.0:
	.section	.rodata,"a",@progbits
	.p2align	6, 0x0
	.amdhsa_kernel _ZN7rocprim17ROCPRIM_400000_NS6detail17trampoline_kernelINS0_14default_configENS1_35radix_sort_onesweep_config_selectorIjN6thrust23THRUST_200600_302600_NS5tupleIffNS6_9null_typeES8_S8_S8_S8_S8_S8_S8_EEEEZNS1_34radix_sort_onesweep_global_offsetsIS3_Lb0ENS6_6detail15normal_iteratorINS6_10device_ptrIjEEEENSD_INSE_IS9_EEEEjNS0_19identity_decomposerEEE10hipError_tT1_T2_PT3_SN_jT4_jjP12ihipStream_tbEUlT_E0_NS1_11comp_targetILNS1_3genE3ELNS1_11target_archE908ELNS1_3gpuE7ELNS1_3repE0EEENS1_52radix_sort_onesweep_histogram_config_static_selectorELNS0_4arch9wavefront6targetE0EEEvSL_
		.amdhsa_group_segment_fixed_size 0
		.amdhsa_private_segment_fixed_size 0
		.amdhsa_kernarg_size 8
		.amdhsa_user_sgpr_count 2
		.amdhsa_user_sgpr_dispatch_ptr 0
		.amdhsa_user_sgpr_queue_ptr 0
		.amdhsa_user_sgpr_kernarg_segment_ptr 1
		.amdhsa_user_sgpr_dispatch_id 0
		.amdhsa_user_sgpr_kernarg_preload_length 0
		.amdhsa_user_sgpr_kernarg_preload_offset 0
		.amdhsa_user_sgpr_private_segment_size 0
		.amdhsa_wavefront_size32 1
		.amdhsa_uses_dynamic_stack 0
		.amdhsa_enable_private_segment 0
		.amdhsa_system_sgpr_workgroup_id_x 1
		.amdhsa_system_sgpr_workgroup_id_y 0
		.amdhsa_system_sgpr_workgroup_id_z 0
		.amdhsa_system_sgpr_workgroup_info 0
		.amdhsa_system_vgpr_workitem_id 0
		.amdhsa_next_free_vgpr 1
		.amdhsa_next_free_sgpr 1
		.amdhsa_named_barrier_count 0
		.amdhsa_reserve_vcc 0
		.amdhsa_float_round_mode_32 0
		.amdhsa_float_round_mode_16_64 0
		.amdhsa_float_denorm_mode_32 3
		.amdhsa_float_denorm_mode_16_64 3
		.amdhsa_fp16_overflow 0
		.amdhsa_memory_ordered 1
		.amdhsa_forward_progress 1
		.amdhsa_inst_pref_size 0
		.amdhsa_round_robin_scheduling 0
		.amdhsa_exception_fp_ieee_invalid_op 0
		.amdhsa_exception_fp_denorm_src 0
		.amdhsa_exception_fp_ieee_div_zero 0
		.amdhsa_exception_fp_ieee_overflow 0
		.amdhsa_exception_fp_ieee_underflow 0
		.amdhsa_exception_fp_ieee_inexact 0
		.amdhsa_exception_int_div_zero 0
	.end_amdhsa_kernel
	.section	.text._ZN7rocprim17ROCPRIM_400000_NS6detail17trampoline_kernelINS0_14default_configENS1_35radix_sort_onesweep_config_selectorIjN6thrust23THRUST_200600_302600_NS5tupleIffNS6_9null_typeES8_S8_S8_S8_S8_S8_S8_EEEEZNS1_34radix_sort_onesweep_global_offsetsIS3_Lb0ENS6_6detail15normal_iteratorINS6_10device_ptrIjEEEENSD_INSE_IS9_EEEEjNS0_19identity_decomposerEEE10hipError_tT1_T2_PT3_SN_jT4_jjP12ihipStream_tbEUlT_E0_NS1_11comp_targetILNS1_3genE3ELNS1_11target_archE908ELNS1_3gpuE7ELNS1_3repE0EEENS1_52radix_sort_onesweep_histogram_config_static_selectorELNS0_4arch9wavefront6targetE0EEEvSL_,"axG",@progbits,_ZN7rocprim17ROCPRIM_400000_NS6detail17trampoline_kernelINS0_14default_configENS1_35radix_sort_onesweep_config_selectorIjN6thrust23THRUST_200600_302600_NS5tupleIffNS6_9null_typeES8_S8_S8_S8_S8_S8_S8_EEEEZNS1_34radix_sort_onesweep_global_offsetsIS3_Lb0ENS6_6detail15normal_iteratorINS6_10device_ptrIjEEEENSD_INSE_IS9_EEEEjNS0_19identity_decomposerEEE10hipError_tT1_T2_PT3_SN_jT4_jjP12ihipStream_tbEUlT_E0_NS1_11comp_targetILNS1_3genE3ELNS1_11target_archE908ELNS1_3gpuE7ELNS1_3repE0EEENS1_52radix_sort_onesweep_histogram_config_static_selectorELNS0_4arch9wavefront6targetE0EEEvSL_,comdat
.Lfunc_end153:
	.size	_ZN7rocprim17ROCPRIM_400000_NS6detail17trampoline_kernelINS0_14default_configENS1_35radix_sort_onesweep_config_selectorIjN6thrust23THRUST_200600_302600_NS5tupleIffNS6_9null_typeES8_S8_S8_S8_S8_S8_S8_EEEEZNS1_34radix_sort_onesweep_global_offsetsIS3_Lb0ENS6_6detail15normal_iteratorINS6_10device_ptrIjEEEENSD_INSE_IS9_EEEEjNS0_19identity_decomposerEEE10hipError_tT1_T2_PT3_SN_jT4_jjP12ihipStream_tbEUlT_E0_NS1_11comp_targetILNS1_3genE3ELNS1_11target_archE908ELNS1_3gpuE7ELNS1_3repE0EEENS1_52radix_sort_onesweep_histogram_config_static_selectorELNS0_4arch9wavefront6targetE0EEEvSL_, .Lfunc_end153-_ZN7rocprim17ROCPRIM_400000_NS6detail17trampoline_kernelINS0_14default_configENS1_35radix_sort_onesweep_config_selectorIjN6thrust23THRUST_200600_302600_NS5tupleIffNS6_9null_typeES8_S8_S8_S8_S8_S8_S8_EEEEZNS1_34radix_sort_onesweep_global_offsetsIS3_Lb0ENS6_6detail15normal_iteratorINS6_10device_ptrIjEEEENSD_INSE_IS9_EEEEjNS0_19identity_decomposerEEE10hipError_tT1_T2_PT3_SN_jT4_jjP12ihipStream_tbEUlT_E0_NS1_11comp_targetILNS1_3genE3ELNS1_11target_archE908ELNS1_3gpuE7ELNS1_3repE0EEENS1_52radix_sort_onesweep_histogram_config_static_selectorELNS0_4arch9wavefront6targetE0EEEvSL_
                                        ; -- End function
	.set _ZN7rocprim17ROCPRIM_400000_NS6detail17trampoline_kernelINS0_14default_configENS1_35radix_sort_onesweep_config_selectorIjN6thrust23THRUST_200600_302600_NS5tupleIffNS6_9null_typeES8_S8_S8_S8_S8_S8_S8_EEEEZNS1_34radix_sort_onesweep_global_offsetsIS3_Lb0ENS6_6detail15normal_iteratorINS6_10device_ptrIjEEEENSD_INSE_IS9_EEEEjNS0_19identity_decomposerEEE10hipError_tT1_T2_PT3_SN_jT4_jjP12ihipStream_tbEUlT_E0_NS1_11comp_targetILNS1_3genE3ELNS1_11target_archE908ELNS1_3gpuE7ELNS1_3repE0EEENS1_52radix_sort_onesweep_histogram_config_static_selectorELNS0_4arch9wavefront6targetE0EEEvSL_.num_vgpr, 0
	.set _ZN7rocprim17ROCPRIM_400000_NS6detail17trampoline_kernelINS0_14default_configENS1_35radix_sort_onesweep_config_selectorIjN6thrust23THRUST_200600_302600_NS5tupleIffNS6_9null_typeES8_S8_S8_S8_S8_S8_S8_EEEEZNS1_34radix_sort_onesweep_global_offsetsIS3_Lb0ENS6_6detail15normal_iteratorINS6_10device_ptrIjEEEENSD_INSE_IS9_EEEEjNS0_19identity_decomposerEEE10hipError_tT1_T2_PT3_SN_jT4_jjP12ihipStream_tbEUlT_E0_NS1_11comp_targetILNS1_3genE3ELNS1_11target_archE908ELNS1_3gpuE7ELNS1_3repE0EEENS1_52radix_sort_onesweep_histogram_config_static_selectorELNS0_4arch9wavefront6targetE0EEEvSL_.num_agpr, 0
	.set _ZN7rocprim17ROCPRIM_400000_NS6detail17trampoline_kernelINS0_14default_configENS1_35radix_sort_onesweep_config_selectorIjN6thrust23THRUST_200600_302600_NS5tupleIffNS6_9null_typeES8_S8_S8_S8_S8_S8_S8_EEEEZNS1_34radix_sort_onesweep_global_offsetsIS3_Lb0ENS6_6detail15normal_iteratorINS6_10device_ptrIjEEEENSD_INSE_IS9_EEEEjNS0_19identity_decomposerEEE10hipError_tT1_T2_PT3_SN_jT4_jjP12ihipStream_tbEUlT_E0_NS1_11comp_targetILNS1_3genE3ELNS1_11target_archE908ELNS1_3gpuE7ELNS1_3repE0EEENS1_52radix_sort_onesweep_histogram_config_static_selectorELNS0_4arch9wavefront6targetE0EEEvSL_.numbered_sgpr, 0
	.set _ZN7rocprim17ROCPRIM_400000_NS6detail17trampoline_kernelINS0_14default_configENS1_35radix_sort_onesweep_config_selectorIjN6thrust23THRUST_200600_302600_NS5tupleIffNS6_9null_typeES8_S8_S8_S8_S8_S8_S8_EEEEZNS1_34radix_sort_onesweep_global_offsetsIS3_Lb0ENS6_6detail15normal_iteratorINS6_10device_ptrIjEEEENSD_INSE_IS9_EEEEjNS0_19identity_decomposerEEE10hipError_tT1_T2_PT3_SN_jT4_jjP12ihipStream_tbEUlT_E0_NS1_11comp_targetILNS1_3genE3ELNS1_11target_archE908ELNS1_3gpuE7ELNS1_3repE0EEENS1_52radix_sort_onesweep_histogram_config_static_selectorELNS0_4arch9wavefront6targetE0EEEvSL_.num_named_barrier, 0
	.set _ZN7rocprim17ROCPRIM_400000_NS6detail17trampoline_kernelINS0_14default_configENS1_35radix_sort_onesweep_config_selectorIjN6thrust23THRUST_200600_302600_NS5tupleIffNS6_9null_typeES8_S8_S8_S8_S8_S8_S8_EEEEZNS1_34radix_sort_onesweep_global_offsetsIS3_Lb0ENS6_6detail15normal_iteratorINS6_10device_ptrIjEEEENSD_INSE_IS9_EEEEjNS0_19identity_decomposerEEE10hipError_tT1_T2_PT3_SN_jT4_jjP12ihipStream_tbEUlT_E0_NS1_11comp_targetILNS1_3genE3ELNS1_11target_archE908ELNS1_3gpuE7ELNS1_3repE0EEENS1_52radix_sort_onesweep_histogram_config_static_selectorELNS0_4arch9wavefront6targetE0EEEvSL_.private_seg_size, 0
	.set _ZN7rocprim17ROCPRIM_400000_NS6detail17trampoline_kernelINS0_14default_configENS1_35radix_sort_onesweep_config_selectorIjN6thrust23THRUST_200600_302600_NS5tupleIffNS6_9null_typeES8_S8_S8_S8_S8_S8_S8_EEEEZNS1_34radix_sort_onesweep_global_offsetsIS3_Lb0ENS6_6detail15normal_iteratorINS6_10device_ptrIjEEEENSD_INSE_IS9_EEEEjNS0_19identity_decomposerEEE10hipError_tT1_T2_PT3_SN_jT4_jjP12ihipStream_tbEUlT_E0_NS1_11comp_targetILNS1_3genE3ELNS1_11target_archE908ELNS1_3gpuE7ELNS1_3repE0EEENS1_52radix_sort_onesweep_histogram_config_static_selectorELNS0_4arch9wavefront6targetE0EEEvSL_.uses_vcc, 0
	.set _ZN7rocprim17ROCPRIM_400000_NS6detail17trampoline_kernelINS0_14default_configENS1_35radix_sort_onesweep_config_selectorIjN6thrust23THRUST_200600_302600_NS5tupleIffNS6_9null_typeES8_S8_S8_S8_S8_S8_S8_EEEEZNS1_34radix_sort_onesweep_global_offsetsIS3_Lb0ENS6_6detail15normal_iteratorINS6_10device_ptrIjEEEENSD_INSE_IS9_EEEEjNS0_19identity_decomposerEEE10hipError_tT1_T2_PT3_SN_jT4_jjP12ihipStream_tbEUlT_E0_NS1_11comp_targetILNS1_3genE3ELNS1_11target_archE908ELNS1_3gpuE7ELNS1_3repE0EEENS1_52radix_sort_onesweep_histogram_config_static_selectorELNS0_4arch9wavefront6targetE0EEEvSL_.uses_flat_scratch, 0
	.set _ZN7rocprim17ROCPRIM_400000_NS6detail17trampoline_kernelINS0_14default_configENS1_35radix_sort_onesweep_config_selectorIjN6thrust23THRUST_200600_302600_NS5tupleIffNS6_9null_typeES8_S8_S8_S8_S8_S8_S8_EEEEZNS1_34radix_sort_onesweep_global_offsetsIS3_Lb0ENS6_6detail15normal_iteratorINS6_10device_ptrIjEEEENSD_INSE_IS9_EEEEjNS0_19identity_decomposerEEE10hipError_tT1_T2_PT3_SN_jT4_jjP12ihipStream_tbEUlT_E0_NS1_11comp_targetILNS1_3genE3ELNS1_11target_archE908ELNS1_3gpuE7ELNS1_3repE0EEENS1_52radix_sort_onesweep_histogram_config_static_selectorELNS0_4arch9wavefront6targetE0EEEvSL_.has_dyn_sized_stack, 0
	.set _ZN7rocprim17ROCPRIM_400000_NS6detail17trampoline_kernelINS0_14default_configENS1_35radix_sort_onesweep_config_selectorIjN6thrust23THRUST_200600_302600_NS5tupleIffNS6_9null_typeES8_S8_S8_S8_S8_S8_S8_EEEEZNS1_34radix_sort_onesweep_global_offsetsIS3_Lb0ENS6_6detail15normal_iteratorINS6_10device_ptrIjEEEENSD_INSE_IS9_EEEEjNS0_19identity_decomposerEEE10hipError_tT1_T2_PT3_SN_jT4_jjP12ihipStream_tbEUlT_E0_NS1_11comp_targetILNS1_3genE3ELNS1_11target_archE908ELNS1_3gpuE7ELNS1_3repE0EEENS1_52radix_sort_onesweep_histogram_config_static_selectorELNS0_4arch9wavefront6targetE0EEEvSL_.has_recursion, 0
	.set _ZN7rocprim17ROCPRIM_400000_NS6detail17trampoline_kernelINS0_14default_configENS1_35radix_sort_onesweep_config_selectorIjN6thrust23THRUST_200600_302600_NS5tupleIffNS6_9null_typeES8_S8_S8_S8_S8_S8_S8_EEEEZNS1_34radix_sort_onesweep_global_offsetsIS3_Lb0ENS6_6detail15normal_iteratorINS6_10device_ptrIjEEEENSD_INSE_IS9_EEEEjNS0_19identity_decomposerEEE10hipError_tT1_T2_PT3_SN_jT4_jjP12ihipStream_tbEUlT_E0_NS1_11comp_targetILNS1_3genE3ELNS1_11target_archE908ELNS1_3gpuE7ELNS1_3repE0EEENS1_52radix_sort_onesweep_histogram_config_static_selectorELNS0_4arch9wavefront6targetE0EEEvSL_.has_indirect_call, 0
	.section	.AMDGPU.csdata,"",@progbits
; Kernel info:
; codeLenInByte = 0
; TotalNumSgprs: 0
; NumVgprs: 0
; ScratchSize: 0
; MemoryBound: 0
; FloatMode: 240
; IeeeMode: 1
; LDSByteSize: 0 bytes/workgroup (compile time only)
; SGPRBlocks: 0
; VGPRBlocks: 0
; NumSGPRsForWavesPerEU: 1
; NumVGPRsForWavesPerEU: 1
; NamedBarCnt: 0
; Occupancy: 16
; WaveLimiterHint : 0
; COMPUTE_PGM_RSRC2:SCRATCH_EN: 0
; COMPUTE_PGM_RSRC2:USER_SGPR: 2
; COMPUTE_PGM_RSRC2:TRAP_HANDLER: 0
; COMPUTE_PGM_RSRC2:TGID_X_EN: 1
; COMPUTE_PGM_RSRC2:TGID_Y_EN: 0
; COMPUTE_PGM_RSRC2:TGID_Z_EN: 0
; COMPUTE_PGM_RSRC2:TIDIG_COMP_CNT: 0
	.section	.text._ZN7rocprim17ROCPRIM_400000_NS6detail17trampoline_kernelINS0_14default_configENS1_35radix_sort_onesweep_config_selectorIjN6thrust23THRUST_200600_302600_NS5tupleIffNS6_9null_typeES8_S8_S8_S8_S8_S8_S8_EEEEZNS1_34radix_sort_onesweep_global_offsetsIS3_Lb0ENS6_6detail15normal_iteratorINS6_10device_ptrIjEEEENSD_INSE_IS9_EEEEjNS0_19identity_decomposerEEE10hipError_tT1_T2_PT3_SN_jT4_jjP12ihipStream_tbEUlT_E0_NS1_11comp_targetILNS1_3genE10ELNS1_11target_archE1201ELNS1_3gpuE5ELNS1_3repE0EEENS1_52radix_sort_onesweep_histogram_config_static_selectorELNS0_4arch9wavefront6targetE0EEEvSL_,"axG",@progbits,_ZN7rocprim17ROCPRIM_400000_NS6detail17trampoline_kernelINS0_14default_configENS1_35radix_sort_onesweep_config_selectorIjN6thrust23THRUST_200600_302600_NS5tupleIffNS6_9null_typeES8_S8_S8_S8_S8_S8_S8_EEEEZNS1_34radix_sort_onesweep_global_offsetsIS3_Lb0ENS6_6detail15normal_iteratorINS6_10device_ptrIjEEEENSD_INSE_IS9_EEEEjNS0_19identity_decomposerEEE10hipError_tT1_T2_PT3_SN_jT4_jjP12ihipStream_tbEUlT_E0_NS1_11comp_targetILNS1_3genE10ELNS1_11target_archE1201ELNS1_3gpuE5ELNS1_3repE0EEENS1_52radix_sort_onesweep_histogram_config_static_selectorELNS0_4arch9wavefront6targetE0EEEvSL_,comdat
	.protected	_ZN7rocprim17ROCPRIM_400000_NS6detail17trampoline_kernelINS0_14default_configENS1_35radix_sort_onesweep_config_selectorIjN6thrust23THRUST_200600_302600_NS5tupleIffNS6_9null_typeES8_S8_S8_S8_S8_S8_S8_EEEEZNS1_34radix_sort_onesweep_global_offsetsIS3_Lb0ENS6_6detail15normal_iteratorINS6_10device_ptrIjEEEENSD_INSE_IS9_EEEEjNS0_19identity_decomposerEEE10hipError_tT1_T2_PT3_SN_jT4_jjP12ihipStream_tbEUlT_E0_NS1_11comp_targetILNS1_3genE10ELNS1_11target_archE1201ELNS1_3gpuE5ELNS1_3repE0EEENS1_52radix_sort_onesweep_histogram_config_static_selectorELNS0_4arch9wavefront6targetE0EEEvSL_ ; -- Begin function _ZN7rocprim17ROCPRIM_400000_NS6detail17trampoline_kernelINS0_14default_configENS1_35radix_sort_onesweep_config_selectorIjN6thrust23THRUST_200600_302600_NS5tupleIffNS6_9null_typeES8_S8_S8_S8_S8_S8_S8_EEEEZNS1_34radix_sort_onesweep_global_offsetsIS3_Lb0ENS6_6detail15normal_iteratorINS6_10device_ptrIjEEEENSD_INSE_IS9_EEEEjNS0_19identity_decomposerEEE10hipError_tT1_T2_PT3_SN_jT4_jjP12ihipStream_tbEUlT_E0_NS1_11comp_targetILNS1_3genE10ELNS1_11target_archE1201ELNS1_3gpuE5ELNS1_3repE0EEENS1_52radix_sort_onesweep_histogram_config_static_selectorELNS0_4arch9wavefront6targetE0EEEvSL_
	.globl	_ZN7rocprim17ROCPRIM_400000_NS6detail17trampoline_kernelINS0_14default_configENS1_35radix_sort_onesweep_config_selectorIjN6thrust23THRUST_200600_302600_NS5tupleIffNS6_9null_typeES8_S8_S8_S8_S8_S8_S8_EEEEZNS1_34radix_sort_onesweep_global_offsetsIS3_Lb0ENS6_6detail15normal_iteratorINS6_10device_ptrIjEEEENSD_INSE_IS9_EEEEjNS0_19identity_decomposerEEE10hipError_tT1_T2_PT3_SN_jT4_jjP12ihipStream_tbEUlT_E0_NS1_11comp_targetILNS1_3genE10ELNS1_11target_archE1201ELNS1_3gpuE5ELNS1_3repE0EEENS1_52radix_sort_onesweep_histogram_config_static_selectorELNS0_4arch9wavefront6targetE0EEEvSL_
	.p2align	8
	.type	_ZN7rocprim17ROCPRIM_400000_NS6detail17trampoline_kernelINS0_14default_configENS1_35radix_sort_onesweep_config_selectorIjN6thrust23THRUST_200600_302600_NS5tupleIffNS6_9null_typeES8_S8_S8_S8_S8_S8_S8_EEEEZNS1_34radix_sort_onesweep_global_offsetsIS3_Lb0ENS6_6detail15normal_iteratorINS6_10device_ptrIjEEEENSD_INSE_IS9_EEEEjNS0_19identity_decomposerEEE10hipError_tT1_T2_PT3_SN_jT4_jjP12ihipStream_tbEUlT_E0_NS1_11comp_targetILNS1_3genE10ELNS1_11target_archE1201ELNS1_3gpuE5ELNS1_3repE0EEENS1_52radix_sort_onesweep_histogram_config_static_selectorELNS0_4arch9wavefront6targetE0EEEvSL_,@function
_ZN7rocprim17ROCPRIM_400000_NS6detail17trampoline_kernelINS0_14default_configENS1_35radix_sort_onesweep_config_selectorIjN6thrust23THRUST_200600_302600_NS5tupleIffNS6_9null_typeES8_S8_S8_S8_S8_S8_S8_EEEEZNS1_34radix_sort_onesweep_global_offsetsIS3_Lb0ENS6_6detail15normal_iteratorINS6_10device_ptrIjEEEENSD_INSE_IS9_EEEEjNS0_19identity_decomposerEEE10hipError_tT1_T2_PT3_SN_jT4_jjP12ihipStream_tbEUlT_E0_NS1_11comp_targetILNS1_3genE10ELNS1_11target_archE1201ELNS1_3gpuE5ELNS1_3repE0EEENS1_52radix_sort_onesweep_histogram_config_static_selectorELNS0_4arch9wavefront6targetE0EEEvSL_: ; @_ZN7rocprim17ROCPRIM_400000_NS6detail17trampoline_kernelINS0_14default_configENS1_35radix_sort_onesweep_config_selectorIjN6thrust23THRUST_200600_302600_NS5tupleIffNS6_9null_typeES8_S8_S8_S8_S8_S8_S8_EEEEZNS1_34radix_sort_onesweep_global_offsetsIS3_Lb0ENS6_6detail15normal_iteratorINS6_10device_ptrIjEEEENSD_INSE_IS9_EEEEjNS0_19identity_decomposerEEE10hipError_tT1_T2_PT3_SN_jT4_jjP12ihipStream_tbEUlT_E0_NS1_11comp_targetILNS1_3genE10ELNS1_11target_archE1201ELNS1_3gpuE5ELNS1_3repE0EEENS1_52radix_sort_onesweep_histogram_config_static_selectorELNS0_4arch9wavefront6targetE0EEEvSL_
; %bb.0:
	.section	.rodata,"a",@progbits
	.p2align	6, 0x0
	.amdhsa_kernel _ZN7rocprim17ROCPRIM_400000_NS6detail17trampoline_kernelINS0_14default_configENS1_35radix_sort_onesweep_config_selectorIjN6thrust23THRUST_200600_302600_NS5tupleIffNS6_9null_typeES8_S8_S8_S8_S8_S8_S8_EEEEZNS1_34radix_sort_onesweep_global_offsetsIS3_Lb0ENS6_6detail15normal_iteratorINS6_10device_ptrIjEEEENSD_INSE_IS9_EEEEjNS0_19identity_decomposerEEE10hipError_tT1_T2_PT3_SN_jT4_jjP12ihipStream_tbEUlT_E0_NS1_11comp_targetILNS1_3genE10ELNS1_11target_archE1201ELNS1_3gpuE5ELNS1_3repE0EEENS1_52radix_sort_onesweep_histogram_config_static_selectorELNS0_4arch9wavefront6targetE0EEEvSL_
		.amdhsa_group_segment_fixed_size 0
		.amdhsa_private_segment_fixed_size 0
		.amdhsa_kernarg_size 8
		.amdhsa_user_sgpr_count 2
		.amdhsa_user_sgpr_dispatch_ptr 0
		.amdhsa_user_sgpr_queue_ptr 0
		.amdhsa_user_sgpr_kernarg_segment_ptr 1
		.amdhsa_user_sgpr_dispatch_id 0
		.amdhsa_user_sgpr_kernarg_preload_length 0
		.amdhsa_user_sgpr_kernarg_preload_offset 0
		.amdhsa_user_sgpr_private_segment_size 0
		.amdhsa_wavefront_size32 1
		.amdhsa_uses_dynamic_stack 0
		.amdhsa_enable_private_segment 0
		.amdhsa_system_sgpr_workgroup_id_x 1
		.amdhsa_system_sgpr_workgroup_id_y 0
		.amdhsa_system_sgpr_workgroup_id_z 0
		.amdhsa_system_sgpr_workgroup_info 0
		.amdhsa_system_vgpr_workitem_id 0
		.amdhsa_next_free_vgpr 1
		.amdhsa_next_free_sgpr 1
		.amdhsa_named_barrier_count 0
		.amdhsa_reserve_vcc 0
		.amdhsa_float_round_mode_32 0
		.amdhsa_float_round_mode_16_64 0
		.amdhsa_float_denorm_mode_32 3
		.amdhsa_float_denorm_mode_16_64 3
		.amdhsa_fp16_overflow 0
		.amdhsa_memory_ordered 1
		.amdhsa_forward_progress 1
		.amdhsa_inst_pref_size 0
		.amdhsa_round_robin_scheduling 0
		.amdhsa_exception_fp_ieee_invalid_op 0
		.amdhsa_exception_fp_denorm_src 0
		.amdhsa_exception_fp_ieee_div_zero 0
		.amdhsa_exception_fp_ieee_overflow 0
		.amdhsa_exception_fp_ieee_underflow 0
		.amdhsa_exception_fp_ieee_inexact 0
		.amdhsa_exception_int_div_zero 0
	.end_amdhsa_kernel
	.section	.text._ZN7rocprim17ROCPRIM_400000_NS6detail17trampoline_kernelINS0_14default_configENS1_35radix_sort_onesweep_config_selectorIjN6thrust23THRUST_200600_302600_NS5tupleIffNS6_9null_typeES8_S8_S8_S8_S8_S8_S8_EEEEZNS1_34radix_sort_onesweep_global_offsetsIS3_Lb0ENS6_6detail15normal_iteratorINS6_10device_ptrIjEEEENSD_INSE_IS9_EEEEjNS0_19identity_decomposerEEE10hipError_tT1_T2_PT3_SN_jT4_jjP12ihipStream_tbEUlT_E0_NS1_11comp_targetILNS1_3genE10ELNS1_11target_archE1201ELNS1_3gpuE5ELNS1_3repE0EEENS1_52radix_sort_onesweep_histogram_config_static_selectorELNS0_4arch9wavefront6targetE0EEEvSL_,"axG",@progbits,_ZN7rocprim17ROCPRIM_400000_NS6detail17trampoline_kernelINS0_14default_configENS1_35radix_sort_onesweep_config_selectorIjN6thrust23THRUST_200600_302600_NS5tupleIffNS6_9null_typeES8_S8_S8_S8_S8_S8_S8_EEEEZNS1_34radix_sort_onesweep_global_offsetsIS3_Lb0ENS6_6detail15normal_iteratorINS6_10device_ptrIjEEEENSD_INSE_IS9_EEEEjNS0_19identity_decomposerEEE10hipError_tT1_T2_PT3_SN_jT4_jjP12ihipStream_tbEUlT_E0_NS1_11comp_targetILNS1_3genE10ELNS1_11target_archE1201ELNS1_3gpuE5ELNS1_3repE0EEENS1_52radix_sort_onesweep_histogram_config_static_selectorELNS0_4arch9wavefront6targetE0EEEvSL_,comdat
.Lfunc_end154:
	.size	_ZN7rocprim17ROCPRIM_400000_NS6detail17trampoline_kernelINS0_14default_configENS1_35radix_sort_onesweep_config_selectorIjN6thrust23THRUST_200600_302600_NS5tupleIffNS6_9null_typeES8_S8_S8_S8_S8_S8_S8_EEEEZNS1_34radix_sort_onesweep_global_offsetsIS3_Lb0ENS6_6detail15normal_iteratorINS6_10device_ptrIjEEEENSD_INSE_IS9_EEEEjNS0_19identity_decomposerEEE10hipError_tT1_T2_PT3_SN_jT4_jjP12ihipStream_tbEUlT_E0_NS1_11comp_targetILNS1_3genE10ELNS1_11target_archE1201ELNS1_3gpuE5ELNS1_3repE0EEENS1_52radix_sort_onesweep_histogram_config_static_selectorELNS0_4arch9wavefront6targetE0EEEvSL_, .Lfunc_end154-_ZN7rocprim17ROCPRIM_400000_NS6detail17trampoline_kernelINS0_14default_configENS1_35radix_sort_onesweep_config_selectorIjN6thrust23THRUST_200600_302600_NS5tupleIffNS6_9null_typeES8_S8_S8_S8_S8_S8_S8_EEEEZNS1_34radix_sort_onesweep_global_offsetsIS3_Lb0ENS6_6detail15normal_iteratorINS6_10device_ptrIjEEEENSD_INSE_IS9_EEEEjNS0_19identity_decomposerEEE10hipError_tT1_T2_PT3_SN_jT4_jjP12ihipStream_tbEUlT_E0_NS1_11comp_targetILNS1_3genE10ELNS1_11target_archE1201ELNS1_3gpuE5ELNS1_3repE0EEENS1_52radix_sort_onesweep_histogram_config_static_selectorELNS0_4arch9wavefront6targetE0EEEvSL_
                                        ; -- End function
	.set _ZN7rocprim17ROCPRIM_400000_NS6detail17trampoline_kernelINS0_14default_configENS1_35radix_sort_onesweep_config_selectorIjN6thrust23THRUST_200600_302600_NS5tupleIffNS6_9null_typeES8_S8_S8_S8_S8_S8_S8_EEEEZNS1_34radix_sort_onesweep_global_offsetsIS3_Lb0ENS6_6detail15normal_iteratorINS6_10device_ptrIjEEEENSD_INSE_IS9_EEEEjNS0_19identity_decomposerEEE10hipError_tT1_T2_PT3_SN_jT4_jjP12ihipStream_tbEUlT_E0_NS1_11comp_targetILNS1_3genE10ELNS1_11target_archE1201ELNS1_3gpuE5ELNS1_3repE0EEENS1_52radix_sort_onesweep_histogram_config_static_selectorELNS0_4arch9wavefront6targetE0EEEvSL_.num_vgpr, 0
	.set _ZN7rocprim17ROCPRIM_400000_NS6detail17trampoline_kernelINS0_14default_configENS1_35radix_sort_onesweep_config_selectorIjN6thrust23THRUST_200600_302600_NS5tupleIffNS6_9null_typeES8_S8_S8_S8_S8_S8_S8_EEEEZNS1_34radix_sort_onesweep_global_offsetsIS3_Lb0ENS6_6detail15normal_iteratorINS6_10device_ptrIjEEEENSD_INSE_IS9_EEEEjNS0_19identity_decomposerEEE10hipError_tT1_T2_PT3_SN_jT4_jjP12ihipStream_tbEUlT_E0_NS1_11comp_targetILNS1_3genE10ELNS1_11target_archE1201ELNS1_3gpuE5ELNS1_3repE0EEENS1_52radix_sort_onesweep_histogram_config_static_selectorELNS0_4arch9wavefront6targetE0EEEvSL_.num_agpr, 0
	.set _ZN7rocprim17ROCPRIM_400000_NS6detail17trampoline_kernelINS0_14default_configENS1_35radix_sort_onesweep_config_selectorIjN6thrust23THRUST_200600_302600_NS5tupleIffNS6_9null_typeES8_S8_S8_S8_S8_S8_S8_EEEEZNS1_34radix_sort_onesweep_global_offsetsIS3_Lb0ENS6_6detail15normal_iteratorINS6_10device_ptrIjEEEENSD_INSE_IS9_EEEEjNS0_19identity_decomposerEEE10hipError_tT1_T2_PT3_SN_jT4_jjP12ihipStream_tbEUlT_E0_NS1_11comp_targetILNS1_3genE10ELNS1_11target_archE1201ELNS1_3gpuE5ELNS1_3repE0EEENS1_52radix_sort_onesweep_histogram_config_static_selectorELNS0_4arch9wavefront6targetE0EEEvSL_.numbered_sgpr, 0
	.set _ZN7rocprim17ROCPRIM_400000_NS6detail17trampoline_kernelINS0_14default_configENS1_35radix_sort_onesweep_config_selectorIjN6thrust23THRUST_200600_302600_NS5tupleIffNS6_9null_typeES8_S8_S8_S8_S8_S8_S8_EEEEZNS1_34radix_sort_onesweep_global_offsetsIS3_Lb0ENS6_6detail15normal_iteratorINS6_10device_ptrIjEEEENSD_INSE_IS9_EEEEjNS0_19identity_decomposerEEE10hipError_tT1_T2_PT3_SN_jT4_jjP12ihipStream_tbEUlT_E0_NS1_11comp_targetILNS1_3genE10ELNS1_11target_archE1201ELNS1_3gpuE5ELNS1_3repE0EEENS1_52radix_sort_onesweep_histogram_config_static_selectorELNS0_4arch9wavefront6targetE0EEEvSL_.num_named_barrier, 0
	.set _ZN7rocprim17ROCPRIM_400000_NS6detail17trampoline_kernelINS0_14default_configENS1_35radix_sort_onesweep_config_selectorIjN6thrust23THRUST_200600_302600_NS5tupleIffNS6_9null_typeES8_S8_S8_S8_S8_S8_S8_EEEEZNS1_34radix_sort_onesweep_global_offsetsIS3_Lb0ENS6_6detail15normal_iteratorINS6_10device_ptrIjEEEENSD_INSE_IS9_EEEEjNS0_19identity_decomposerEEE10hipError_tT1_T2_PT3_SN_jT4_jjP12ihipStream_tbEUlT_E0_NS1_11comp_targetILNS1_3genE10ELNS1_11target_archE1201ELNS1_3gpuE5ELNS1_3repE0EEENS1_52radix_sort_onesweep_histogram_config_static_selectorELNS0_4arch9wavefront6targetE0EEEvSL_.private_seg_size, 0
	.set _ZN7rocprim17ROCPRIM_400000_NS6detail17trampoline_kernelINS0_14default_configENS1_35radix_sort_onesweep_config_selectorIjN6thrust23THRUST_200600_302600_NS5tupleIffNS6_9null_typeES8_S8_S8_S8_S8_S8_S8_EEEEZNS1_34radix_sort_onesweep_global_offsetsIS3_Lb0ENS6_6detail15normal_iteratorINS6_10device_ptrIjEEEENSD_INSE_IS9_EEEEjNS0_19identity_decomposerEEE10hipError_tT1_T2_PT3_SN_jT4_jjP12ihipStream_tbEUlT_E0_NS1_11comp_targetILNS1_3genE10ELNS1_11target_archE1201ELNS1_3gpuE5ELNS1_3repE0EEENS1_52radix_sort_onesweep_histogram_config_static_selectorELNS0_4arch9wavefront6targetE0EEEvSL_.uses_vcc, 0
	.set _ZN7rocprim17ROCPRIM_400000_NS6detail17trampoline_kernelINS0_14default_configENS1_35radix_sort_onesweep_config_selectorIjN6thrust23THRUST_200600_302600_NS5tupleIffNS6_9null_typeES8_S8_S8_S8_S8_S8_S8_EEEEZNS1_34radix_sort_onesweep_global_offsetsIS3_Lb0ENS6_6detail15normal_iteratorINS6_10device_ptrIjEEEENSD_INSE_IS9_EEEEjNS0_19identity_decomposerEEE10hipError_tT1_T2_PT3_SN_jT4_jjP12ihipStream_tbEUlT_E0_NS1_11comp_targetILNS1_3genE10ELNS1_11target_archE1201ELNS1_3gpuE5ELNS1_3repE0EEENS1_52radix_sort_onesweep_histogram_config_static_selectorELNS0_4arch9wavefront6targetE0EEEvSL_.uses_flat_scratch, 0
	.set _ZN7rocprim17ROCPRIM_400000_NS6detail17trampoline_kernelINS0_14default_configENS1_35radix_sort_onesweep_config_selectorIjN6thrust23THRUST_200600_302600_NS5tupleIffNS6_9null_typeES8_S8_S8_S8_S8_S8_S8_EEEEZNS1_34radix_sort_onesweep_global_offsetsIS3_Lb0ENS6_6detail15normal_iteratorINS6_10device_ptrIjEEEENSD_INSE_IS9_EEEEjNS0_19identity_decomposerEEE10hipError_tT1_T2_PT3_SN_jT4_jjP12ihipStream_tbEUlT_E0_NS1_11comp_targetILNS1_3genE10ELNS1_11target_archE1201ELNS1_3gpuE5ELNS1_3repE0EEENS1_52radix_sort_onesweep_histogram_config_static_selectorELNS0_4arch9wavefront6targetE0EEEvSL_.has_dyn_sized_stack, 0
	.set _ZN7rocprim17ROCPRIM_400000_NS6detail17trampoline_kernelINS0_14default_configENS1_35radix_sort_onesweep_config_selectorIjN6thrust23THRUST_200600_302600_NS5tupleIffNS6_9null_typeES8_S8_S8_S8_S8_S8_S8_EEEEZNS1_34radix_sort_onesweep_global_offsetsIS3_Lb0ENS6_6detail15normal_iteratorINS6_10device_ptrIjEEEENSD_INSE_IS9_EEEEjNS0_19identity_decomposerEEE10hipError_tT1_T2_PT3_SN_jT4_jjP12ihipStream_tbEUlT_E0_NS1_11comp_targetILNS1_3genE10ELNS1_11target_archE1201ELNS1_3gpuE5ELNS1_3repE0EEENS1_52radix_sort_onesweep_histogram_config_static_selectorELNS0_4arch9wavefront6targetE0EEEvSL_.has_recursion, 0
	.set _ZN7rocprim17ROCPRIM_400000_NS6detail17trampoline_kernelINS0_14default_configENS1_35radix_sort_onesweep_config_selectorIjN6thrust23THRUST_200600_302600_NS5tupleIffNS6_9null_typeES8_S8_S8_S8_S8_S8_S8_EEEEZNS1_34radix_sort_onesweep_global_offsetsIS3_Lb0ENS6_6detail15normal_iteratorINS6_10device_ptrIjEEEENSD_INSE_IS9_EEEEjNS0_19identity_decomposerEEE10hipError_tT1_T2_PT3_SN_jT4_jjP12ihipStream_tbEUlT_E0_NS1_11comp_targetILNS1_3genE10ELNS1_11target_archE1201ELNS1_3gpuE5ELNS1_3repE0EEENS1_52radix_sort_onesweep_histogram_config_static_selectorELNS0_4arch9wavefront6targetE0EEEvSL_.has_indirect_call, 0
	.section	.AMDGPU.csdata,"",@progbits
; Kernel info:
; codeLenInByte = 0
; TotalNumSgprs: 0
; NumVgprs: 0
; ScratchSize: 0
; MemoryBound: 0
; FloatMode: 240
; IeeeMode: 1
; LDSByteSize: 0 bytes/workgroup (compile time only)
; SGPRBlocks: 0
; VGPRBlocks: 0
; NumSGPRsForWavesPerEU: 1
; NumVGPRsForWavesPerEU: 1
; NamedBarCnt: 0
; Occupancy: 16
; WaveLimiterHint : 0
; COMPUTE_PGM_RSRC2:SCRATCH_EN: 0
; COMPUTE_PGM_RSRC2:USER_SGPR: 2
; COMPUTE_PGM_RSRC2:TRAP_HANDLER: 0
; COMPUTE_PGM_RSRC2:TGID_X_EN: 1
; COMPUTE_PGM_RSRC2:TGID_Y_EN: 0
; COMPUTE_PGM_RSRC2:TGID_Z_EN: 0
; COMPUTE_PGM_RSRC2:TIDIG_COMP_CNT: 0
	.section	.text._ZN7rocprim17ROCPRIM_400000_NS6detail17trampoline_kernelINS0_14default_configENS1_35radix_sort_onesweep_config_selectorIjN6thrust23THRUST_200600_302600_NS5tupleIffNS6_9null_typeES8_S8_S8_S8_S8_S8_S8_EEEEZNS1_34radix_sort_onesweep_global_offsetsIS3_Lb0ENS6_6detail15normal_iteratorINS6_10device_ptrIjEEEENSD_INSE_IS9_EEEEjNS0_19identity_decomposerEEE10hipError_tT1_T2_PT3_SN_jT4_jjP12ihipStream_tbEUlT_E0_NS1_11comp_targetILNS1_3genE9ELNS1_11target_archE1100ELNS1_3gpuE3ELNS1_3repE0EEENS1_52radix_sort_onesweep_histogram_config_static_selectorELNS0_4arch9wavefront6targetE0EEEvSL_,"axG",@progbits,_ZN7rocprim17ROCPRIM_400000_NS6detail17trampoline_kernelINS0_14default_configENS1_35radix_sort_onesweep_config_selectorIjN6thrust23THRUST_200600_302600_NS5tupleIffNS6_9null_typeES8_S8_S8_S8_S8_S8_S8_EEEEZNS1_34radix_sort_onesweep_global_offsetsIS3_Lb0ENS6_6detail15normal_iteratorINS6_10device_ptrIjEEEENSD_INSE_IS9_EEEEjNS0_19identity_decomposerEEE10hipError_tT1_T2_PT3_SN_jT4_jjP12ihipStream_tbEUlT_E0_NS1_11comp_targetILNS1_3genE9ELNS1_11target_archE1100ELNS1_3gpuE3ELNS1_3repE0EEENS1_52radix_sort_onesweep_histogram_config_static_selectorELNS0_4arch9wavefront6targetE0EEEvSL_,comdat
	.protected	_ZN7rocprim17ROCPRIM_400000_NS6detail17trampoline_kernelINS0_14default_configENS1_35radix_sort_onesweep_config_selectorIjN6thrust23THRUST_200600_302600_NS5tupleIffNS6_9null_typeES8_S8_S8_S8_S8_S8_S8_EEEEZNS1_34radix_sort_onesweep_global_offsetsIS3_Lb0ENS6_6detail15normal_iteratorINS6_10device_ptrIjEEEENSD_INSE_IS9_EEEEjNS0_19identity_decomposerEEE10hipError_tT1_T2_PT3_SN_jT4_jjP12ihipStream_tbEUlT_E0_NS1_11comp_targetILNS1_3genE9ELNS1_11target_archE1100ELNS1_3gpuE3ELNS1_3repE0EEENS1_52radix_sort_onesweep_histogram_config_static_selectorELNS0_4arch9wavefront6targetE0EEEvSL_ ; -- Begin function _ZN7rocprim17ROCPRIM_400000_NS6detail17trampoline_kernelINS0_14default_configENS1_35radix_sort_onesweep_config_selectorIjN6thrust23THRUST_200600_302600_NS5tupleIffNS6_9null_typeES8_S8_S8_S8_S8_S8_S8_EEEEZNS1_34radix_sort_onesweep_global_offsetsIS3_Lb0ENS6_6detail15normal_iteratorINS6_10device_ptrIjEEEENSD_INSE_IS9_EEEEjNS0_19identity_decomposerEEE10hipError_tT1_T2_PT3_SN_jT4_jjP12ihipStream_tbEUlT_E0_NS1_11comp_targetILNS1_3genE9ELNS1_11target_archE1100ELNS1_3gpuE3ELNS1_3repE0EEENS1_52radix_sort_onesweep_histogram_config_static_selectorELNS0_4arch9wavefront6targetE0EEEvSL_
	.globl	_ZN7rocprim17ROCPRIM_400000_NS6detail17trampoline_kernelINS0_14default_configENS1_35radix_sort_onesweep_config_selectorIjN6thrust23THRUST_200600_302600_NS5tupleIffNS6_9null_typeES8_S8_S8_S8_S8_S8_S8_EEEEZNS1_34radix_sort_onesweep_global_offsetsIS3_Lb0ENS6_6detail15normal_iteratorINS6_10device_ptrIjEEEENSD_INSE_IS9_EEEEjNS0_19identity_decomposerEEE10hipError_tT1_T2_PT3_SN_jT4_jjP12ihipStream_tbEUlT_E0_NS1_11comp_targetILNS1_3genE9ELNS1_11target_archE1100ELNS1_3gpuE3ELNS1_3repE0EEENS1_52radix_sort_onesweep_histogram_config_static_selectorELNS0_4arch9wavefront6targetE0EEEvSL_
	.p2align	8
	.type	_ZN7rocprim17ROCPRIM_400000_NS6detail17trampoline_kernelINS0_14default_configENS1_35radix_sort_onesweep_config_selectorIjN6thrust23THRUST_200600_302600_NS5tupleIffNS6_9null_typeES8_S8_S8_S8_S8_S8_S8_EEEEZNS1_34radix_sort_onesweep_global_offsetsIS3_Lb0ENS6_6detail15normal_iteratorINS6_10device_ptrIjEEEENSD_INSE_IS9_EEEEjNS0_19identity_decomposerEEE10hipError_tT1_T2_PT3_SN_jT4_jjP12ihipStream_tbEUlT_E0_NS1_11comp_targetILNS1_3genE9ELNS1_11target_archE1100ELNS1_3gpuE3ELNS1_3repE0EEENS1_52radix_sort_onesweep_histogram_config_static_selectorELNS0_4arch9wavefront6targetE0EEEvSL_,@function
_ZN7rocprim17ROCPRIM_400000_NS6detail17trampoline_kernelINS0_14default_configENS1_35radix_sort_onesweep_config_selectorIjN6thrust23THRUST_200600_302600_NS5tupleIffNS6_9null_typeES8_S8_S8_S8_S8_S8_S8_EEEEZNS1_34radix_sort_onesweep_global_offsetsIS3_Lb0ENS6_6detail15normal_iteratorINS6_10device_ptrIjEEEENSD_INSE_IS9_EEEEjNS0_19identity_decomposerEEE10hipError_tT1_T2_PT3_SN_jT4_jjP12ihipStream_tbEUlT_E0_NS1_11comp_targetILNS1_3genE9ELNS1_11target_archE1100ELNS1_3gpuE3ELNS1_3repE0EEENS1_52radix_sort_onesweep_histogram_config_static_selectorELNS0_4arch9wavefront6targetE0EEEvSL_: ; @_ZN7rocprim17ROCPRIM_400000_NS6detail17trampoline_kernelINS0_14default_configENS1_35radix_sort_onesweep_config_selectorIjN6thrust23THRUST_200600_302600_NS5tupleIffNS6_9null_typeES8_S8_S8_S8_S8_S8_S8_EEEEZNS1_34radix_sort_onesweep_global_offsetsIS3_Lb0ENS6_6detail15normal_iteratorINS6_10device_ptrIjEEEENSD_INSE_IS9_EEEEjNS0_19identity_decomposerEEE10hipError_tT1_T2_PT3_SN_jT4_jjP12ihipStream_tbEUlT_E0_NS1_11comp_targetILNS1_3genE9ELNS1_11target_archE1100ELNS1_3gpuE3ELNS1_3repE0EEENS1_52radix_sort_onesweep_histogram_config_static_selectorELNS0_4arch9wavefront6targetE0EEEvSL_
; %bb.0:
	.section	.rodata,"a",@progbits
	.p2align	6, 0x0
	.amdhsa_kernel _ZN7rocprim17ROCPRIM_400000_NS6detail17trampoline_kernelINS0_14default_configENS1_35radix_sort_onesweep_config_selectorIjN6thrust23THRUST_200600_302600_NS5tupleIffNS6_9null_typeES8_S8_S8_S8_S8_S8_S8_EEEEZNS1_34radix_sort_onesweep_global_offsetsIS3_Lb0ENS6_6detail15normal_iteratorINS6_10device_ptrIjEEEENSD_INSE_IS9_EEEEjNS0_19identity_decomposerEEE10hipError_tT1_T2_PT3_SN_jT4_jjP12ihipStream_tbEUlT_E0_NS1_11comp_targetILNS1_3genE9ELNS1_11target_archE1100ELNS1_3gpuE3ELNS1_3repE0EEENS1_52radix_sort_onesweep_histogram_config_static_selectorELNS0_4arch9wavefront6targetE0EEEvSL_
		.amdhsa_group_segment_fixed_size 0
		.amdhsa_private_segment_fixed_size 0
		.amdhsa_kernarg_size 8
		.amdhsa_user_sgpr_count 2
		.amdhsa_user_sgpr_dispatch_ptr 0
		.amdhsa_user_sgpr_queue_ptr 0
		.amdhsa_user_sgpr_kernarg_segment_ptr 1
		.amdhsa_user_sgpr_dispatch_id 0
		.amdhsa_user_sgpr_kernarg_preload_length 0
		.amdhsa_user_sgpr_kernarg_preload_offset 0
		.amdhsa_user_sgpr_private_segment_size 0
		.amdhsa_wavefront_size32 1
		.amdhsa_uses_dynamic_stack 0
		.amdhsa_enable_private_segment 0
		.amdhsa_system_sgpr_workgroup_id_x 1
		.amdhsa_system_sgpr_workgroup_id_y 0
		.amdhsa_system_sgpr_workgroup_id_z 0
		.amdhsa_system_sgpr_workgroup_info 0
		.amdhsa_system_vgpr_workitem_id 0
		.amdhsa_next_free_vgpr 1
		.amdhsa_next_free_sgpr 1
		.amdhsa_named_barrier_count 0
		.amdhsa_reserve_vcc 0
		.amdhsa_float_round_mode_32 0
		.amdhsa_float_round_mode_16_64 0
		.amdhsa_float_denorm_mode_32 3
		.amdhsa_float_denorm_mode_16_64 3
		.amdhsa_fp16_overflow 0
		.amdhsa_memory_ordered 1
		.amdhsa_forward_progress 1
		.amdhsa_inst_pref_size 0
		.amdhsa_round_robin_scheduling 0
		.amdhsa_exception_fp_ieee_invalid_op 0
		.amdhsa_exception_fp_denorm_src 0
		.amdhsa_exception_fp_ieee_div_zero 0
		.amdhsa_exception_fp_ieee_overflow 0
		.amdhsa_exception_fp_ieee_underflow 0
		.amdhsa_exception_fp_ieee_inexact 0
		.amdhsa_exception_int_div_zero 0
	.end_amdhsa_kernel
	.section	.text._ZN7rocprim17ROCPRIM_400000_NS6detail17trampoline_kernelINS0_14default_configENS1_35radix_sort_onesweep_config_selectorIjN6thrust23THRUST_200600_302600_NS5tupleIffNS6_9null_typeES8_S8_S8_S8_S8_S8_S8_EEEEZNS1_34radix_sort_onesweep_global_offsetsIS3_Lb0ENS6_6detail15normal_iteratorINS6_10device_ptrIjEEEENSD_INSE_IS9_EEEEjNS0_19identity_decomposerEEE10hipError_tT1_T2_PT3_SN_jT4_jjP12ihipStream_tbEUlT_E0_NS1_11comp_targetILNS1_3genE9ELNS1_11target_archE1100ELNS1_3gpuE3ELNS1_3repE0EEENS1_52radix_sort_onesweep_histogram_config_static_selectorELNS0_4arch9wavefront6targetE0EEEvSL_,"axG",@progbits,_ZN7rocprim17ROCPRIM_400000_NS6detail17trampoline_kernelINS0_14default_configENS1_35radix_sort_onesweep_config_selectorIjN6thrust23THRUST_200600_302600_NS5tupleIffNS6_9null_typeES8_S8_S8_S8_S8_S8_S8_EEEEZNS1_34radix_sort_onesweep_global_offsetsIS3_Lb0ENS6_6detail15normal_iteratorINS6_10device_ptrIjEEEENSD_INSE_IS9_EEEEjNS0_19identity_decomposerEEE10hipError_tT1_T2_PT3_SN_jT4_jjP12ihipStream_tbEUlT_E0_NS1_11comp_targetILNS1_3genE9ELNS1_11target_archE1100ELNS1_3gpuE3ELNS1_3repE0EEENS1_52radix_sort_onesweep_histogram_config_static_selectorELNS0_4arch9wavefront6targetE0EEEvSL_,comdat
.Lfunc_end155:
	.size	_ZN7rocprim17ROCPRIM_400000_NS6detail17trampoline_kernelINS0_14default_configENS1_35radix_sort_onesweep_config_selectorIjN6thrust23THRUST_200600_302600_NS5tupleIffNS6_9null_typeES8_S8_S8_S8_S8_S8_S8_EEEEZNS1_34radix_sort_onesweep_global_offsetsIS3_Lb0ENS6_6detail15normal_iteratorINS6_10device_ptrIjEEEENSD_INSE_IS9_EEEEjNS0_19identity_decomposerEEE10hipError_tT1_T2_PT3_SN_jT4_jjP12ihipStream_tbEUlT_E0_NS1_11comp_targetILNS1_3genE9ELNS1_11target_archE1100ELNS1_3gpuE3ELNS1_3repE0EEENS1_52radix_sort_onesweep_histogram_config_static_selectorELNS0_4arch9wavefront6targetE0EEEvSL_, .Lfunc_end155-_ZN7rocprim17ROCPRIM_400000_NS6detail17trampoline_kernelINS0_14default_configENS1_35radix_sort_onesweep_config_selectorIjN6thrust23THRUST_200600_302600_NS5tupleIffNS6_9null_typeES8_S8_S8_S8_S8_S8_S8_EEEEZNS1_34radix_sort_onesweep_global_offsetsIS3_Lb0ENS6_6detail15normal_iteratorINS6_10device_ptrIjEEEENSD_INSE_IS9_EEEEjNS0_19identity_decomposerEEE10hipError_tT1_T2_PT3_SN_jT4_jjP12ihipStream_tbEUlT_E0_NS1_11comp_targetILNS1_3genE9ELNS1_11target_archE1100ELNS1_3gpuE3ELNS1_3repE0EEENS1_52radix_sort_onesweep_histogram_config_static_selectorELNS0_4arch9wavefront6targetE0EEEvSL_
                                        ; -- End function
	.set _ZN7rocprim17ROCPRIM_400000_NS6detail17trampoline_kernelINS0_14default_configENS1_35radix_sort_onesweep_config_selectorIjN6thrust23THRUST_200600_302600_NS5tupleIffNS6_9null_typeES8_S8_S8_S8_S8_S8_S8_EEEEZNS1_34radix_sort_onesweep_global_offsetsIS3_Lb0ENS6_6detail15normal_iteratorINS6_10device_ptrIjEEEENSD_INSE_IS9_EEEEjNS0_19identity_decomposerEEE10hipError_tT1_T2_PT3_SN_jT4_jjP12ihipStream_tbEUlT_E0_NS1_11comp_targetILNS1_3genE9ELNS1_11target_archE1100ELNS1_3gpuE3ELNS1_3repE0EEENS1_52radix_sort_onesweep_histogram_config_static_selectorELNS0_4arch9wavefront6targetE0EEEvSL_.num_vgpr, 0
	.set _ZN7rocprim17ROCPRIM_400000_NS6detail17trampoline_kernelINS0_14default_configENS1_35radix_sort_onesweep_config_selectorIjN6thrust23THRUST_200600_302600_NS5tupleIffNS6_9null_typeES8_S8_S8_S8_S8_S8_S8_EEEEZNS1_34radix_sort_onesweep_global_offsetsIS3_Lb0ENS6_6detail15normal_iteratorINS6_10device_ptrIjEEEENSD_INSE_IS9_EEEEjNS0_19identity_decomposerEEE10hipError_tT1_T2_PT3_SN_jT4_jjP12ihipStream_tbEUlT_E0_NS1_11comp_targetILNS1_3genE9ELNS1_11target_archE1100ELNS1_3gpuE3ELNS1_3repE0EEENS1_52radix_sort_onesweep_histogram_config_static_selectorELNS0_4arch9wavefront6targetE0EEEvSL_.num_agpr, 0
	.set _ZN7rocprim17ROCPRIM_400000_NS6detail17trampoline_kernelINS0_14default_configENS1_35radix_sort_onesweep_config_selectorIjN6thrust23THRUST_200600_302600_NS5tupleIffNS6_9null_typeES8_S8_S8_S8_S8_S8_S8_EEEEZNS1_34radix_sort_onesweep_global_offsetsIS3_Lb0ENS6_6detail15normal_iteratorINS6_10device_ptrIjEEEENSD_INSE_IS9_EEEEjNS0_19identity_decomposerEEE10hipError_tT1_T2_PT3_SN_jT4_jjP12ihipStream_tbEUlT_E0_NS1_11comp_targetILNS1_3genE9ELNS1_11target_archE1100ELNS1_3gpuE3ELNS1_3repE0EEENS1_52radix_sort_onesweep_histogram_config_static_selectorELNS0_4arch9wavefront6targetE0EEEvSL_.numbered_sgpr, 0
	.set _ZN7rocprim17ROCPRIM_400000_NS6detail17trampoline_kernelINS0_14default_configENS1_35radix_sort_onesweep_config_selectorIjN6thrust23THRUST_200600_302600_NS5tupleIffNS6_9null_typeES8_S8_S8_S8_S8_S8_S8_EEEEZNS1_34radix_sort_onesweep_global_offsetsIS3_Lb0ENS6_6detail15normal_iteratorINS6_10device_ptrIjEEEENSD_INSE_IS9_EEEEjNS0_19identity_decomposerEEE10hipError_tT1_T2_PT3_SN_jT4_jjP12ihipStream_tbEUlT_E0_NS1_11comp_targetILNS1_3genE9ELNS1_11target_archE1100ELNS1_3gpuE3ELNS1_3repE0EEENS1_52radix_sort_onesweep_histogram_config_static_selectorELNS0_4arch9wavefront6targetE0EEEvSL_.num_named_barrier, 0
	.set _ZN7rocprim17ROCPRIM_400000_NS6detail17trampoline_kernelINS0_14default_configENS1_35radix_sort_onesweep_config_selectorIjN6thrust23THRUST_200600_302600_NS5tupleIffNS6_9null_typeES8_S8_S8_S8_S8_S8_S8_EEEEZNS1_34radix_sort_onesweep_global_offsetsIS3_Lb0ENS6_6detail15normal_iteratorINS6_10device_ptrIjEEEENSD_INSE_IS9_EEEEjNS0_19identity_decomposerEEE10hipError_tT1_T2_PT3_SN_jT4_jjP12ihipStream_tbEUlT_E0_NS1_11comp_targetILNS1_3genE9ELNS1_11target_archE1100ELNS1_3gpuE3ELNS1_3repE0EEENS1_52radix_sort_onesweep_histogram_config_static_selectorELNS0_4arch9wavefront6targetE0EEEvSL_.private_seg_size, 0
	.set _ZN7rocprim17ROCPRIM_400000_NS6detail17trampoline_kernelINS0_14default_configENS1_35radix_sort_onesweep_config_selectorIjN6thrust23THRUST_200600_302600_NS5tupleIffNS6_9null_typeES8_S8_S8_S8_S8_S8_S8_EEEEZNS1_34radix_sort_onesweep_global_offsetsIS3_Lb0ENS6_6detail15normal_iteratorINS6_10device_ptrIjEEEENSD_INSE_IS9_EEEEjNS0_19identity_decomposerEEE10hipError_tT1_T2_PT3_SN_jT4_jjP12ihipStream_tbEUlT_E0_NS1_11comp_targetILNS1_3genE9ELNS1_11target_archE1100ELNS1_3gpuE3ELNS1_3repE0EEENS1_52radix_sort_onesweep_histogram_config_static_selectorELNS0_4arch9wavefront6targetE0EEEvSL_.uses_vcc, 0
	.set _ZN7rocprim17ROCPRIM_400000_NS6detail17trampoline_kernelINS0_14default_configENS1_35radix_sort_onesweep_config_selectorIjN6thrust23THRUST_200600_302600_NS5tupleIffNS6_9null_typeES8_S8_S8_S8_S8_S8_S8_EEEEZNS1_34radix_sort_onesweep_global_offsetsIS3_Lb0ENS6_6detail15normal_iteratorINS6_10device_ptrIjEEEENSD_INSE_IS9_EEEEjNS0_19identity_decomposerEEE10hipError_tT1_T2_PT3_SN_jT4_jjP12ihipStream_tbEUlT_E0_NS1_11comp_targetILNS1_3genE9ELNS1_11target_archE1100ELNS1_3gpuE3ELNS1_3repE0EEENS1_52radix_sort_onesweep_histogram_config_static_selectorELNS0_4arch9wavefront6targetE0EEEvSL_.uses_flat_scratch, 0
	.set _ZN7rocprim17ROCPRIM_400000_NS6detail17trampoline_kernelINS0_14default_configENS1_35radix_sort_onesweep_config_selectorIjN6thrust23THRUST_200600_302600_NS5tupleIffNS6_9null_typeES8_S8_S8_S8_S8_S8_S8_EEEEZNS1_34radix_sort_onesweep_global_offsetsIS3_Lb0ENS6_6detail15normal_iteratorINS6_10device_ptrIjEEEENSD_INSE_IS9_EEEEjNS0_19identity_decomposerEEE10hipError_tT1_T2_PT3_SN_jT4_jjP12ihipStream_tbEUlT_E0_NS1_11comp_targetILNS1_3genE9ELNS1_11target_archE1100ELNS1_3gpuE3ELNS1_3repE0EEENS1_52radix_sort_onesweep_histogram_config_static_selectorELNS0_4arch9wavefront6targetE0EEEvSL_.has_dyn_sized_stack, 0
	.set _ZN7rocprim17ROCPRIM_400000_NS6detail17trampoline_kernelINS0_14default_configENS1_35radix_sort_onesweep_config_selectorIjN6thrust23THRUST_200600_302600_NS5tupleIffNS6_9null_typeES8_S8_S8_S8_S8_S8_S8_EEEEZNS1_34radix_sort_onesweep_global_offsetsIS3_Lb0ENS6_6detail15normal_iteratorINS6_10device_ptrIjEEEENSD_INSE_IS9_EEEEjNS0_19identity_decomposerEEE10hipError_tT1_T2_PT3_SN_jT4_jjP12ihipStream_tbEUlT_E0_NS1_11comp_targetILNS1_3genE9ELNS1_11target_archE1100ELNS1_3gpuE3ELNS1_3repE0EEENS1_52radix_sort_onesweep_histogram_config_static_selectorELNS0_4arch9wavefront6targetE0EEEvSL_.has_recursion, 0
	.set _ZN7rocprim17ROCPRIM_400000_NS6detail17trampoline_kernelINS0_14default_configENS1_35radix_sort_onesweep_config_selectorIjN6thrust23THRUST_200600_302600_NS5tupleIffNS6_9null_typeES8_S8_S8_S8_S8_S8_S8_EEEEZNS1_34radix_sort_onesweep_global_offsetsIS3_Lb0ENS6_6detail15normal_iteratorINS6_10device_ptrIjEEEENSD_INSE_IS9_EEEEjNS0_19identity_decomposerEEE10hipError_tT1_T2_PT3_SN_jT4_jjP12ihipStream_tbEUlT_E0_NS1_11comp_targetILNS1_3genE9ELNS1_11target_archE1100ELNS1_3gpuE3ELNS1_3repE0EEENS1_52radix_sort_onesweep_histogram_config_static_selectorELNS0_4arch9wavefront6targetE0EEEvSL_.has_indirect_call, 0
	.section	.AMDGPU.csdata,"",@progbits
; Kernel info:
; codeLenInByte = 0
; TotalNumSgprs: 0
; NumVgprs: 0
; ScratchSize: 0
; MemoryBound: 0
; FloatMode: 240
; IeeeMode: 1
; LDSByteSize: 0 bytes/workgroup (compile time only)
; SGPRBlocks: 0
; VGPRBlocks: 0
; NumSGPRsForWavesPerEU: 1
; NumVGPRsForWavesPerEU: 1
; NamedBarCnt: 0
; Occupancy: 16
; WaveLimiterHint : 0
; COMPUTE_PGM_RSRC2:SCRATCH_EN: 0
; COMPUTE_PGM_RSRC2:USER_SGPR: 2
; COMPUTE_PGM_RSRC2:TRAP_HANDLER: 0
; COMPUTE_PGM_RSRC2:TGID_X_EN: 1
; COMPUTE_PGM_RSRC2:TGID_Y_EN: 0
; COMPUTE_PGM_RSRC2:TGID_Z_EN: 0
; COMPUTE_PGM_RSRC2:TIDIG_COMP_CNT: 0
	.section	.text._ZN7rocprim17ROCPRIM_400000_NS6detail17trampoline_kernelINS0_14default_configENS1_35radix_sort_onesweep_config_selectorIjN6thrust23THRUST_200600_302600_NS5tupleIffNS6_9null_typeES8_S8_S8_S8_S8_S8_S8_EEEEZNS1_34radix_sort_onesweep_global_offsetsIS3_Lb0ENS6_6detail15normal_iteratorINS6_10device_ptrIjEEEENSD_INSE_IS9_EEEEjNS0_19identity_decomposerEEE10hipError_tT1_T2_PT3_SN_jT4_jjP12ihipStream_tbEUlT_E0_NS1_11comp_targetILNS1_3genE8ELNS1_11target_archE1030ELNS1_3gpuE2ELNS1_3repE0EEENS1_52radix_sort_onesweep_histogram_config_static_selectorELNS0_4arch9wavefront6targetE0EEEvSL_,"axG",@progbits,_ZN7rocprim17ROCPRIM_400000_NS6detail17trampoline_kernelINS0_14default_configENS1_35radix_sort_onesweep_config_selectorIjN6thrust23THRUST_200600_302600_NS5tupleIffNS6_9null_typeES8_S8_S8_S8_S8_S8_S8_EEEEZNS1_34radix_sort_onesweep_global_offsetsIS3_Lb0ENS6_6detail15normal_iteratorINS6_10device_ptrIjEEEENSD_INSE_IS9_EEEEjNS0_19identity_decomposerEEE10hipError_tT1_T2_PT3_SN_jT4_jjP12ihipStream_tbEUlT_E0_NS1_11comp_targetILNS1_3genE8ELNS1_11target_archE1030ELNS1_3gpuE2ELNS1_3repE0EEENS1_52radix_sort_onesweep_histogram_config_static_selectorELNS0_4arch9wavefront6targetE0EEEvSL_,comdat
	.protected	_ZN7rocprim17ROCPRIM_400000_NS6detail17trampoline_kernelINS0_14default_configENS1_35radix_sort_onesweep_config_selectorIjN6thrust23THRUST_200600_302600_NS5tupleIffNS6_9null_typeES8_S8_S8_S8_S8_S8_S8_EEEEZNS1_34radix_sort_onesweep_global_offsetsIS3_Lb0ENS6_6detail15normal_iteratorINS6_10device_ptrIjEEEENSD_INSE_IS9_EEEEjNS0_19identity_decomposerEEE10hipError_tT1_T2_PT3_SN_jT4_jjP12ihipStream_tbEUlT_E0_NS1_11comp_targetILNS1_3genE8ELNS1_11target_archE1030ELNS1_3gpuE2ELNS1_3repE0EEENS1_52radix_sort_onesweep_histogram_config_static_selectorELNS0_4arch9wavefront6targetE0EEEvSL_ ; -- Begin function _ZN7rocprim17ROCPRIM_400000_NS6detail17trampoline_kernelINS0_14default_configENS1_35radix_sort_onesweep_config_selectorIjN6thrust23THRUST_200600_302600_NS5tupleIffNS6_9null_typeES8_S8_S8_S8_S8_S8_S8_EEEEZNS1_34radix_sort_onesweep_global_offsetsIS3_Lb0ENS6_6detail15normal_iteratorINS6_10device_ptrIjEEEENSD_INSE_IS9_EEEEjNS0_19identity_decomposerEEE10hipError_tT1_T2_PT3_SN_jT4_jjP12ihipStream_tbEUlT_E0_NS1_11comp_targetILNS1_3genE8ELNS1_11target_archE1030ELNS1_3gpuE2ELNS1_3repE0EEENS1_52radix_sort_onesweep_histogram_config_static_selectorELNS0_4arch9wavefront6targetE0EEEvSL_
	.globl	_ZN7rocprim17ROCPRIM_400000_NS6detail17trampoline_kernelINS0_14default_configENS1_35radix_sort_onesweep_config_selectorIjN6thrust23THRUST_200600_302600_NS5tupleIffNS6_9null_typeES8_S8_S8_S8_S8_S8_S8_EEEEZNS1_34radix_sort_onesweep_global_offsetsIS3_Lb0ENS6_6detail15normal_iteratorINS6_10device_ptrIjEEEENSD_INSE_IS9_EEEEjNS0_19identity_decomposerEEE10hipError_tT1_T2_PT3_SN_jT4_jjP12ihipStream_tbEUlT_E0_NS1_11comp_targetILNS1_3genE8ELNS1_11target_archE1030ELNS1_3gpuE2ELNS1_3repE0EEENS1_52radix_sort_onesweep_histogram_config_static_selectorELNS0_4arch9wavefront6targetE0EEEvSL_
	.p2align	8
	.type	_ZN7rocprim17ROCPRIM_400000_NS6detail17trampoline_kernelINS0_14default_configENS1_35radix_sort_onesweep_config_selectorIjN6thrust23THRUST_200600_302600_NS5tupleIffNS6_9null_typeES8_S8_S8_S8_S8_S8_S8_EEEEZNS1_34radix_sort_onesweep_global_offsetsIS3_Lb0ENS6_6detail15normal_iteratorINS6_10device_ptrIjEEEENSD_INSE_IS9_EEEEjNS0_19identity_decomposerEEE10hipError_tT1_T2_PT3_SN_jT4_jjP12ihipStream_tbEUlT_E0_NS1_11comp_targetILNS1_3genE8ELNS1_11target_archE1030ELNS1_3gpuE2ELNS1_3repE0EEENS1_52radix_sort_onesweep_histogram_config_static_selectorELNS0_4arch9wavefront6targetE0EEEvSL_,@function
_ZN7rocprim17ROCPRIM_400000_NS6detail17trampoline_kernelINS0_14default_configENS1_35radix_sort_onesweep_config_selectorIjN6thrust23THRUST_200600_302600_NS5tupleIffNS6_9null_typeES8_S8_S8_S8_S8_S8_S8_EEEEZNS1_34radix_sort_onesweep_global_offsetsIS3_Lb0ENS6_6detail15normal_iteratorINS6_10device_ptrIjEEEENSD_INSE_IS9_EEEEjNS0_19identity_decomposerEEE10hipError_tT1_T2_PT3_SN_jT4_jjP12ihipStream_tbEUlT_E0_NS1_11comp_targetILNS1_3genE8ELNS1_11target_archE1030ELNS1_3gpuE2ELNS1_3repE0EEENS1_52radix_sort_onesweep_histogram_config_static_selectorELNS0_4arch9wavefront6targetE0EEEvSL_: ; @_ZN7rocprim17ROCPRIM_400000_NS6detail17trampoline_kernelINS0_14default_configENS1_35radix_sort_onesweep_config_selectorIjN6thrust23THRUST_200600_302600_NS5tupleIffNS6_9null_typeES8_S8_S8_S8_S8_S8_S8_EEEEZNS1_34radix_sort_onesweep_global_offsetsIS3_Lb0ENS6_6detail15normal_iteratorINS6_10device_ptrIjEEEENSD_INSE_IS9_EEEEjNS0_19identity_decomposerEEE10hipError_tT1_T2_PT3_SN_jT4_jjP12ihipStream_tbEUlT_E0_NS1_11comp_targetILNS1_3genE8ELNS1_11target_archE1030ELNS1_3gpuE2ELNS1_3repE0EEENS1_52radix_sort_onesweep_histogram_config_static_selectorELNS0_4arch9wavefront6targetE0EEEvSL_
; %bb.0:
	.section	.rodata,"a",@progbits
	.p2align	6, 0x0
	.amdhsa_kernel _ZN7rocprim17ROCPRIM_400000_NS6detail17trampoline_kernelINS0_14default_configENS1_35radix_sort_onesweep_config_selectorIjN6thrust23THRUST_200600_302600_NS5tupleIffNS6_9null_typeES8_S8_S8_S8_S8_S8_S8_EEEEZNS1_34radix_sort_onesweep_global_offsetsIS3_Lb0ENS6_6detail15normal_iteratorINS6_10device_ptrIjEEEENSD_INSE_IS9_EEEEjNS0_19identity_decomposerEEE10hipError_tT1_T2_PT3_SN_jT4_jjP12ihipStream_tbEUlT_E0_NS1_11comp_targetILNS1_3genE8ELNS1_11target_archE1030ELNS1_3gpuE2ELNS1_3repE0EEENS1_52radix_sort_onesweep_histogram_config_static_selectorELNS0_4arch9wavefront6targetE0EEEvSL_
		.amdhsa_group_segment_fixed_size 0
		.amdhsa_private_segment_fixed_size 0
		.amdhsa_kernarg_size 8
		.amdhsa_user_sgpr_count 2
		.amdhsa_user_sgpr_dispatch_ptr 0
		.amdhsa_user_sgpr_queue_ptr 0
		.amdhsa_user_sgpr_kernarg_segment_ptr 1
		.amdhsa_user_sgpr_dispatch_id 0
		.amdhsa_user_sgpr_kernarg_preload_length 0
		.amdhsa_user_sgpr_kernarg_preload_offset 0
		.amdhsa_user_sgpr_private_segment_size 0
		.amdhsa_wavefront_size32 1
		.amdhsa_uses_dynamic_stack 0
		.amdhsa_enable_private_segment 0
		.amdhsa_system_sgpr_workgroup_id_x 1
		.amdhsa_system_sgpr_workgroup_id_y 0
		.amdhsa_system_sgpr_workgroup_id_z 0
		.amdhsa_system_sgpr_workgroup_info 0
		.amdhsa_system_vgpr_workitem_id 0
		.amdhsa_next_free_vgpr 1
		.amdhsa_next_free_sgpr 1
		.amdhsa_named_barrier_count 0
		.amdhsa_reserve_vcc 0
		.amdhsa_float_round_mode_32 0
		.amdhsa_float_round_mode_16_64 0
		.amdhsa_float_denorm_mode_32 3
		.amdhsa_float_denorm_mode_16_64 3
		.amdhsa_fp16_overflow 0
		.amdhsa_memory_ordered 1
		.amdhsa_forward_progress 1
		.amdhsa_inst_pref_size 0
		.amdhsa_round_robin_scheduling 0
		.amdhsa_exception_fp_ieee_invalid_op 0
		.amdhsa_exception_fp_denorm_src 0
		.amdhsa_exception_fp_ieee_div_zero 0
		.amdhsa_exception_fp_ieee_overflow 0
		.amdhsa_exception_fp_ieee_underflow 0
		.amdhsa_exception_fp_ieee_inexact 0
		.amdhsa_exception_int_div_zero 0
	.end_amdhsa_kernel
	.section	.text._ZN7rocprim17ROCPRIM_400000_NS6detail17trampoline_kernelINS0_14default_configENS1_35radix_sort_onesweep_config_selectorIjN6thrust23THRUST_200600_302600_NS5tupleIffNS6_9null_typeES8_S8_S8_S8_S8_S8_S8_EEEEZNS1_34radix_sort_onesweep_global_offsetsIS3_Lb0ENS6_6detail15normal_iteratorINS6_10device_ptrIjEEEENSD_INSE_IS9_EEEEjNS0_19identity_decomposerEEE10hipError_tT1_T2_PT3_SN_jT4_jjP12ihipStream_tbEUlT_E0_NS1_11comp_targetILNS1_3genE8ELNS1_11target_archE1030ELNS1_3gpuE2ELNS1_3repE0EEENS1_52radix_sort_onesweep_histogram_config_static_selectorELNS0_4arch9wavefront6targetE0EEEvSL_,"axG",@progbits,_ZN7rocprim17ROCPRIM_400000_NS6detail17trampoline_kernelINS0_14default_configENS1_35radix_sort_onesweep_config_selectorIjN6thrust23THRUST_200600_302600_NS5tupleIffNS6_9null_typeES8_S8_S8_S8_S8_S8_S8_EEEEZNS1_34radix_sort_onesweep_global_offsetsIS3_Lb0ENS6_6detail15normal_iteratorINS6_10device_ptrIjEEEENSD_INSE_IS9_EEEEjNS0_19identity_decomposerEEE10hipError_tT1_T2_PT3_SN_jT4_jjP12ihipStream_tbEUlT_E0_NS1_11comp_targetILNS1_3genE8ELNS1_11target_archE1030ELNS1_3gpuE2ELNS1_3repE0EEENS1_52radix_sort_onesweep_histogram_config_static_selectorELNS0_4arch9wavefront6targetE0EEEvSL_,comdat
.Lfunc_end156:
	.size	_ZN7rocprim17ROCPRIM_400000_NS6detail17trampoline_kernelINS0_14default_configENS1_35radix_sort_onesweep_config_selectorIjN6thrust23THRUST_200600_302600_NS5tupleIffNS6_9null_typeES8_S8_S8_S8_S8_S8_S8_EEEEZNS1_34radix_sort_onesweep_global_offsetsIS3_Lb0ENS6_6detail15normal_iteratorINS6_10device_ptrIjEEEENSD_INSE_IS9_EEEEjNS0_19identity_decomposerEEE10hipError_tT1_T2_PT3_SN_jT4_jjP12ihipStream_tbEUlT_E0_NS1_11comp_targetILNS1_3genE8ELNS1_11target_archE1030ELNS1_3gpuE2ELNS1_3repE0EEENS1_52radix_sort_onesweep_histogram_config_static_selectorELNS0_4arch9wavefront6targetE0EEEvSL_, .Lfunc_end156-_ZN7rocprim17ROCPRIM_400000_NS6detail17trampoline_kernelINS0_14default_configENS1_35radix_sort_onesweep_config_selectorIjN6thrust23THRUST_200600_302600_NS5tupleIffNS6_9null_typeES8_S8_S8_S8_S8_S8_S8_EEEEZNS1_34radix_sort_onesweep_global_offsetsIS3_Lb0ENS6_6detail15normal_iteratorINS6_10device_ptrIjEEEENSD_INSE_IS9_EEEEjNS0_19identity_decomposerEEE10hipError_tT1_T2_PT3_SN_jT4_jjP12ihipStream_tbEUlT_E0_NS1_11comp_targetILNS1_3genE8ELNS1_11target_archE1030ELNS1_3gpuE2ELNS1_3repE0EEENS1_52radix_sort_onesweep_histogram_config_static_selectorELNS0_4arch9wavefront6targetE0EEEvSL_
                                        ; -- End function
	.set _ZN7rocprim17ROCPRIM_400000_NS6detail17trampoline_kernelINS0_14default_configENS1_35radix_sort_onesweep_config_selectorIjN6thrust23THRUST_200600_302600_NS5tupleIffNS6_9null_typeES8_S8_S8_S8_S8_S8_S8_EEEEZNS1_34radix_sort_onesweep_global_offsetsIS3_Lb0ENS6_6detail15normal_iteratorINS6_10device_ptrIjEEEENSD_INSE_IS9_EEEEjNS0_19identity_decomposerEEE10hipError_tT1_T2_PT3_SN_jT4_jjP12ihipStream_tbEUlT_E0_NS1_11comp_targetILNS1_3genE8ELNS1_11target_archE1030ELNS1_3gpuE2ELNS1_3repE0EEENS1_52radix_sort_onesweep_histogram_config_static_selectorELNS0_4arch9wavefront6targetE0EEEvSL_.num_vgpr, 0
	.set _ZN7rocprim17ROCPRIM_400000_NS6detail17trampoline_kernelINS0_14default_configENS1_35radix_sort_onesweep_config_selectorIjN6thrust23THRUST_200600_302600_NS5tupleIffNS6_9null_typeES8_S8_S8_S8_S8_S8_S8_EEEEZNS1_34radix_sort_onesweep_global_offsetsIS3_Lb0ENS6_6detail15normal_iteratorINS6_10device_ptrIjEEEENSD_INSE_IS9_EEEEjNS0_19identity_decomposerEEE10hipError_tT1_T2_PT3_SN_jT4_jjP12ihipStream_tbEUlT_E0_NS1_11comp_targetILNS1_3genE8ELNS1_11target_archE1030ELNS1_3gpuE2ELNS1_3repE0EEENS1_52radix_sort_onesweep_histogram_config_static_selectorELNS0_4arch9wavefront6targetE0EEEvSL_.num_agpr, 0
	.set _ZN7rocprim17ROCPRIM_400000_NS6detail17trampoline_kernelINS0_14default_configENS1_35radix_sort_onesweep_config_selectorIjN6thrust23THRUST_200600_302600_NS5tupleIffNS6_9null_typeES8_S8_S8_S8_S8_S8_S8_EEEEZNS1_34radix_sort_onesweep_global_offsetsIS3_Lb0ENS6_6detail15normal_iteratorINS6_10device_ptrIjEEEENSD_INSE_IS9_EEEEjNS0_19identity_decomposerEEE10hipError_tT1_T2_PT3_SN_jT4_jjP12ihipStream_tbEUlT_E0_NS1_11comp_targetILNS1_3genE8ELNS1_11target_archE1030ELNS1_3gpuE2ELNS1_3repE0EEENS1_52radix_sort_onesweep_histogram_config_static_selectorELNS0_4arch9wavefront6targetE0EEEvSL_.numbered_sgpr, 0
	.set _ZN7rocprim17ROCPRIM_400000_NS6detail17trampoline_kernelINS0_14default_configENS1_35radix_sort_onesweep_config_selectorIjN6thrust23THRUST_200600_302600_NS5tupleIffNS6_9null_typeES8_S8_S8_S8_S8_S8_S8_EEEEZNS1_34radix_sort_onesweep_global_offsetsIS3_Lb0ENS6_6detail15normal_iteratorINS6_10device_ptrIjEEEENSD_INSE_IS9_EEEEjNS0_19identity_decomposerEEE10hipError_tT1_T2_PT3_SN_jT4_jjP12ihipStream_tbEUlT_E0_NS1_11comp_targetILNS1_3genE8ELNS1_11target_archE1030ELNS1_3gpuE2ELNS1_3repE0EEENS1_52radix_sort_onesweep_histogram_config_static_selectorELNS0_4arch9wavefront6targetE0EEEvSL_.num_named_barrier, 0
	.set _ZN7rocprim17ROCPRIM_400000_NS6detail17trampoline_kernelINS0_14default_configENS1_35radix_sort_onesweep_config_selectorIjN6thrust23THRUST_200600_302600_NS5tupleIffNS6_9null_typeES8_S8_S8_S8_S8_S8_S8_EEEEZNS1_34radix_sort_onesweep_global_offsetsIS3_Lb0ENS6_6detail15normal_iteratorINS6_10device_ptrIjEEEENSD_INSE_IS9_EEEEjNS0_19identity_decomposerEEE10hipError_tT1_T2_PT3_SN_jT4_jjP12ihipStream_tbEUlT_E0_NS1_11comp_targetILNS1_3genE8ELNS1_11target_archE1030ELNS1_3gpuE2ELNS1_3repE0EEENS1_52radix_sort_onesweep_histogram_config_static_selectorELNS0_4arch9wavefront6targetE0EEEvSL_.private_seg_size, 0
	.set _ZN7rocprim17ROCPRIM_400000_NS6detail17trampoline_kernelINS0_14default_configENS1_35radix_sort_onesweep_config_selectorIjN6thrust23THRUST_200600_302600_NS5tupleIffNS6_9null_typeES8_S8_S8_S8_S8_S8_S8_EEEEZNS1_34radix_sort_onesweep_global_offsetsIS3_Lb0ENS6_6detail15normal_iteratorINS6_10device_ptrIjEEEENSD_INSE_IS9_EEEEjNS0_19identity_decomposerEEE10hipError_tT1_T2_PT3_SN_jT4_jjP12ihipStream_tbEUlT_E0_NS1_11comp_targetILNS1_3genE8ELNS1_11target_archE1030ELNS1_3gpuE2ELNS1_3repE0EEENS1_52radix_sort_onesweep_histogram_config_static_selectorELNS0_4arch9wavefront6targetE0EEEvSL_.uses_vcc, 0
	.set _ZN7rocprim17ROCPRIM_400000_NS6detail17trampoline_kernelINS0_14default_configENS1_35radix_sort_onesweep_config_selectorIjN6thrust23THRUST_200600_302600_NS5tupleIffNS6_9null_typeES8_S8_S8_S8_S8_S8_S8_EEEEZNS1_34radix_sort_onesweep_global_offsetsIS3_Lb0ENS6_6detail15normal_iteratorINS6_10device_ptrIjEEEENSD_INSE_IS9_EEEEjNS0_19identity_decomposerEEE10hipError_tT1_T2_PT3_SN_jT4_jjP12ihipStream_tbEUlT_E0_NS1_11comp_targetILNS1_3genE8ELNS1_11target_archE1030ELNS1_3gpuE2ELNS1_3repE0EEENS1_52radix_sort_onesweep_histogram_config_static_selectorELNS0_4arch9wavefront6targetE0EEEvSL_.uses_flat_scratch, 0
	.set _ZN7rocprim17ROCPRIM_400000_NS6detail17trampoline_kernelINS0_14default_configENS1_35radix_sort_onesweep_config_selectorIjN6thrust23THRUST_200600_302600_NS5tupleIffNS6_9null_typeES8_S8_S8_S8_S8_S8_S8_EEEEZNS1_34radix_sort_onesweep_global_offsetsIS3_Lb0ENS6_6detail15normal_iteratorINS6_10device_ptrIjEEEENSD_INSE_IS9_EEEEjNS0_19identity_decomposerEEE10hipError_tT1_T2_PT3_SN_jT4_jjP12ihipStream_tbEUlT_E0_NS1_11comp_targetILNS1_3genE8ELNS1_11target_archE1030ELNS1_3gpuE2ELNS1_3repE0EEENS1_52radix_sort_onesweep_histogram_config_static_selectorELNS0_4arch9wavefront6targetE0EEEvSL_.has_dyn_sized_stack, 0
	.set _ZN7rocprim17ROCPRIM_400000_NS6detail17trampoline_kernelINS0_14default_configENS1_35radix_sort_onesweep_config_selectorIjN6thrust23THRUST_200600_302600_NS5tupleIffNS6_9null_typeES8_S8_S8_S8_S8_S8_S8_EEEEZNS1_34radix_sort_onesweep_global_offsetsIS3_Lb0ENS6_6detail15normal_iteratorINS6_10device_ptrIjEEEENSD_INSE_IS9_EEEEjNS0_19identity_decomposerEEE10hipError_tT1_T2_PT3_SN_jT4_jjP12ihipStream_tbEUlT_E0_NS1_11comp_targetILNS1_3genE8ELNS1_11target_archE1030ELNS1_3gpuE2ELNS1_3repE0EEENS1_52radix_sort_onesweep_histogram_config_static_selectorELNS0_4arch9wavefront6targetE0EEEvSL_.has_recursion, 0
	.set _ZN7rocprim17ROCPRIM_400000_NS6detail17trampoline_kernelINS0_14default_configENS1_35radix_sort_onesweep_config_selectorIjN6thrust23THRUST_200600_302600_NS5tupleIffNS6_9null_typeES8_S8_S8_S8_S8_S8_S8_EEEEZNS1_34radix_sort_onesweep_global_offsetsIS3_Lb0ENS6_6detail15normal_iteratorINS6_10device_ptrIjEEEENSD_INSE_IS9_EEEEjNS0_19identity_decomposerEEE10hipError_tT1_T2_PT3_SN_jT4_jjP12ihipStream_tbEUlT_E0_NS1_11comp_targetILNS1_3genE8ELNS1_11target_archE1030ELNS1_3gpuE2ELNS1_3repE0EEENS1_52radix_sort_onesweep_histogram_config_static_selectorELNS0_4arch9wavefront6targetE0EEEvSL_.has_indirect_call, 0
	.section	.AMDGPU.csdata,"",@progbits
; Kernel info:
; codeLenInByte = 0
; TotalNumSgprs: 0
; NumVgprs: 0
; ScratchSize: 0
; MemoryBound: 0
; FloatMode: 240
; IeeeMode: 1
; LDSByteSize: 0 bytes/workgroup (compile time only)
; SGPRBlocks: 0
; VGPRBlocks: 0
; NumSGPRsForWavesPerEU: 1
; NumVGPRsForWavesPerEU: 1
; NamedBarCnt: 0
; Occupancy: 16
; WaveLimiterHint : 0
; COMPUTE_PGM_RSRC2:SCRATCH_EN: 0
; COMPUTE_PGM_RSRC2:USER_SGPR: 2
; COMPUTE_PGM_RSRC2:TRAP_HANDLER: 0
; COMPUTE_PGM_RSRC2:TGID_X_EN: 1
; COMPUTE_PGM_RSRC2:TGID_Y_EN: 0
; COMPUTE_PGM_RSRC2:TGID_Z_EN: 0
; COMPUTE_PGM_RSRC2:TIDIG_COMP_CNT: 0
	.section	.text._ZN7rocprim17ROCPRIM_400000_NS6detail17trampoline_kernelINS0_14default_configENS1_25transform_config_selectorIjLb0EEEZNS1_14transform_implILb0ES3_S5_N6thrust23THRUST_200600_302600_NS6detail15normal_iteratorINS8_10device_ptrIjEEEEPjNS0_8identityIjEEEE10hipError_tT2_T3_mT4_P12ihipStream_tbEUlT_E_NS1_11comp_targetILNS1_3genE0ELNS1_11target_archE4294967295ELNS1_3gpuE0ELNS1_3repE0EEENS1_30default_config_static_selectorELNS0_4arch9wavefront6targetE0EEEvT1_,"axG",@progbits,_ZN7rocprim17ROCPRIM_400000_NS6detail17trampoline_kernelINS0_14default_configENS1_25transform_config_selectorIjLb0EEEZNS1_14transform_implILb0ES3_S5_N6thrust23THRUST_200600_302600_NS6detail15normal_iteratorINS8_10device_ptrIjEEEEPjNS0_8identityIjEEEE10hipError_tT2_T3_mT4_P12ihipStream_tbEUlT_E_NS1_11comp_targetILNS1_3genE0ELNS1_11target_archE4294967295ELNS1_3gpuE0ELNS1_3repE0EEENS1_30default_config_static_selectorELNS0_4arch9wavefront6targetE0EEEvT1_,comdat
	.protected	_ZN7rocprim17ROCPRIM_400000_NS6detail17trampoline_kernelINS0_14default_configENS1_25transform_config_selectorIjLb0EEEZNS1_14transform_implILb0ES3_S5_N6thrust23THRUST_200600_302600_NS6detail15normal_iteratorINS8_10device_ptrIjEEEEPjNS0_8identityIjEEEE10hipError_tT2_T3_mT4_P12ihipStream_tbEUlT_E_NS1_11comp_targetILNS1_3genE0ELNS1_11target_archE4294967295ELNS1_3gpuE0ELNS1_3repE0EEENS1_30default_config_static_selectorELNS0_4arch9wavefront6targetE0EEEvT1_ ; -- Begin function _ZN7rocprim17ROCPRIM_400000_NS6detail17trampoline_kernelINS0_14default_configENS1_25transform_config_selectorIjLb0EEEZNS1_14transform_implILb0ES3_S5_N6thrust23THRUST_200600_302600_NS6detail15normal_iteratorINS8_10device_ptrIjEEEEPjNS0_8identityIjEEEE10hipError_tT2_T3_mT4_P12ihipStream_tbEUlT_E_NS1_11comp_targetILNS1_3genE0ELNS1_11target_archE4294967295ELNS1_3gpuE0ELNS1_3repE0EEENS1_30default_config_static_selectorELNS0_4arch9wavefront6targetE0EEEvT1_
	.globl	_ZN7rocprim17ROCPRIM_400000_NS6detail17trampoline_kernelINS0_14default_configENS1_25transform_config_selectorIjLb0EEEZNS1_14transform_implILb0ES3_S5_N6thrust23THRUST_200600_302600_NS6detail15normal_iteratorINS8_10device_ptrIjEEEEPjNS0_8identityIjEEEE10hipError_tT2_T3_mT4_P12ihipStream_tbEUlT_E_NS1_11comp_targetILNS1_3genE0ELNS1_11target_archE4294967295ELNS1_3gpuE0ELNS1_3repE0EEENS1_30default_config_static_selectorELNS0_4arch9wavefront6targetE0EEEvT1_
	.p2align	8
	.type	_ZN7rocprim17ROCPRIM_400000_NS6detail17trampoline_kernelINS0_14default_configENS1_25transform_config_selectorIjLb0EEEZNS1_14transform_implILb0ES3_S5_N6thrust23THRUST_200600_302600_NS6detail15normal_iteratorINS8_10device_ptrIjEEEEPjNS0_8identityIjEEEE10hipError_tT2_T3_mT4_P12ihipStream_tbEUlT_E_NS1_11comp_targetILNS1_3genE0ELNS1_11target_archE4294967295ELNS1_3gpuE0ELNS1_3repE0EEENS1_30default_config_static_selectorELNS0_4arch9wavefront6targetE0EEEvT1_,@function
_ZN7rocprim17ROCPRIM_400000_NS6detail17trampoline_kernelINS0_14default_configENS1_25transform_config_selectorIjLb0EEEZNS1_14transform_implILb0ES3_S5_N6thrust23THRUST_200600_302600_NS6detail15normal_iteratorINS8_10device_ptrIjEEEEPjNS0_8identityIjEEEE10hipError_tT2_T3_mT4_P12ihipStream_tbEUlT_E_NS1_11comp_targetILNS1_3genE0ELNS1_11target_archE4294967295ELNS1_3gpuE0ELNS1_3repE0EEENS1_30default_config_static_selectorELNS0_4arch9wavefront6targetE0EEEvT1_: ; @_ZN7rocprim17ROCPRIM_400000_NS6detail17trampoline_kernelINS0_14default_configENS1_25transform_config_selectorIjLb0EEEZNS1_14transform_implILb0ES3_S5_N6thrust23THRUST_200600_302600_NS6detail15normal_iteratorINS8_10device_ptrIjEEEEPjNS0_8identityIjEEEE10hipError_tT2_T3_mT4_P12ihipStream_tbEUlT_E_NS1_11comp_targetILNS1_3genE0ELNS1_11target_archE4294967295ELNS1_3gpuE0ELNS1_3repE0EEENS1_30default_config_static_selectorELNS0_4arch9wavefront6targetE0EEEvT1_
; %bb.0:
	s_load_b256 s[4:11], s[0:1], 0x0
	s_wait_kmcnt 0x0
	s_load_b32 s9, s[0:1], 0x28
                                        ; kill: killed $sgpr0_sgpr1
	s_wait_xcnt 0x0
	s_bfe_u32 s0, ttmp6, 0x4000c
	s_and_b32 s1, ttmp6, 15
	s_add_co_i32 s0, s0, 1
	s_getreg_b32 s2, hwreg(HW_REG_IB_STS2, 6, 4)
	s_mul_i32 s0, ttmp9, s0
	s_mov_b32 s3, 0
	s_add_co_i32 s14, s1, s0
	s_lshl_b64 s[0:1], s[6:7], 2
	s_cmp_eq_u32 s2, 0
	s_add_nc_u64 s[12:13], s[4:5], s[0:1]
	s_cselect_b32 s14, ttmp9, s14
	s_wait_kmcnt 0x0
	s_add_co_i32 s9, s9, -1
	s_lshl_b32 s2, s14, 8
	s_add_nc_u64 s[4:5], s[10:11], s[0:1]
	s_lshl_b64 s[6:7], s[2:3], 2
	s_mov_b32 s0, -1
	s_cmp_lg_u32 s14, s9
	s_add_nc_u64 s[10:11], s[12:13], s[6:7]
	s_cbranch_scc0 .LBB157_2
; %bb.1:
	s_clause 0x1
	flat_load_b32 v6, v0, s[10:11] scale_offset
	flat_load_b32 v1, v0, s[10:11] offset:512 scale_offset
	v_dual_mov_b32 v3, 0 :: v_dual_lshlrev_b32 v2, 2, v0
	s_add_nc_u64 s[12:13], s[4:5], s[6:7]
	s_mov_b32 s3, -1
	s_delay_alu instid0(VALU_DEP_1)
	v_add_nc_u64_e32 v[4:5], s[12:13], v[2:3]
	s_wait_loadcnt_dscnt 0x101
	global_store_b32 v0, v6, s[12:13] scale_offset
	s_cbranch_execz .LBB157_3
	s_branch .LBB157_12
.LBB157_2:
                                        ; implicit-def: $vgpr1
                                        ; implicit-def: $vgpr4_vgpr5
	s_and_not1_b32 vcc_lo, exec_lo, s0
	s_cbranch_vccnz .LBB157_12
.LBB157_3:
	s_sub_co_i32 s1, s8, s2
	v_mov_b64_e32 v[2:3], 0
	v_cmp_gt_u32_e32 vcc_lo, s1, v0
	s_wait_xcnt 0x0
	s_and_saveexec_b32 s0, vcc_lo
	s_cbranch_execz .LBB157_5
; %bb.4:
	flat_load_b32 v2, v0, s[10:11] scale_offset
	v_mov_b32_e32 v3, 0
.LBB157_5:
	s_wait_xcnt 0x0
	s_or_b32 exec_lo, exec_lo, s0
	s_wait_loadcnt_dscnt 0x0
	v_or_b32_e32 v1, 0x80, v0
	s_delay_alu instid0(VALU_DEP_1) | instskip(SKIP_2) | instid1(SALU_CYCLE_1)
	v_cmp_gt_u32_e64 s0, s1, v1
	v_cmp_le_u32_e64 s1, s1, v1
	s_and_saveexec_b32 s2, s1
	s_xor_b32 s1, exec_lo, s2
	s_delay_alu instid0(SALU_CYCLE_1)
	s_and_not1_saveexec_b32 s1, s1
	s_cbranch_execz .LBB157_7
; %bb.6:
	flat_load_b32 v3, v0, s[10:11] offset:512 scale_offset
.LBB157_7:
	s_wait_xcnt 0x0
	s_or_b32 exec_lo, exec_lo, s1
	v_dual_mov_b32 v1, 0 :: v_dual_lshlrev_b32 v0, 2, v0
	s_add_nc_u64 s[4:5], s[4:5], s[6:7]
	s_delay_alu instid0(VALU_DEP_1) | instid1(SALU_CYCLE_1)
	v_add_nc_u64_e32 v[4:5], s[4:5], v[0:1]
	v_cndmask_b32_e32 v0, 0, v2, vcc_lo
	s_and_saveexec_b32 s1, vcc_lo
	s_cbranch_execz .LBB157_9
; %bb.8:
	global_store_b32 v[4:5], v0, off
.LBB157_9:
	s_wait_xcnt 0x0
	s_or_b32 exec_lo, exec_lo, s1
                                        ; implicit-def: $vgpr1
	s_and_saveexec_b32 s1, s0
	s_cbranch_execz .LBB157_11
; %bb.10:
	s_wait_loadcnt_dscnt 0x0
	v_cndmask_b32_e64 v1, 0, v3, s0
	s_or_b32 s3, s3, exec_lo
.LBB157_11:
	s_or_b32 exec_lo, exec_lo, s1
.LBB157_12:
	s_wait_xcnt 0x0
	s_and_saveexec_b32 s0, s3
	s_cbranch_execnz .LBB157_14
; %bb.13:
	s_endpgm
.LBB157_14:
	s_wait_loadcnt_dscnt 0x0
	global_store_b32 v[4:5], v1, off offset:512
	s_endpgm
	.section	.rodata,"a",@progbits
	.p2align	6, 0x0
	.amdhsa_kernel _ZN7rocprim17ROCPRIM_400000_NS6detail17trampoline_kernelINS0_14default_configENS1_25transform_config_selectorIjLb0EEEZNS1_14transform_implILb0ES3_S5_N6thrust23THRUST_200600_302600_NS6detail15normal_iteratorINS8_10device_ptrIjEEEEPjNS0_8identityIjEEEE10hipError_tT2_T3_mT4_P12ihipStream_tbEUlT_E_NS1_11comp_targetILNS1_3genE0ELNS1_11target_archE4294967295ELNS1_3gpuE0ELNS1_3repE0EEENS1_30default_config_static_selectorELNS0_4arch9wavefront6targetE0EEEvT1_
		.amdhsa_group_segment_fixed_size 0
		.amdhsa_private_segment_fixed_size 0
		.amdhsa_kernarg_size 296
		.amdhsa_user_sgpr_count 2
		.amdhsa_user_sgpr_dispatch_ptr 0
		.amdhsa_user_sgpr_queue_ptr 0
		.amdhsa_user_sgpr_kernarg_segment_ptr 1
		.amdhsa_user_sgpr_dispatch_id 0
		.amdhsa_user_sgpr_kernarg_preload_length 0
		.amdhsa_user_sgpr_kernarg_preload_offset 0
		.amdhsa_user_sgpr_private_segment_size 0
		.amdhsa_wavefront_size32 1
		.amdhsa_uses_dynamic_stack 0
		.amdhsa_enable_private_segment 0
		.amdhsa_system_sgpr_workgroup_id_x 1
		.amdhsa_system_sgpr_workgroup_id_y 0
		.amdhsa_system_sgpr_workgroup_id_z 0
		.amdhsa_system_sgpr_workgroup_info 0
		.amdhsa_system_vgpr_workitem_id 0
		.amdhsa_next_free_vgpr 7
		.amdhsa_next_free_sgpr 15
		.amdhsa_named_barrier_count 0
		.amdhsa_reserve_vcc 1
		.amdhsa_float_round_mode_32 0
		.amdhsa_float_round_mode_16_64 0
		.amdhsa_float_denorm_mode_32 3
		.amdhsa_float_denorm_mode_16_64 3
		.amdhsa_fp16_overflow 0
		.amdhsa_memory_ordered 1
		.amdhsa_forward_progress 1
		.amdhsa_inst_pref_size 4
		.amdhsa_round_robin_scheduling 0
		.amdhsa_exception_fp_ieee_invalid_op 0
		.amdhsa_exception_fp_denorm_src 0
		.amdhsa_exception_fp_ieee_div_zero 0
		.amdhsa_exception_fp_ieee_overflow 0
		.amdhsa_exception_fp_ieee_underflow 0
		.amdhsa_exception_fp_ieee_inexact 0
		.amdhsa_exception_int_div_zero 0
	.end_amdhsa_kernel
	.section	.text._ZN7rocprim17ROCPRIM_400000_NS6detail17trampoline_kernelINS0_14default_configENS1_25transform_config_selectorIjLb0EEEZNS1_14transform_implILb0ES3_S5_N6thrust23THRUST_200600_302600_NS6detail15normal_iteratorINS8_10device_ptrIjEEEEPjNS0_8identityIjEEEE10hipError_tT2_T3_mT4_P12ihipStream_tbEUlT_E_NS1_11comp_targetILNS1_3genE0ELNS1_11target_archE4294967295ELNS1_3gpuE0ELNS1_3repE0EEENS1_30default_config_static_selectorELNS0_4arch9wavefront6targetE0EEEvT1_,"axG",@progbits,_ZN7rocprim17ROCPRIM_400000_NS6detail17trampoline_kernelINS0_14default_configENS1_25transform_config_selectorIjLb0EEEZNS1_14transform_implILb0ES3_S5_N6thrust23THRUST_200600_302600_NS6detail15normal_iteratorINS8_10device_ptrIjEEEEPjNS0_8identityIjEEEE10hipError_tT2_T3_mT4_P12ihipStream_tbEUlT_E_NS1_11comp_targetILNS1_3genE0ELNS1_11target_archE4294967295ELNS1_3gpuE0ELNS1_3repE0EEENS1_30default_config_static_selectorELNS0_4arch9wavefront6targetE0EEEvT1_,comdat
.Lfunc_end157:
	.size	_ZN7rocprim17ROCPRIM_400000_NS6detail17trampoline_kernelINS0_14default_configENS1_25transform_config_selectorIjLb0EEEZNS1_14transform_implILb0ES3_S5_N6thrust23THRUST_200600_302600_NS6detail15normal_iteratorINS8_10device_ptrIjEEEEPjNS0_8identityIjEEEE10hipError_tT2_T3_mT4_P12ihipStream_tbEUlT_E_NS1_11comp_targetILNS1_3genE0ELNS1_11target_archE4294967295ELNS1_3gpuE0ELNS1_3repE0EEENS1_30default_config_static_selectorELNS0_4arch9wavefront6targetE0EEEvT1_, .Lfunc_end157-_ZN7rocprim17ROCPRIM_400000_NS6detail17trampoline_kernelINS0_14default_configENS1_25transform_config_selectorIjLb0EEEZNS1_14transform_implILb0ES3_S5_N6thrust23THRUST_200600_302600_NS6detail15normal_iteratorINS8_10device_ptrIjEEEEPjNS0_8identityIjEEEE10hipError_tT2_T3_mT4_P12ihipStream_tbEUlT_E_NS1_11comp_targetILNS1_3genE0ELNS1_11target_archE4294967295ELNS1_3gpuE0ELNS1_3repE0EEENS1_30default_config_static_selectorELNS0_4arch9wavefront6targetE0EEEvT1_
                                        ; -- End function
	.set _ZN7rocprim17ROCPRIM_400000_NS6detail17trampoline_kernelINS0_14default_configENS1_25transform_config_selectorIjLb0EEEZNS1_14transform_implILb0ES3_S5_N6thrust23THRUST_200600_302600_NS6detail15normal_iteratorINS8_10device_ptrIjEEEEPjNS0_8identityIjEEEE10hipError_tT2_T3_mT4_P12ihipStream_tbEUlT_E_NS1_11comp_targetILNS1_3genE0ELNS1_11target_archE4294967295ELNS1_3gpuE0ELNS1_3repE0EEENS1_30default_config_static_selectorELNS0_4arch9wavefront6targetE0EEEvT1_.num_vgpr, 7
	.set _ZN7rocprim17ROCPRIM_400000_NS6detail17trampoline_kernelINS0_14default_configENS1_25transform_config_selectorIjLb0EEEZNS1_14transform_implILb0ES3_S5_N6thrust23THRUST_200600_302600_NS6detail15normal_iteratorINS8_10device_ptrIjEEEEPjNS0_8identityIjEEEE10hipError_tT2_T3_mT4_P12ihipStream_tbEUlT_E_NS1_11comp_targetILNS1_3genE0ELNS1_11target_archE4294967295ELNS1_3gpuE0ELNS1_3repE0EEENS1_30default_config_static_selectorELNS0_4arch9wavefront6targetE0EEEvT1_.num_agpr, 0
	.set _ZN7rocprim17ROCPRIM_400000_NS6detail17trampoline_kernelINS0_14default_configENS1_25transform_config_selectorIjLb0EEEZNS1_14transform_implILb0ES3_S5_N6thrust23THRUST_200600_302600_NS6detail15normal_iteratorINS8_10device_ptrIjEEEEPjNS0_8identityIjEEEE10hipError_tT2_T3_mT4_P12ihipStream_tbEUlT_E_NS1_11comp_targetILNS1_3genE0ELNS1_11target_archE4294967295ELNS1_3gpuE0ELNS1_3repE0EEENS1_30default_config_static_selectorELNS0_4arch9wavefront6targetE0EEEvT1_.numbered_sgpr, 15
	.set _ZN7rocprim17ROCPRIM_400000_NS6detail17trampoline_kernelINS0_14default_configENS1_25transform_config_selectorIjLb0EEEZNS1_14transform_implILb0ES3_S5_N6thrust23THRUST_200600_302600_NS6detail15normal_iteratorINS8_10device_ptrIjEEEEPjNS0_8identityIjEEEE10hipError_tT2_T3_mT4_P12ihipStream_tbEUlT_E_NS1_11comp_targetILNS1_3genE0ELNS1_11target_archE4294967295ELNS1_3gpuE0ELNS1_3repE0EEENS1_30default_config_static_selectorELNS0_4arch9wavefront6targetE0EEEvT1_.num_named_barrier, 0
	.set _ZN7rocprim17ROCPRIM_400000_NS6detail17trampoline_kernelINS0_14default_configENS1_25transform_config_selectorIjLb0EEEZNS1_14transform_implILb0ES3_S5_N6thrust23THRUST_200600_302600_NS6detail15normal_iteratorINS8_10device_ptrIjEEEEPjNS0_8identityIjEEEE10hipError_tT2_T3_mT4_P12ihipStream_tbEUlT_E_NS1_11comp_targetILNS1_3genE0ELNS1_11target_archE4294967295ELNS1_3gpuE0ELNS1_3repE0EEENS1_30default_config_static_selectorELNS0_4arch9wavefront6targetE0EEEvT1_.private_seg_size, 0
	.set _ZN7rocprim17ROCPRIM_400000_NS6detail17trampoline_kernelINS0_14default_configENS1_25transform_config_selectorIjLb0EEEZNS1_14transform_implILb0ES3_S5_N6thrust23THRUST_200600_302600_NS6detail15normal_iteratorINS8_10device_ptrIjEEEEPjNS0_8identityIjEEEE10hipError_tT2_T3_mT4_P12ihipStream_tbEUlT_E_NS1_11comp_targetILNS1_3genE0ELNS1_11target_archE4294967295ELNS1_3gpuE0ELNS1_3repE0EEENS1_30default_config_static_selectorELNS0_4arch9wavefront6targetE0EEEvT1_.uses_vcc, 1
	.set _ZN7rocprim17ROCPRIM_400000_NS6detail17trampoline_kernelINS0_14default_configENS1_25transform_config_selectorIjLb0EEEZNS1_14transform_implILb0ES3_S5_N6thrust23THRUST_200600_302600_NS6detail15normal_iteratorINS8_10device_ptrIjEEEEPjNS0_8identityIjEEEE10hipError_tT2_T3_mT4_P12ihipStream_tbEUlT_E_NS1_11comp_targetILNS1_3genE0ELNS1_11target_archE4294967295ELNS1_3gpuE0ELNS1_3repE0EEENS1_30default_config_static_selectorELNS0_4arch9wavefront6targetE0EEEvT1_.uses_flat_scratch, 1
	.set _ZN7rocprim17ROCPRIM_400000_NS6detail17trampoline_kernelINS0_14default_configENS1_25transform_config_selectorIjLb0EEEZNS1_14transform_implILb0ES3_S5_N6thrust23THRUST_200600_302600_NS6detail15normal_iteratorINS8_10device_ptrIjEEEEPjNS0_8identityIjEEEE10hipError_tT2_T3_mT4_P12ihipStream_tbEUlT_E_NS1_11comp_targetILNS1_3genE0ELNS1_11target_archE4294967295ELNS1_3gpuE0ELNS1_3repE0EEENS1_30default_config_static_selectorELNS0_4arch9wavefront6targetE0EEEvT1_.has_dyn_sized_stack, 0
	.set _ZN7rocprim17ROCPRIM_400000_NS6detail17trampoline_kernelINS0_14default_configENS1_25transform_config_selectorIjLb0EEEZNS1_14transform_implILb0ES3_S5_N6thrust23THRUST_200600_302600_NS6detail15normal_iteratorINS8_10device_ptrIjEEEEPjNS0_8identityIjEEEE10hipError_tT2_T3_mT4_P12ihipStream_tbEUlT_E_NS1_11comp_targetILNS1_3genE0ELNS1_11target_archE4294967295ELNS1_3gpuE0ELNS1_3repE0EEENS1_30default_config_static_selectorELNS0_4arch9wavefront6targetE0EEEvT1_.has_recursion, 0
	.set _ZN7rocprim17ROCPRIM_400000_NS6detail17trampoline_kernelINS0_14default_configENS1_25transform_config_selectorIjLb0EEEZNS1_14transform_implILb0ES3_S5_N6thrust23THRUST_200600_302600_NS6detail15normal_iteratorINS8_10device_ptrIjEEEEPjNS0_8identityIjEEEE10hipError_tT2_T3_mT4_P12ihipStream_tbEUlT_E_NS1_11comp_targetILNS1_3genE0ELNS1_11target_archE4294967295ELNS1_3gpuE0ELNS1_3repE0EEENS1_30default_config_static_selectorELNS0_4arch9wavefront6targetE0EEEvT1_.has_indirect_call, 0
	.section	.AMDGPU.csdata,"",@progbits
; Kernel info:
; codeLenInByte = 428
; TotalNumSgprs: 17
; NumVgprs: 7
; ScratchSize: 0
; MemoryBound: 0
; FloatMode: 240
; IeeeMode: 1
; LDSByteSize: 0 bytes/workgroup (compile time only)
; SGPRBlocks: 0
; VGPRBlocks: 0
; NumSGPRsForWavesPerEU: 17
; NumVGPRsForWavesPerEU: 7
; NamedBarCnt: 0
; Occupancy: 16
; WaveLimiterHint : 1
; COMPUTE_PGM_RSRC2:SCRATCH_EN: 0
; COMPUTE_PGM_RSRC2:USER_SGPR: 2
; COMPUTE_PGM_RSRC2:TRAP_HANDLER: 0
; COMPUTE_PGM_RSRC2:TGID_X_EN: 1
; COMPUTE_PGM_RSRC2:TGID_Y_EN: 0
; COMPUTE_PGM_RSRC2:TGID_Z_EN: 0
; COMPUTE_PGM_RSRC2:TIDIG_COMP_CNT: 0
	.section	.text._ZN7rocprim17ROCPRIM_400000_NS6detail17trampoline_kernelINS0_14default_configENS1_25transform_config_selectorIjLb0EEEZNS1_14transform_implILb0ES3_S5_N6thrust23THRUST_200600_302600_NS6detail15normal_iteratorINS8_10device_ptrIjEEEEPjNS0_8identityIjEEEE10hipError_tT2_T3_mT4_P12ihipStream_tbEUlT_E_NS1_11comp_targetILNS1_3genE5ELNS1_11target_archE942ELNS1_3gpuE9ELNS1_3repE0EEENS1_30default_config_static_selectorELNS0_4arch9wavefront6targetE0EEEvT1_,"axG",@progbits,_ZN7rocprim17ROCPRIM_400000_NS6detail17trampoline_kernelINS0_14default_configENS1_25transform_config_selectorIjLb0EEEZNS1_14transform_implILb0ES3_S5_N6thrust23THRUST_200600_302600_NS6detail15normal_iteratorINS8_10device_ptrIjEEEEPjNS0_8identityIjEEEE10hipError_tT2_T3_mT4_P12ihipStream_tbEUlT_E_NS1_11comp_targetILNS1_3genE5ELNS1_11target_archE942ELNS1_3gpuE9ELNS1_3repE0EEENS1_30default_config_static_selectorELNS0_4arch9wavefront6targetE0EEEvT1_,comdat
	.protected	_ZN7rocprim17ROCPRIM_400000_NS6detail17trampoline_kernelINS0_14default_configENS1_25transform_config_selectorIjLb0EEEZNS1_14transform_implILb0ES3_S5_N6thrust23THRUST_200600_302600_NS6detail15normal_iteratorINS8_10device_ptrIjEEEEPjNS0_8identityIjEEEE10hipError_tT2_T3_mT4_P12ihipStream_tbEUlT_E_NS1_11comp_targetILNS1_3genE5ELNS1_11target_archE942ELNS1_3gpuE9ELNS1_3repE0EEENS1_30default_config_static_selectorELNS0_4arch9wavefront6targetE0EEEvT1_ ; -- Begin function _ZN7rocprim17ROCPRIM_400000_NS6detail17trampoline_kernelINS0_14default_configENS1_25transform_config_selectorIjLb0EEEZNS1_14transform_implILb0ES3_S5_N6thrust23THRUST_200600_302600_NS6detail15normal_iteratorINS8_10device_ptrIjEEEEPjNS0_8identityIjEEEE10hipError_tT2_T3_mT4_P12ihipStream_tbEUlT_E_NS1_11comp_targetILNS1_3genE5ELNS1_11target_archE942ELNS1_3gpuE9ELNS1_3repE0EEENS1_30default_config_static_selectorELNS0_4arch9wavefront6targetE0EEEvT1_
	.globl	_ZN7rocprim17ROCPRIM_400000_NS6detail17trampoline_kernelINS0_14default_configENS1_25transform_config_selectorIjLb0EEEZNS1_14transform_implILb0ES3_S5_N6thrust23THRUST_200600_302600_NS6detail15normal_iteratorINS8_10device_ptrIjEEEEPjNS0_8identityIjEEEE10hipError_tT2_T3_mT4_P12ihipStream_tbEUlT_E_NS1_11comp_targetILNS1_3genE5ELNS1_11target_archE942ELNS1_3gpuE9ELNS1_3repE0EEENS1_30default_config_static_selectorELNS0_4arch9wavefront6targetE0EEEvT1_
	.p2align	8
	.type	_ZN7rocprim17ROCPRIM_400000_NS6detail17trampoline_kernelINS0_14default_configENS1_25transform_config_selectorIjLb0EEEZNS1_14transform_implILb0ES3_S5_N6thrust23THRUST_200600_302600_NS6detail15normal_iteratorINS8_10device_ptrIjEEEEPjNS0_8identityIjEEEE10hipError_tT2_T3_mT4_P12ihipStream_tbEUlT_E_NS1_11comp_targetILNS1_3genE5ELNS1_11target_archE942ELNS1_3gpuE9ELNS1_3repE0EEENS1_30default_config_static_selectorELNS0_4arch9wavefront6targetE0EEEvT1_,@function
_ZN7rocprim17ROCPRIM_400000_NS6detail17trampoline_kernelINS0_14default_configENS1_25transform_config_selectorIjLb0EEEZNS1_14transform_implILb0ES3_S5_N6thrust23THRUST_200600_302600_NS6detail15normal_iteratorINS8_10device_ptrIjEEEEPjNS0_8identityIjEEEE10hipError_tT2_T3_mT4_P12ihipStream_tbEUlT_E_NS1_11comp_targetILNS1_3genE5ELNS1_11target_archE942ELNS1_3gpuE9ELNS1_3repE0EEENS1_30default_config_static_selectorELNS0_4arch9wavefront6targetE0EEEvT1_: ; @_ZN7rocprim17ROCPRIM_400000_NS6detail17trampoline_kernelINS0_14default_configENS1_25transform_config_selectorIjLb0EEEZNS1_14transform_implILb0ES3_S5_N6thrust23THRUST_200600_302600_NS6detail15normal_iteratorINS8_10device_ptrIjEEEEPjNS0_8identityIjEEEE10hipError_tT2_T3_mT4_P12ihipStream_tbEUlT_E_NS1_11comp_targetILNS1_3genE5ELNS1_11target_archE942ELNS1_3gpuE9ELNS1_3repE0EEENS1_30default_config_static_selectorELNS0_4arch9wavefront6targetE0EEEvT1_
; %bb.0:
	.section	.rodata,"a",@progbits
	.p2align	6, 0x0
	.amdhsa_kernel _ZN7rocprim17ROCPRIM_400000_NS6detail17trampoline_kernelINS0_14default_configENS1_25transform_config_selectorIjLb0EEEZNS1_14transform_implILb0ES3_S5_N6thrust23THRUST_200600_302600_NS6detail15normal_iteratorINS8_10device_ptrIjEEEEPjNS0_8identityIjEEEE10hipError_tT2_T3_mT4_P12ihipStream_tbEUlT_E_NS1_11comp_targetILNS1_3genE5ELNS1_11target_archE942ELNS1_3gpuE9ELNS1_3repE0EEENS1_30default_config_static_selectorELNS0_4arch9wavefront6targetE0EEEvT1_
		.amdhsa_group_segment_fixed_size 0
		.amdhsa_private_segment_fixed_size 0
		.amdhsa_kernarg_size 40
		.amdhsa_user_sgpr_count 2
		.amdhsa_user_sgpr_dispatch_ptr 0
		.amdhsa_user_sgpr_queue_ptr 0
		.amdhsa_user_sgpr_kernarg_segment_ptr 1
		.amdhsa_user_sgpr_dispatch_id 0
		.amdhsa_user_sgpr_kernarg_preload_length 0
		.amdhsa_user_sgpr_kernarg_preload_offset 0
		.amdhsa_user_sgpr_private_segment_size 0
		.amdhsa_wavefront_size32 1
		.amdhsa_uses_dynamic_stack 0
		.amdhsa_enable_private_segment 0
		.amdhsa_system_sgpr_workgroup_id_x 1
		.amdhsa_system_sgpr_workgroup_id_y 0
		.amdhsa_system_sgpr_workgroup_id_z 0
		.amdhsa_system_sgpr_workgroup_info 0
		.amdhsa_system_vgpr_workitem_id 0
		.amdhsa_next_free_vgpr 1
		.amdhsa_next_free_sgpr 1
		.amdhsa_named_barrier_count 0
		.amdhsa_reserve_vcc 0
		.amdhsa_float_round_mode_32 0
		.amdhsa_float_round_mode_16_64 0
		.amdhsa_float_denorm_mode_32 3
		.amdhsa_float_denorm_mode_16_64 3
		.amdhsa_fp16_overflow 0
		.amdhsa_memory_ordered 1
		.amdhsa_forward_progress 1
		.amdhsa_inst_pref_size 0
		.amdhsa_round_robin_scheduling 0
		.amdhsa_exception_fp_ieee_invalid_op 0
		.amdhsa_exception_fp_denorm_src 0
		.amdhsa_exception_fp_ieee_div_zero 0
		.amdhsa_exception_fp_ieee_overflow 0
		.amdhsa_exception_fp_ieee_underflow 0
		.amdhsa_exception_fp_ieee_inexact 0
		.amdhsa_exception_int_div_zero 0
	.end_amdhsa_kernel
	.section	.text._ZN7rocprim17ROCPRIM_400000_NS6detail17trampoline_kernelINS0_14default_configENS1_25transform_config_selectorIjLb0EEEZNS1_14transform_implILb0ES3_S5_N6thrust23THRUST_200600_302600_NS6detail15normal_iteratorINS8_10device_ptrIjEEEEPjNS0_8identityIjEEEE10hipError_tT2_T3_mT4_P12ihipStream_tbEUlT_E_NS1_11comp_targetILNS1_3genE5ELNS1_11target_archE942ELNS1_3gpuE9ELNS1_3repE0EEENS1_30default_config_static_selectorELNS0_4arch9wavefront6targetE0EEEvT1_,"axG",@progbits,_ZN7rocprim17ROCPRIM_400000_NS6detail17trampoline_kernelINS0_14default_configENS1_25transform_config_selectorIjLb0EEEZNS1_14transform_implILb0ES3_S5_N6thrust23THRUST_200600_302600_NS6detail15normal_iteratorINS8_10device_ptrIjEEEEPjNS0_8identityIjEEEE10hipError_tT2_T3_mT4_P12ihipStream_tbEUlT_E_NS1_11comp_targetILNS1_3genE5ELNS1_11target_archE942ELNS1_3gpuE9ELNS1_3repE0EEENS1_30default_config_static_selectorELNS0_4arch9wavefront6targetE0EEEvT1_,comdat
.Lfunc_end158:
	.size	_ZN7rocprim17ROCPRIM_400000_NS6detail17trampoline_kernelINS0_14default_configENS1_25transform_config_selectorIjLb0EEEZNS1_14transform_implILb0ES3_S5_N6thrust23THRUST_200600_302600_NS6detail15normal_iteratorINS8_10device_ptrIjEEEEPjNS0_8identityIjEEEE10hipError_tT2_T3_mT4_P12ihipStream_tbEUlT_E_NS1_11comp_targetILNS1_3genE5ELNS1_11target_archE942ELNS1_3gpuE9ELNS1_3repE0EEENS1_30default_config_static_selectorELNS0_4arch9wavefront6targetE0EEEvT1_, .Lfunc_end158-_ZN7rocprim17ROCPRIM_400000_NS6detail17trampoline_kernelINS0_14default_configENS1_25transform_config_selectorIjLb0EEEZNS1_14transform_implILb0ES3_S5_N6thrust23THRUST_200600_302600_NS6detail15normal_iteratorINS8_10device_ptrIjEEEEPjNS0_8identityIjEEEE10hipError_tT2_T3_mT4_P12ihipStream_tbEUlT_E_NS1_11comp_targetILNS1_3genE5ELNS1_11target_archE942ELNS1_3gpuE9ELNS1_3repE0EEENS1_30default_config_static_selectorELNS0_4arch9wavefront6targetE0EEEvT1_
                                        ; -- End function
	.set _ZN7rocprim17ROCPRIM_400000_NS6detail17trampoline_kernelINS0_14default_configENS1_25transform_config_selectorIjLb0EEEZNS1_14transform_implILb0ES3_S5_N6thrust23THRUST_200600_302600_NS6detail15normal_iteratorINS8_10device_ptrIjEEEEPjNS0_8identityIjEEEE10hipError_tT2_T3_mT4_P12ihipStream_tbEUlT_E_NS1_11comp_targetILNS1_3genE5ELNS1_11target_archE942ELNS1_3gpuE9ELNS1_3repE0EEENS1_30default_config_static_selectorELNS0_4arch9wavefront6targetE0EEEvT1_.num_vgpr, 0
	.set _ZN7rocprim17ROCPRIM_400000_NS6detail17trampoline_kernelINS0_14default_configENS1_25transform_config_selectorIjLb0EEEZNS1_14transform_implILb0ES3_S5_N6thrust23THRUST_200600_302600_NS6detail15normal_iteratorINS8_10device_ptrIjEEEEPjNS0_8identityIjEEEE10hipError_tT2_T3_mT4_P12ihipStream_tbEUlT_E_NS1_11comp_targetILNS1_3genE5ELNS1_11target_archE942ELNS1_3gpuE9ELNS1_3repE0EEENS1_30default_config_static_selectorELNS0_4arch9wavefront6targetE0EEEvT1_.num_agpr, 0
	.set _ZN7rocprim17ROCPRIM_400000_NS6detail17trampoline_kernelINS0_14default_configENS1_25transform_config_selectorIjLb0EEEZNS1_14transform_implILb0ES3_S5_N6thrust23THRUST_200600_302600_NS6detail15normal_iteratorINS8_10device_ptrIjEEEEPjNS0_8identityIjEEEE10hipError_tT2_T3_mT4_P12ihipStream_tbEUlT_E_NS1_11comp_targetILNS1_3genE5ELNS1_11target_archE942ELNS1_3gpuE9ELNS1_3repE0EEENS1_30default_config_static_selectorELNS0_4arch9wavefront6targetE0EEEvT1_.numbered_sgpr, 0
	.set _ZN7rocprim17ROCPRIM_400000_NS6detail17trampoline_kernelINS0_14default_configENS1_25transform_config_selectorIjLb0EEEZNS1_14transform_implILb0ES3_S5_N6thrust23THRUST_200600_302600_NS6detail15normal_iteratorINS8_10device_ptrIjEEEEPjNS0_8identityIjEEEE10hipError_tT2_T3_mT4_P12ihipStream_tbEUlT_E_NS1_11comp_targetILNS1_3genE5ELNS1_11target_archE942ELNS1_3gpuE9ELNS1_3repE0EEENS1_30default_config_static_selectorELNS0_4arch9wavefront6targetE0EEEvT1_.num_named_barrier, 0
	.set _ZN7rocprim17ROCPRIM_400000_NS6detail17trampoline_kernelINS0_14default_configENS1_25transform_config_selectorIjLb0EEEZNS1_14transform_implILb0ES3_S5_N6thrust23THRUST_200600_302600_NS6detail15normal_iteratorINS8_10device_ptrIjEEEEPjNS0_8identityIjEEEE10hipError_tT2_T3_mT4_P12ihipStream_tbEUlT_E_NS1_11comp_targetILNS1_3genE5ELNS1_11target_archE942ELNS1_3gpuE9ELNS1_3repE0EEENS1_30default_config_static_selectorELNS0_4arch9wavefront6targetE0EEEvT1_.private_seg_size, 0
	.set _ZN7rocprim17ROCPRIM_400000_NS6detail17trampoline_kernelINS0_14default_configENS1_25transform_config_selectorIjLb0EEEZNS1_14transform_implILb0ES3_S5_N6thrust23THRUST_200600_302600_NS6detail15normal_iteratorINS8_10device_ptrIjEEEEPjNS0_8identityIjEEEE10hipError_tT2_T3_mT4_P12ihipStream_tbEUlT_E_NS1_11comp_targetILNS1_3genE5ELNS1_11target_archE942ELNS1_3gpuE9ELNS1_3repE0EEENS1_30default_config_static_selectorELNS0_4arch9wavefront6targetE0EEEvT1_.uses_vcc, 0
	.set _ZN7rocprim17ROCPRIM_400000_NS6detail17trampoline_kernelINS0_14default_configENS1_25transform_config_selectorIjLb0EEEZNS1_14transform_implILb0ES3_S5_N6thrust23THRUST_200600_302600_NS6detail15normal_iteratorINS8_10device_ptrIjEEEEPjNS0_8identityIjEEEE10hipError_tT2_T3_mT4_P12ihipStream_tbEUlT_E_NS1_11comp_targetILNS1_3genE5ELNS1_11target_archE942ELNS1_3gpuE9ELNS1_3repE0EEENS1_30default_config_static_selectorELNS0_4arch9wavefront6targetE0EEEvT1_.uses_flat_scratch, 0
	.set _ZN7rocprim17ROCPRIM_400000_NS6detail17trampoline_kernelINS0_14default_configENS1_25transform_config_selectorIjLb0EEEZNS1_14transform_implILb0ES3_S5_N6thrust23THRUST_200600_302600_NS6detail15normal_iteratorINS8_10device_ptrIjEEEEPjNS0_8identityIjEEEE10hipError_tT2_T3_mT4_P12ihipStream_tbEUlT_E_NS1_11comp_targetILNS1_3genE5ELNS1_11target_archE942ELNS1_3gpuE9ELNS1_3repE0EEENS1_30default_config_static_selectorELNS0_4arch9wavefront6targetE0EEEvT1_.has_dyn_sized_stack, 0
	.set _ZN7rocprim17ROCPRIM_400000_NS6detail17trampoline_kernelINS0_14default_configENS1_25transform_config_selectorIjLb0EEEZNS1_14transform_implILb0ES3_S5_N6thrust23THRUST_200600_302600_NS6detail15normal_iteratorINS8_10device_ptrIjEEEEPjNS0_8identityIjEEEE10hipError_tT2_T3_mT4_P12ihipStream_tbEUlT_E_NS1_11comp_targetILNS1_3genE5ELNS1_11target_archE942ELNS1_3gpuE9ELNS1_3repE0EEENS1_30default_config_static_selectorELNS0_4arch9wavefront6targetE0EEEvT1_.has_recursion, 0
	.set _ZN7rocprim17ROCPRIM_400000_NS6detail17trampoline_kernelINS0_14default_configENS1_25transform_config_selectorIjLb0EEEZNS1_14transform_implILb0ES3_S5_N6thrust23THRUST_200600_302600_NS6detail15normal_iteratorINS8_10device_ptrIjEEEEPjNS0_8identityIjEEEE10hipError_tT2_T3_mT4_P12ihipStream_tbEUlT_E_NS1_11comp_targetILNS1_3genE5ELNS1_11target_archE942ELNS1_3gpuE9ELNS1_3repE0EEENS1_30default_config_static_selectorELNS0_4arch9wavefront6targetE0EEEvT1_.has_indirect_call, 0
	.section	.AMDGPU.csdata,"",@progbits
; Kernel info:
; codeLenInByte = 0
; TotalNumSgprs: 0
; NumVgprs: 0
; ScratchSize: 0
; MemoryBound: 0
; FloatMode: 240
; IeeeMode: 1
; LDSByteSize: 0 bytes/workgroup (compile time only)
; SGPRBlocks: 0
; VGPRBlocks: 0
; NumSGPRsForWavesPerEU: 1
; NumVGPRsForWavesPerEU: 1
; NamedBarCnt: 0
; Occupancy: 16
; WaveLimiterHint : 0
; COMPUTE_PGM_RSRC2:SCRATCH_EN: 0
; COMPUTE_PGM_RSRC2:USER_SGPR: 2
; COMPUTE_PGM_RSRC2:TRAP_HANDLER: 0
; COMPUTE_PGM_RSRC2:TGID_X_EN: 1
; COMPUTE_PGM_RSRC2:TGID_Y_EN: 0
; COMPUTE_PGM_RSRC2:TGID_Z_EN: 0
; COMPUTE_PGM_RSRC2:TIDIG_COMP_CNT: 0
	.section	.text._ZN7rocprim17ROCPRIM_400000_NS6detail17trampoline_kernelINS0_14default_configENS1_25transform_config_selectorIjLb0EEEZNS1_14transform_implILb0ES3_S5_N6thrust23THRUST_200600_302600_NS6detail15normal_iteratorINS8_10device_ptrIjEEEEPjNS0_8identityIjEEEE10hipError_tT2_T3_mT4_P12ihipStream_tbEUlT_E_NS1_11comp_targetILNS1_3genE4ELNS1_11target_archE910ELNS1_3gpuE8ELNS1_3repE0EEENS1_30default_config_static_selectorELNS0_4arch9wavefront6targetE0EEEvT1_,"axG",@progbits,_ZN7rocprim17ROCPRIM_400000_NS6detail17trampoline_kernelINS0_14default_configENS1_25transform_config_selectorIjLb0EEEZNS1_14transform_implILb0ES3_S5_N6thrust23THRUST_200600_302600_NS6detail15normal_iteratorINS8_10device_ptrIjEEEEPjNS0_8identityIjEEEE10hipError_tT2_T3_mT4_P12ihipStream_tbEUlT_E_NS1_11comp_targetILNS1_3genE4ELNS1_11target_archE910ELNS1_3gpuE8ELNS1_3repE0EEENS1_30default_config_static_selectorELNS0_4arch9wavefront6targetE0EEEvT1_,comdat
	.protected	_ZN7rocprim17ROCPRIM_400000_NS6detail17trampoline_kernelINS0_14default_configENS1_25transform_config_selectorIjLb0EEEZNS1_14transform_implILb0ES3_S5_N6thrust23THRUST_200600_302600_NS6detail15normal_iteratorINS8_10device_ptrIjEEEEPjNS0_8identityIjEEEE10hipError_tT2_T3_mT4_P12ihipStream_tbEUlT_E_NS1_11comp_targetILNS1_3genE4ELNS1_11target_archE910ELNS1_3gpuE8ELNS1_3repE0EEENS1_30default_config_static_selectorELNS0_4arch9wavefront6targetE0EEEvT1_ ; -- Begin function _ZN7rocprim17ROCPRIM_400000_NS6detail17trampoline_kernelINS0_14default_configENS1_25transform_config_selectorIjLb0EEEZNS1_14transform_implILb0ES3_S5_N6thrust23THRUST_200600_302600_NS6detail15normal_iteratorINS8_10device_ptrIjEEEEPjNS0_8identityIjEEEE10hipError_tT2_T3_mT4_P12ihipStream_tbEUlT_E_NS1_11comp_targetILNS1_3genE4ELNS1_11target_archE910ELNS1_3gpuE8ELNS1_3repE0EEENS1_30default_config_static_selectorELNS0_4arch9wavefront6targetE0EEEvT1_
	.globl	_ZN7rocprim17ROCPRIM_400000_NS6detail17trampoline_kernelINS0_14default_configENS1_25transform_config_selectorIjLb0EEEZNS1_14transform_implILb0ES3_S5_N6thrust23THRUST_200600_302600_NS6detail15normal_iteratorINS8_10device_ptrIjEEEEPjNS0_8identityIjEEEE10hipError_tT2_T3_mT4_P12ihipStream_tbEUlT_E_NS1_11comp_targetILNS1_3genE4ELNS1_11target_archE910ELNS1_3gpuE8ELNS1_3repE0EEENS1_30default_config_static_selectorELNS0_4arch9wavefront6targetE0EEEvT1_
	.p2align	8
	.type	_ZN7rocprim17ROCPRIM_400000_NS6detail17trampoline_kernelINS0_14default_configENS1_25transform_config_selectorIjLb0EEEZNS1_14transform_implILb0ES3_S5_N6thrust23THRUST_200600_302600_NS6detail15normal_iteratorINS8_10device_ptrIjEEEEPjNS0_8identityIjEEEE10hipError_tT2_T3_mT4_P12ihipStream_tbEUlT_E_NS1_11comp_targetILNS1_3genE4ELNS1_11target_archE910ELNS1_3gpuE8ELNS1_3repE0EEENS1_30default_config_static_selectorELNS0_4arch9wavefront6targetE0EEEvT1_,@function
_ZN7rocprim17ROCPRIM_400000_NS6detail17trampoline_kernelINS0_14default_configENS1_25transform_config_selectorIjLb0EEEZNS1_14transform_implILb0ES3_S5_N6thrust23THRUST_200600_302600_NS6detail15normal_iteratorINS8_10device_ptrIjEEEEPjNS0_8identityIjEEEE10hipError_tT2_T3_mT4_P12ihipStream_tbEUlT_E_NS1_11comp_targetILNS1_3genE4ELNS1_11target_archE910ELNS1_3gpuE8ELNS1_3repE0EEENS1_30default_config_static_selectorELNS0_4arch9wavefront6targetE0EEEvT1_: ; @_ZN7rocprim17ROCPRIM_400000_NS6detail17trampoline_kernelINS0_14default_configENS1_25transform_config_selectorIjLb0EEEZNS1_14transform_implILb0ES3_S5_N6thrust23THRUST_200600_302600_NS6detail15normal_iteratorINS8_10device_ptrIjEEEEPjNS0_8identityIjEEEE10hipError_tT2_T3_mT4_P12ihipStream_tbEUlT_E_NS1_11comp_targetILNS1_3genE4ELNS1_11target_archE910ELNS1_3gpuE8ELNS1_3repE0EEENS1_30default_config_static_selectorELNS0_4arch9wavefront6targetE0EEEvT1_
; %bb.0:
	.section	.rodata,"a",@progbits
	.p2align	6, 0x0
	.amdhsa_kernel _ZN7rocprim17ROCPRIM_400000_NS6detail17trampoline_kernelINS0_14default_configENS1_25transform_config_selectorIjLb0EEEZNS1_14transform_implILb0ES3_S5_N6thrust23THRUST_200600_302600_NS6detail15normal_iteratorINS8_10device_ptrIjEEEEPjNS0_8identityIjEEEE10hipError_tT2_T3_mT4_P12ihipStream_tbEUlT_E_NS1_11comp_targetILNS1_3genE4ELNS1_11target_archE910ELNS1_3gpuE8ELNS1_3repE0EEENS1_30default_config_static_selectorELNS0_4arch9wavefront6targetE0EEEvT1_
		.amdhsa_group_segment_fixed_size 0
		.amdhsa_private_segment_fixed_size 0
		.amdhsa_kernarg_size 40
		.amdhsa_user_sgpr_count 2
		.amdhsa_user_sgpr_dispatch_ptr 0
		.amdhsa_user_sgpr_queue_ptr 0
		.amdhsa_user_sgpr_kernarg_segment_ptr 1
		.amdhsa_user_sgpr_dispatch_id 0
		.amdhsa_user_sgpr_kernarg_preload_length 0
		.amdhsa_user_sgpr_kernarg_preload_offset 0
		.amdhsa_user_sgpr_private_segment_size 0
		.amdhsa_wavefront_size32 1
		.amdhsa_uses_dynamic_stack 0
		.amdhsa_enable_private_segment 0
		.amdhsa_system_sgpr_workgroup_id_x 1
		.amdhsa_system_sgpr_workgroup_id_y 0
		.amdhsa_system_sgpr_workgroup_id_z 0
		.amdhsa_system_sgpr_workgroup_info 0
		.amdhsa_system_vgpr_workitem_id 0
		.amdhsa_next_free_vgpr 1
		.amdhsa_next_free_sgpr 1
		.amdhsa_named_barrier_count 0
		.amdhsa_reserve_vcc 0
		.amdhsa_float_round_mode_32 0
		.amdhsa_float_round_mode_16_64 0
		.amdhsa_float_denorm_mode_32 3
		.amdhsa_float_denorm_mode_16_64 3
		.amdhsa_fp16_overflow 0
		.amdhsa_memory_ordered 1
		.amdhsa_forward_progress 1
		.amdhsa_inst_pref_size 0
		.amdhsa_round_robin_scheduling 0
		.amdhsa_exception_fp_ieee_invalid_op 0
		.amdhsa_exception_fp_denorm_src 0
		.amdhsa_exception_fp_ieee_div_zero 0
		.amdhsa_exception_fp_ieee_overflow 0
		.amdhsa_exception_fp_ieee_underflow 0
		.amdhsa_exception_fp_ieee_inexact 0
		.amdhsa_exception_int_div_zero 0
	.end_amdhsa_kernel
	.section	.text._ZN7rocprim17ROCPRIM_400000_NS6detail17trampoline_kernelINS0_14default_configENS1_25transform_config_selectorIjLb0EEEZNS1_14transform_implILb0ES3_S5_N6thrust23THRUST_200600_302600_NS6detail15normal_iteratorINS8_10device_ptrIjEEEEPjNS0_8identityIjEEEE10hipError_tT2_T3_mT4_P12ihipStream_tbEUlT_E_NS1_11comp_targetILNS1_3genE4ELNS1_11target_archE910ELNS1_3gpuE8ELNS1_3repE0EEENS1_30default_config_static_selectorELNS0_4arch9wavefront6targetE0EEEvT1_,"axG",@progbits,_ZN7rocprim17ROCPRIM_400000_NS6detail17trampoline_kernelINS0_14default_configENS1_25transform_config_selectorIjLb0EEEZNS1_14transform_implILb0ES3_S5_N6thrust23THRUST_200600_302600_NS6detail15normal_iteratorINS8_10device_ptrIjEEEEPjNS0_8identityIjEEEE10hipError_tT2_T3_mT4_P12ihipStream_tbEUlT_E_NS1_11comp_targetILNS1_3genE4ELNS1_11target_archE910ELNS1_3gpuE8ELNS1_3repE0EEENS1_30default_config_static_selectorELNS0_4arch9wavefront6targetE0EEEvT1_,comdat
.Lfunc_end159:
	.size	_ZN7rocprim17ROCPRIM_400000_NS6detail17trampoline_kernelINS0_14default_configENS1_25transform_config_selectorIjLb0EEEZNS1_14transform_implILb0ES3_S5_N6thrust23THRUST_200600_302600_NS6detail15normal_iteratorINS8_10device_ptrIjEEEEPjNS0_8identityIjEEEE10hipError_tT2_T3_mT4_P12ihipStream_tbEUlT_E_NS1_11comp_targetILNS1_3genE4ELNS1_11target_archE910ELNS1_3gpuE8ELNS1_3repE0EEENS1_30default_config_static_selectorELNS0_4arch9wavefront6targetE0EEEvT1_, .Lfunc_end159-_ZN7rocprim17ROCPRIM_400000_NS6detail17trampoline_kernelINS0_14default_configENS1_25transform_config_selectorIjLb0EEEZNS1_14transform_implILb0ES3_S5_N6thrust23THRUST_200600_302600_NS6detail15normal_iteratorINS8_10device_ptrIjEEEEPjNS0_8identityIjEEEE10hipError_tT2_T3_mT4_P12ihipStream_tbEUlT_E_NS1_11comp_targetILNS1_3genE4ELNS1_11target_archE910ELNS1_3gpuE8ELNS1_3repE0EEENS1_30default_config_static_selectorELNS0_4arch9wavefront6targetE0EEEvT1_
                                        ; -- End function
	.set _ZN7rocprim17ROCPRIM_400000_NS6detail17trampoline_kernelINS0_14default_configENS1_25transform_config_selectorIjLb0EEEZNS1_14transform_implILb0ES3_S5_N6thrust23THRUST_200600_302600_NS6detail15normal_iteratorINS8_10device_ptrIjEEEEPjNS0_8identityIjEEEE10hipError_tT2_T3_mT4_P12ihipStream_tbEUlT_E_NS1_11comp_targetILNS1_3genE4ELNS1_11target_archE910ELNS1_3gpuE8ELNS1_3repE0EEENS1_30default_config_static_selectorELNS0_4arch9wavefront6targetE0EEEvT1_.num_vgpr, 0
	.set _ZN7rocprim17ROCPRIM_400000_NS6detail17trampoline_kernelINS0_14default_configENS1_25transform_config_selectorIjLb0EEEZNS1_14transform_implILb0ES3_S5_N6thrust23THRUST_200600_302600_NS6detail15normal_iteratorINS8_10device_ptrIjEEEEPjNS0_8identityIjEEEE10hipError_tT2_T3_mT4_P12ihipStream_tbEUlT_E_NS1_11comp_targetILNS1_3genE4ELNS1_11target_archE910ELNS1_3gpuE8ELNS1_3repE0EEENS1_30default_config_static_selectorELNS0_4arch9wavefront6targetE0EEEvT1_.num_agpr, 0
	.set _ZN7rocprim17ROCPRIM_400000_NS6detail17trampoline_kernelINS0_14default_configENS1_25transform_config_selectorIjLb0EEEZNS1_14transform_implILb0ES3_S5_N6thrust23THRUST_200600_302600_NS6detail15normal_iteratorINS8_10device_ptrIjEEEEPjNS0_8identityIjEEEE10hipError_tT2_T3_mT4_P12ihipStream_tbEUlT_E_NS1_11comp_targetILNS1_3genE4ELNS1_11target_archE910ELNS1_3gpuE8ELNS1_3repE0EEENS1_30default_config_static_selectorELNS0_4arch9wavefront6targetE0EEEvT1_.numbered_sgpr, 0
	.set _ZN7rocprim17ROCPRIM_400000_NS6detail17trampoline_kernelINS0_14default_configENS1_25transform_config_selectorIjLb0EEEZNS1_14transform_implILb0ES3_S5_N6thrust23THRUST_200600_302600_NS6detail15normal_iteratorINS8_10device_ptrIjEEEEPjNS0_8identityIjEEEE10hipError_tT2_T3_mT4_P12ihipStream_tbEUlT_E_NS1_11comp_targetILNS1_3genE4ELNS1_11target_archE910ELNS1_3gpuE8ELNS1_3repE0EEENS1_30default_config_static_selectorELNS0_4arch9wavefront6targetE0EEEvT1_.num_named_barrier, 0
	.set _ZN7rocprim17ROCPRIM_400000_NS6detail17trampoline_kernelINS0_14default_configENS1_25transform_config_selectorIjLb0EEEZNS1_14transform_implILb0ES3_S5_N6thrust23THRUST_200600_302600_NS6detail15normal_iteratorINS8_10device_ptrIjEEEEPjNS0_8identityIjEEEE10hipError_tT2_T3_mT4_P12ihipStream_tbEUlT_E_NS1_11comp_targetILNS1_3genE4ELNS1_11target_archE910ELNS1_3gpuE8ELNS1_3repE0EEENS1_30default_config_static_selectorELNS0_4arch9wavefront6targetE0EEEvT1_.private_seg_size, 0
	.set _ZN7rocprim17ROCPRIM_400000_NS6detail17trampoline_kernelINS0_14default_configENS1_25transform_config_selectorIjLb0EEEZNS1_14transform_implILb0ES3_S5_N6thrust23THRUST_200600_302600_NS6detail15normal_iteratorINS8_10device_ptrIjEEEEPjNS0_8identityIjEEEE10hipError_tT2_T3_mT4_P12ihipStream_tbEUlT_E_NS1_11comp_targetILNS1_3genE4ELNS1_11target_archE910ELNS1_3gpuE8ELNS1_3repE0EEENS1_30default_config_static_selectorELNS0_4arch9wavefront6targetE0EEEvT1_.uses_vcc, 0
	.set _ZN7rocprim17ROCPRIM_400000_NS6detail17trampoline_kernelINS0_14default_configENS1_25transform_config_selectorIjLb0EEEZNS1_14transform_implILb0ES3_S5_N6thrust23THRUST_200600_302600_NS6detail15normal_iteratorINS8_10device_ptrIjEEEEPjNS0_8identityIjEEEE10hipError_tT2_T3_mT4_P12ihipStream_tbEUlT_E_NS1_11comp_targetILNS1_3genE4ELNS1_11target_archE910ELNS1_3gpuE8ELNS1_3repE0EEENS1_30default_config_static_selectorELNS0_4arch9wavefront6targetE0EEEvT1_.uses_flat_scratch, 0
	.set _ZN7rocprim17ROCPRIM_400000_NS6detail17trampoline_kernelINS0_14default_configENS1_25transform_config_selectorIjLb0EEEZNS1_14transform_implILb0ES3_S5_N6thrust23THRUST_200600_302600_NS6detail15normal_iteratorINS8_10device_ptrIjEEEEPjNS0_8identityIjEEEE10hipError_tT2_T3_mT4_P12ihipStream_tbEUlT_E_NS1_11comp_targetILNS1_3genE4ELNS1_11target_archE910ELNS1_3gpuE8ELNS1_3repE0EEENS1_30default_config_static_selectorELNS0_4arch9wavefront6targetE0EEEvT1_.has_dyn_sized_stack, 0
	.set _ZN7rocprim17ROCPRIM_400000_NS6detail17trampoline_kernelINS0_14default_configENS1_25transform_config_selectorIjLb0EEEZNS1_14transform_implILb0ES3_S5_N6thrust23THRUST_200600_302600_NS6detail15normal_iteratorINS8_10device_ptrIjEEEEPjNS0_8identityIjEEEE10hipError_tT2_T3_mT4_P12ihipStream_tbEUlT_E_NS1_11comp_targetILNS1_3genE4ELNS1_11target_archE910ELNS1_3gpuE8ELNS1_3repE0EEENS1_30default_config_static_selectorELNS0_4arch9wavefront6targetE0EEEvT1_.has_recursion, 0
	.set _ZN7rocprim17ROCPRIM_400000_NS6detail17trampoline_kernelINS0_14default_configENS1_25transform_config_selectorIjLb0EEEZNS1_14transform_implILb0ES3_S5_N6thrust23THRUST_200600_302600_NS6detail15normal_iteratorINS8_10device_ptrIjEEEEPjNS0_8identityIjEEEE10hipError_tT2_T3_mT4_P12ihipStream_tbEUlT_E_NS1_11comp_targetILNS1_3genE4ELNS1_11target_archE910ELNS1_3gpuE8ELNS1_3repE0EEENS1_30default_config_static_selectorELNS0_4arch9wavefront6targetE0EEEvT1_.has_indirect_call, 0
	.section	.AMDGPU.csdata,"",@progbits
; Kernel info:
; codeLenInByte = 0
; TotalNumSgprs: 0
; NumVgprs: 0
; ScratchSize: 0
; MemoryBound: 0
; FloatMode: 240
; IeeeMode: 1
; LDSByteSize: 0 bytes/workgroup (compile time only)
; SGPRBlocks: 0
; VGPRBlocks: 0
; NumSGPRsForWavesPerEU: 1
; NumVGPRsForWavesPerEU: 1
; NamedBarCnt: 0
; Occupancy: 16
; WaveLimiterHint : 0
; COMPUTE_PGM_RSRC2:SCRATCH_EN: 0
; COMPUTE_PGM_RSRC2:USER_SGPR: 2
; COMPUTE_PGM_RSRC2:TRAP_HANDLER: 0
; COMPUTE_PGM_RSRC2:TGID_X_EN: 1
; COMPUTE_PGM_RSRC2:TGID_Y_EN: 0
; COMPUTE_PGM_RSRC2:TGID_Z_EN: 0
; COMPUTE_PGM_RSRC2:TIDIG_COMP_CNT: 0
	.section	.text._ZN7rocprim17ROCPRIM_400000_NS6detail17trampoline_kernelINS0_14default_configENS1_25transform_config_selectorIjLb0EEEZNS1_14transform_implILb0ES3_S5_N6thrust23THRUST_200600_302600_NS6detail15normal_iteratorINS8_10device_ptrIjEEEEPjNS0_8identityIjEEEE10hipError_tT2_T3_mT4_P12ihipStream_tbEUlT_E_NS1_11comp_targetILNS1_3genE3ELNS1_11target_archE908ELNS1_3gpuE7ELNS1_3repE0EEENS1_30default_config_static_selectorELNS0_4arch9wavefront6targetE0EEEvT1_,"axG",@progbits,_ZN7rocprim17ROCPRIM_400000_NS6detail17trampoline_kernelINS0_14default_configENS1_25transform_config_selectorIjLb0EEEZNS1_14transform_implILb0ES3_S5_N6thrust23THRUST_200600_302600_NS6detail15normal_iteratorINS8_10device_ptrIjEEEEPjNS0_8identityIjEEEE10hipError_tT2_T3_mT4_P12ihipStream_tbEUlT_E_NS1_11comp_targetILNS1_3genE3ELNS1_11target_archE908ELNS1_3gpuE7ELNS1_3repE0EEENS1_30default_config_static_selectorELNS0_4arch9wavefront6targetE0EEEvT1_,comdat
	.protected	_ZN7rocprim17ROCPRIM_400000_NS6detail17trampoline_kernelINS0_14default_configENS1_25transform_config_selectorIjLb0EEEZNS1_14transform_implILb0ES3_S5_N6thrust23THRUST_200600_302600_NS6detail15normal_iteratorINS8_10device_ptrIjEEEEPjNS0_8identityIjEEEE10hipError_tT2_T3_mT4_P12ihipStream_tbEUlT_E_NS1_11comp_targetILNS1_3genE3ELNS1_11target_archE908ELNS1_3gpuE7ELNS1_3repE0EEENS1_30default_config_static_selectorELNS0_4arch9wavefront6targetE0EEEvT1_ ; -- Begin function _ZN7rocprim17ROCPRIM_400000_NS6detail17trampoline_kernelINS0_14default_configENS1_25transform_config_selectorIjLb0EEEZNS1_14transform_implILb0ES3_S5_N6thrust23THRUST_200600_302600_NS6detail15normal_iteratorINS8_10device_ptrIjEEEEPjNS0_8identityIjEEEE10hipError_tT2_T3_mT4_P12ihipStream_tbEUlT_E_NS1_11comp_targetILNS1_3genE3ELNS1_11target_archE908ELNS1_3gpuE7ELNS1_3repE0EEENS1_30default_config_static_selectorELNS0_4arch9wavefront6targetE0EEEvT1_
	.globl	_ZN7rocprim17ROCPRIM_400000_NS6detail17trampoline_kernelINS0_14default_configENS1_25transform_config_selectorIjLb0EEEZNS1_14transform_implILb0ES3_S5_N6thrust23THRUST_200600_302600_NS6detail15normal_iteratorINS8_10device_ptrIjEEEEPjNS0_8identityIjEEEE10hipError_tT2_T3_mT4_P12ihipStream_tbEUlT_E_NS1_11comp_targetILNS1_3genE3ELNS1_11target_archE908ELNS1_3gpuE7ELNS1_3repE0EEENS1_30default_config_static_selectorELNS0_4arch9wavefront6targetE0EEEvT1_
	.p2align	8
	.type	_ZN7rocprim17ROCPRIM_400000_NS6detail17trampoline_kernelINS0_14default_configENS1_25transform_config_selectorIjLb0EEEZNS1_14transform_implILb0ES3_S5_N6thrust23THRUST_200600_302600_NS6detail15normal_iteratorINS8_10device_ptrIjEEEEPjNS0_8identityIjEEEE10hipError_tT2_T3_mT4_P12ihipStream_tbEUlT_E_NS1_11comp_targetILNS1_3genE3ELNS1_11target_archE908ELNS1_3gpuE7ELNS1_3repE0EEENS1_30default_config_static_selectorELNS0_4arch9wavefront6targetE0EEEvT1_,@function
_ZN7rocprim17ROCPRIM_400000_NS6detail17trampoline_kernelINS0_14default_configENS1_25transform_config_selectorIjLb0EEEZNS1_14transform_implILb0ES3_S5_N6thrust23THRUST_200600_302600_NS6detail15normal_iteratorINS8_10device_ptrIjEEEEPjNS0_8identityIjEEEE10hipError_tT2_T3_mT4_P12ihipStream_tbEUlT_E_NS1_11comp_targetILNS1_3genE3ELNS1_11target_archE908ELNS1_3gpuE7ELNS1_3repE0EEENS1_30default_config_static_selectorELNS0_4arch9wavefront6targetE0EEEvT1_: ; @_ZN7rocprim17ROCPRIM_400000_NS6detail17trampoline_kernelINS0_14default_configENS1_25transform_config_selectorIjLb0EEEZNS1_14transform_implILb0ES3_S5_N6thrust23THRUST_200600_302600_NS6detail15normal_iteratorINS8_10device_ptrIjEEEEPjNS0_8identityIjEEEE10hipError_tT2_T3_mT4_P12ihipStream_tbEUlT_E_NS1_11comp_targetILNS1_3genE3ELNS1_11target_archE908ELNS1_3gpuE7ELNS1_3repE0EEENS1_30default_config_static_selectorELNS0_4arch9wavefront6targetE0EEEvT1_
; %bb.0:
	.section	.rodata,"a",@progbits
	.p2align	6, 0x0
	.amdhsa_kernel _ZN7rocprim17ROCPRIM_400000_NS6detail17trampoline_kernelINS0_14default_configENS1_25transform_config_selectorIjLb0EEEZNS1_14transform_implILb0ES3_S5_N6thrust23THRUST_200600_302600_NS6detail15normal_iteratorINS8_10device_ptrIjEEEEPjNS0_8identityIjEEEE10hipError_tT2_T3_mT4_P12ihipStream_tbEUlT_E_NS1_11comp_targetILNS1_3genE3ELNS1_11target_archE908ELNS1_3gpuE7ELNS1_3repE0EEENS1_30default_config_static_selectorELNS0_4arch9wavefront6targetE0EEEvT1_
		.amdhsa_group_segment_fixed_size 0
		.amdhsa_private_segment_fixed_size 0
		.amdhsa_kernarg_size 40
		.amdhsa_user_sgpr_count 2
		.amdhsa_user_sgpr_dispatch_ptr 0
		.amdhsa_user_sgpr_queue_ptr 0
		.amdhsa_user_sgpr_kernarg_segment_ptr 1
		.amdhsa_user_sgpr_dispatch_id 0
		.amdhsa_user_sgpr_kernarg_preload_length 0
		.amdhsa_user_sgpr_kernarg_preload_offset 0
		.amdhsa_user_sgpr_private_segment_size 0
		.amdhsa_wavefront_size32 1
		.amdhsa_uses_dynamic_stack 0
		.amdhsa_enable_private_segment 0
		.amdhsa_system_sgpr_workgroup_id_x 1
		.amdhsa_system_sgpr_workgroup_id_y 0
		.amdhsa_system_sgpr_workgroup_id_z 0
		.amdhsa_system_sgpr_workgroup_info 0
		.amdhsa_system_vgpr_workitem_id 0
		.amdhsa_next_free_vgpr 1
		.amdhsa_next_free_sgpr 1
		.amdhsa_named_barrier_count 0
		.amdhsa_reserve_vcc 0
		.amdhsa_float_round_mode_32 0
		.amdhsa_float_round_mode_16_64 0
		.amdhsa_float_denorm_mode_32 3
		.amdhsa_float_denorm_mode_16_64 3
		.amdhsa_fp16_overflow 0
		.amdhsa_memory_ordered 1
		.amdhsa_forward_progress 1
		.amdhsa_inst_pref_size 0
		.amdhsa_round_robin_scheduling 0
		.amdhsa_exception_fp_ieee_invalid_op 0
		.amdhsa_exception_fp_denorm_src 0
		.amdhsa_exception_fp_ieee_div_zero 0
		.amdhsa_exception_fp_ieee_overflow 0
		.amdhsa_exception_fp_ieee_underflow 0
		.amdhsa_exception_fp_ieee_inexact 0
		.amdhsa_exception_int_div_zero 0
	.end_amdhsa_kernel
	.section	.text._ZN7rocprim17ROCPRIM_400000_NS6detail17trampoline_kernelINS0_14default_configENS1_25transform_config_selectorIjLb0EEEZNS1_14transform_implILb0ES3_S5_N6thrust23THRUST_200600_302600_NS6detail15normal_iteratorINS8_10device_ptrIjEEEEPjNS0_8identityIjEEEE10hipError_tT2_T3_mT4_P12ihipStream_tbEUlT_E_NS1_11comp_targetILNS1_3genE3ELNS1_11target_archE908ELNS1_3gpuE7ELNS1_3repE0EEENS1_30default_config_static_selectorELNS0_4arch9wavefront6targetE0EEEvT1_,"axG",@progbits,_ZN7rocprim17ROCPRIM_400000_NS6detail17trampoline_kernelINS0_14default_configENS1_25transform_config_selectorIjLb0EEEZNS1_14transform_implILb0ES3_S5_N6thrust23THRUST_200600_302600_NS6detail15normal_iteratorINS8_10device_ptrIjEEEEPjNS0_8identityIjEEEE10hipError_tT2_T3_mT4_P12ihipStream_tbEUlT_E_NS1_11comp_targetILNS1_3genE3ELNS1_11target_archE908ELNS1_3gpuE7ELNS1_3repE0EEENS1_30default_config_static_selectorELNS0_4arch9wavefront6targetE0EEEvT1_,comdat
.Lfunc_end160:
	.size	_ZN7rocprim17ROCPRIM_400000_NS6detail17trampoline_kernelINS0_14default_configENS1_25transform_config_selectorIjLb0EEEZNS1_14transform_implILb0ES3_S5_N6thrust23THRUST_200600_302600_NS6detail15normal_iteratorINS8_10device_ptrIjEEEEPjNS0_8identityIjEEEE10hipError_tT2_T3_mT4_P12ihipStream_tbEUlT_E_NS1_11comp_targetILNS1_3genE3ELNS1_11target_archE908ELNS1_3gpuE7ELNS1_3repE0EEENS1_30default_config_static_selectorELNS0_4arch9wavefront6targetE0EEEvT1_, .Lfunc_end160-_ZN7rocprim17ROCPRIM_400000_NS6detail17trampoline_kernelINS0_14default_configENS1_25transform_config_selectorIjLb0EEEZNS1_14transform_implILb0ES3_S5_N6thrust23THRUST_200600_302600_NS6detail15normal_iteratorINS8_10device_ptrIjEEEEPjNS0_8identityIjEEEE10hipError_tT2_T3_mT4_P12ihipStream_tbEUlT_E_NS1_11comp_targetILNS1_3genE3ELNS1_11target_archE908ELNS1_3gpuE7ELNS1_3repE0EEENS1_30default_config_static_selectorELNS0_4arch9wavefront6targetE0EEEvT1_
                                        ; -- End function
	.set _ZN7rocprim17ROCPRIM_400000_NS6detail17trampoline_kernelINS0_14default_configENS1_25transform_config_selectorIjLb0EEEZNS1_14transform_implILb0ES3_S5_N6thrust23THRUST_200600_302600_NS6detail15normal_iteratorINS8_10device_ptrIjEEEEPjNS0_8identityIjEEEE10hipError_tT2_T3_mT4_P12ihipStream_tbEUlT_E_NS1_11comp_targetILNS1_3genE3ELNS1_11target_archE908ELNS1_3gpuE7ELNS1_3repE0EEENS1_30default_config_static_selectorELNS0_4arch9wavefront6targetE0EEEvT1_.num_vgpr, 0
	.set _ZN7rocprim17ROCPRIM_400000_NS6detail17trampoline_kernelINS0_14default_configENS1_25transform_config_selectorIjLb0EEEZNS1_14transform_implILb0ES3_S5_N6thrust23THRUST_200600_302600_NS6detail15normal_iteratorINS8_10device_ptrIjEEEEPjNS0_8identityIjEEEE10hipError_tT2_T3_mT4_P12ihipStream_tbEUlT_E_NS1_11comp_targetILNS1_3genE3ELNS1_11target_archE908ELNS1_3gpuE7ELNS1_3repE0EEENS1_30default_config_static_selectorELNS0_4arch9wavefront6targetE0EEEvT1_.num_agpr, 0
	.set _ZN7rocprim17ROCPRIM_400000_NS6detail17trampoline_kernelINS0_14default_configENS1_25transform_config_selectorIjLb0EEEZNS1_14transform_implILb0ES3_S5_N6thrust23THRUST_200600_302600_NS6detail15normal_iteratorINS8_10device_ptrIjEEEEPjNS0_8identityIjEEEE10hipError_tT2_T3_mT4_P12ihipStream_tbEUlT_E_NS1_11comp_targetILNS1_3genE3ELNS1_11target_archE908ELNS1_3gpuE7ELNS1_3repE0EEENS1_30default_config_static_selectorELNS0_4arch9wavefront6targetE0EEEvT1_.numbered_sgpr, 0
	.set _ZN7rocprim17ROCPRIM_400000_NS6detail17trampoline_kernelINS0_14default_configENS1_25transform_config_selectorIjLb0EEEZNS1_14transform_implILb0ES3_S5_N6thrust23THRUST_200600_302600_NS6detail15normal_iteratorINS8_10device_ptrIjEEEEPjNS0_8identityIjEEEE10hipError_tT2_T3_mT4_P12ihipStream_tbEUlT_E_NS1_11comp_targetILNS1_3genE3ELNS1_11target_archE908ELNS1_3gpuE7ELNS1_3repE0EEENS1_30default_config_static_selectorELNS0_4arch9wavefront6targetE0EEEvT1_.num_named_barrier, 0
	.set _ZN7rocprim17ROCPRIM_400000_NS6detail17trampoline_kernelINS0_14default_configENS1_25transform_config_selectorIjLb0EEEZNS1_14transform_implILb0ES3_S5_N6thrust23THRUST_200600_302600_NS6detail15normal_iteratorINS8_10device_ptrIjEEEEPjNS0_8identityIjEEEE10hipError_tT2_T3_mT4_P12ihipStream_tbEUlT_E_NS1_11comp_targetILNS1_3genE3ELNS1_11target_archE908ELNS1_3gpuE7ELNS1_3repE0EEENS1_30default_config_static_selectorELNS0_4arch9wavefront6targetE0EEEvT1_.private_seg_size, 0
	.set _ZN7rocprim17ROCPRIM_400000_NS6detail17trampoline_kernelINS0_14default_configENS1_25transform_config_selectorIjLb0EEEZNS1_14transform_implILb0ES3_S5_N6thrust23THRUST_200600_302600_NS6detail15normal_iteratorINS8_10device_ptrIjEEEEPjNS0_8identityIjEEEE10hipError_tT2_T3_mT4_P12ihipStream_tbEUlT_E_NS1_11comp_targetILNS1_3genE3ELNS1_11target_archE908ELNS1_3gpuE7ELNS1_3repE0EEENS1_30default_config_static_selectorELNS0_4arch9wavefront6targetE0EEEvT1_.uses_vcc, 0
	.set _ZN7rocprim17ROCPRIM_400000_NS6detail17trampoline_kernelINS0_14default_configENS1_25transform_config_selectorIjLb0EEEZNS1_14transform_implILb0ES3_S5_N6thrust23THRUST_200600_302600_NS6detail15normal_iteratorINS8_10device_ptrIjEEEEPjNS0_8identityIjEEEE10hipError_tT2_T3_mT4_P12ihipStream_tbEUlT_E_NS1_11comp_targetILNS1_3genE3ELNS1_11target_archE908ELNS1_3gpuE7ELNS1_3repE0EEENS1_30default_config_static_selectorELNS0_4arch9wavefront6targetE0EEEvT1_.uses_flat_scratch, 0
	.set _ZN7rocprim17ROCPRIM_400000_NS6detail17trampoline_kernelINS0_14default_configENS1_25transform_config_selectorIjLb0EEEZNS1_14transform_implILb0ES3_S5_N6thrust23THRUST_200600_302600_NS6detail15normal_iteratorINS8_10device_ptrIjEEEEPjNS0_8identityIjEEEE10hipError_tT2_T3_mT4_P12ihipStream_tbEUlT_E_NS1_11comp_targetILNS1_3genE3ELNS1_11target_archE908ELNS1_3gpuE7ELNS1_3repE0EEENS1_30default_config_static_selectorELNS0_4arch9wavefront6targetE0EEEvT1_.has_dyn_sized_stack, 0
	.set _ZN7rocprim17ROCPRIM_400000_NS6detail17trampoline_kernelINS0_14default_configENS1_25transform_config_selectorIjLb0EEEZNS1_14transform_implILb0ES3_S5_N6thrust23THRUST_200600_302600_NS6detail15normal_iteratorINS8_10device_ptrIjEEEEPjNS0_8identityIjEEEE10hipError_tT2_T3_mT4_P12ihipStream_tbEUlT_E_NS1_11comp_targetILNS1_3genE3ELNS1_11target_archE908ELNS1_3gpuE7ELNS1_3repE0EEENS1_30default_config_static_selectorELNS0_4arch9wavefront6targetE0EEEvT1_.has_recursion, 0
	.set _ZN7rocprim17ROCPRIM_400000_NS6detail17trampoline_kernelINS0_14default_configENS1_25transform_config_selectorIjLb0EEEZNS1_14transform_implILb0ES3_S5_N6thrust23THRUST_200600_302600_NS6detail15normal_iteratorINS8_10device_ptrIjEEEEPjNS0_8identityIjEEEE10hipError_tT2_T3_mT4_P12ihipStream_tbEUlT_E_NS1_11comp_targetILNS1_3genE3ELNS1_11target_archE908ELNS1_3gpuE7ELNS1_3repE0EEENS1_30default_config_static_selectorELNS0_4arch9wavefront6targetE0EEEvT1_.has_indirect_call, 0
	.section	.AMDGPU.csdata,"",@progbits
; Kernel info:
; codeLenInByte = 0
; TotalNumSgprs: 0
; NumVgprs: 0
; ScratchSize: 0
; MemoryBound: 0
; FloatMode: 240
; IeeeMode: 1
; LDSByteSize: 0 bytes/workgroup (compile time only)
; SGPRBlocks: 0
; VGPRBlocks: 0
; NumSGPRsForWavesPerEU: 1
; NumVGPRsForWavesPerEU: 1
; NamedBarCnt: 0
; Occupancy: 16
; WaveLimiterHint : 0
; COMPUTE_PGM_RSRC2:SCRATCH_EN: 0
; COMPUTE_PGM_RSRC2:USER_SGPR: 2
; COMPUTE_PGM_RSRC2:TRAP_HANDLER: 0
; COMPUTE_PGM_RSRC2:TGID_X_EN: 1
; COMPUTE_PGM_RSRC2:TGID_Y_EN: 0
; COMPUTE_PGM_RSRC2:TGID_Z_EN: 0
; COMPUTE_PGM_RSRC2:TIDIG_COMP_CNT: 0
	.section	.text._ZN7rocprim17ROCPRIM_400000_NS6detail17trampoline_kernelINS0_14default_configENS1_25transform_config_selectorIjLb0EEEZNS1_14transform_implILb0ES3_S5_N6thrust23THRUST_200600_302600_NS6detail15normal_iteratorINS8_10device_ptrIjEEEEPjNS0_8identityIjEEEE10hipError_tT2_T3_mT4_P12ihipStream_tbEUlT_E_NS1_11comp_targetILNS1_3genE2ELNS1_11target_archE906ELNS1_3gpuE6ELNS1_3repE0EEENS1_30default_config_static_selectorELNS0_4arch9wavefront6targetE0EEEvT1_,"axG",@progbits,_ZN7rocprim17ROCPRIM_400000_NS6detail17trampoline_kernelINS0_14default_configENS1_25transform_config_selectorIjLb0EEEZNS1_14transform_implILb0ES3_S5_N6thrust23THRUST_200600_302600_NS6detail15normal_iteratorINS8_10device_ptrIjEEEEPjNS0_8identityIjEEEE10hipError_tT2_T3_mT4_P12ihipStream_tbEUlT_E_NS1_11comp_targetILNS1_3genE2ELNS1_11target_archE906ELNS1_3gpuE6ELNS1_3repE0EEENS1_30default_config_static_selectorELNS0_4arch9wavefront6targetE0EEEvT1_,comdat
	.protected	_ZN7rocprim17ROCPRIM_400000_NS6detail17trampoline_kernelINS0_14default_configENS1_25transform_config_selectorIjLb0EEEZNS1_14transform_implILb0ES3_S5_N6thrust23THRUST_200600_302600_NS6detail15normal_iteratorINS8_10device_ptrIjEEEEPjNS0_8identityIjEEEE10hipError_tT2_T3_mT4_P12ihipStream_tbEUlT_E_NS1_11comp_targetILNS1_3genE2ELNS1_11target_archE906ELNS1_3gpuE6ELNS1_3repE0EEENS1_30default_config_static_selectorELNS0_4arch9wavefront6targetE0EEEvT1_ ; -- Begin function _ZN7rocprim17ROCPRIM_400000_NS6detail17trampoline_kernelINS0_14default_configENS1_25transform_config_selectorIjLb0EEEZNS1_14transform_implILb0ES3_S5_N6thrust23THRUST_200600_302600_NS6detail15normal_iteratorINS8_10device_ptrIjEEEEPjNS0_8identityIjEEEE10hipError_tT2_T3_mT4_P12ihipStream_tbEUlT_E_NS1_11comp_targetILNS1_3genE2ELNS1_11target_archE906ELNS1_3gpuE6ELNS1_3repE0EEENS1_30default_config_static_selectorELNS0_4arch9wavefront6targetE0EEEvT1_
	.globl	_ZN7rocprim17ROCPRIM_400000_NS6detail17trampoline_kernelINS0_14default_configENS1_25transform_config_selectorIjLb0EEEZNS1_14transform_implILb0ES3_S5_N6thrust23THRUST_200600_302600_NS6detail15normal_iteratorINS8_10device_ptrIjEEEEPjNS0_8identityIjEEEE10hipError_tT2_T3_mT4_P12ihipStream_tbEUlT_E_NS1_11comp_targetILNS1_3genE2ELNS1_11target_archE906ELNS1_3gpuE6ELNS1_3repE0EEENS1_30default_config_static_selectorELNS0_4arch9wavefront6targetE0EEEvT1_
	.p2align	8
	.type	_ZN7rocprim17ROCPRIM_400000_NS6detail17trampoline_kernelINS0_14default_configENS1_25transform_config_selectorIjLb0EEEZNS1_14transform_implILb0ES3_S5_N6thrust23THRUST_200600_302600_NS6detail15normal_iteratorINS8_10device_ptrIjEEEEPjNS0_8identityIjEEEE10hipError_tT2_T3_mT4_P12ihipStream_tbEUlT_E_NS1_11comp_targetILNS1_3genE2ELNS1_11target_archE906ELNS1_3gpuE6ELNS1_3repE0EEENS1_30default_config_static_selectorELNS0_4arch9wavefront6targetE0EEEvT1_,@function
_ZN7rocprim17ROCPRIM_400000_NS6detail17trampoline_kernelINS0_14default_configENS1_25transform_config_selectorIjLb0EEEZNS1_14transform_implILb0ES3_S5_N6thrust23THRUST_200600_302600_NS6detail15normal_iteratorINS8_10device_ptrIjEEEEPjNS0_8identityIjEEEE10hipError_tT2_T3_mT4_P12ihipStream_tbEUlT_E_NS1_11comp_targetILNS1_3genE2ELNS1_11target_archE906ELNS1_3gpuE6ELNS1_3repE0EEENS1_30default_config_static_selectorELNS0_4arch9wavefront6targetE0EEEvT1_: ; @_ZN7rocprim17ROCPRIM_400000_NS6detail17trampoline_kernelINS0_14default_configENS1_25transform_config_selectorIjLb0EEEZNS1_14transform_implILb0ES3_S5_N6thrust23THRUST_200600_302600_NS6detail15normal_iteratorINS8_10device_ptrIjEEEEPjNS0_8identityIjEEEE10hipError_tT2_T3_mT4_P12ihipStream_tbEUlT_E_NS1_11comp_targetILNS1_3genE2ELNS1_11target_archE906ELNS1_3gpuE6ELNS1_3repE0EEENS1_30default_config_static_selectorELNS0_4arch9wavefront6targetE0EEEvT1_
; %bb.0:
	.section	.rodata,"a",@progbits
	.p2align	6, 0x0
	.amdhsa_kernel _ZN7rocprim17ROCPRIM_400000_NS6detail17trampoline_kernelINS0_14default_configENS1_25transform_config_selectorIjLb0EEEZNS1_14transform_implILb0ES3_S5_N6thrust23THRUST_200600_302600_NS6detail15normal_iteratorINS8_10device_ptrIjEEEEPjNS0_8identityIjEEEE10hipError_tT2_T3_mT4_P12ihipStream_tbEUlT_E_NS1_11comp_targetILNS1_3genE2ELNS1_11target_archE906ELNS1_3gpuE6ELNS1_3repE0EEENS1_30default_config_static_selectorELNS0_4arch9wavefront6targetE0EEEvT1_
		.amdhsa_group_segment_fixed_size 0
		.amdhsa_private_segment_fixed_size 0
		.amdhsa_kernarg_size 40
		.amdhsa_user_sgpr_count 2
		.amdhsa_user_sgpr_dispatch_ptr 0
		.amdhsa_user_sgpr_queue_ptr 0
		.amdhsa_user_sgpr_kernarg_segment_ptr 1
		.amdhsa_user_sgpr_dispatch_id 0
		.amdhsa_user_sgpr_kernarg_preload_length 0
		.amdhsa_user_sgpr_kernarg_preload_offset 0
		.amdhsa_user_sgpr_private_segment_size 0
		.amdhsa_wavefront_size32 1
		.amdhsa_uses_dynamic_stack 0
		.amdhsa_enable_private_segment 0
		.amdhsa_system_sgpr_workgroup_id_x 1
		.amdhsa_system_sgpr_workgroup_id_y 0
		.amdhsa_system_sgpr_workgroup_id_z 0
		.amdhsa_system_sgpr_workgroup_info 0
		.amdhsa_system_vgpr_workitem_id 0
		.amdhsa_next_free_vgpr 1
		.amdhsa_next_free_sgpr 1
		.amdhsa_named_barrier_count 0
		.amdhsa_reserve_vcc 0
		.amdhsa_float_round_mode_32 0
		.amdhsa_float_round_mode_16_64 0
		.amdhsa_float_denorm_mode_32 3
		.amdhsa_float_denorm_mode_16_64 3
		.amdhsa_fp16_overflow 0
		.amdhsa_memory_ordered 1
		.amdhsa_forward_progress 1
		.amdhsa_inst_pref_size 0
		.amdhsa_round_robin_scheduling 0
		.amdhsa_exception_fp_ieee_invalid_op 0
		.amdhsa_exception_fp_denorm_src 0
		.amdhsa_exception_fp_ieee_div_zero 0
		.amdhsa_exception_fp_ieee_overflow 0
		.amdhsa_exception_fp_ieee_underflow 0
		.amdhsa_exception_fp_ieee_inexact 0
		.amdhsa_exception_int_div_zero 0
	.end_amdhsa_kernel
	.section	.text._ZN7rocprim17ROCPRIM_400000_NS6detail17trampoline_kernelINS0_14default_configENS1_25transform_config_selectorIjLb0EEEZNS1_14transform_implILb0ES3_S5_N6thrust23THRUST_200600_302600_NS6detail15normal_iteratorINS8_10device_ptrIjEEEEPjNS0_8identityIjEEEE10hipError_tT2_T3_mT4_P12ihipStream_tbEUlT_E_NS1_11comp_targetILNS1_3genE2ELNS1_11target_archE906ELNS1_3gpuE6ELNS1_3repE0EEENS1_30default_config_static_selectorELNS0_4arch9wavefront6targetE0EEEvT1_,"axG",@progbits,_ZN7rocprim17ROCPRIM_400000_NS6detail17trampoline_kernelINS0_14default_configENS1_25transform_config_selectorIjLb0EEEZNS1_14transform_implILb0ES3_S5_N6thrust23THRUST_200600_302600_NS6detail15normal_iteratorINS8_10device_ptrIjEEEEPjNS0_8identityIjEEEE10hipError_tT2_T3_mT4_P12ihipStream_tbEUlT_E_NS1_11comp_targetILNS1_3genE2ELNS1_11target_archE906ELNS1_3gpuE6ELNS1_3repE0EEENS1_30default_config_static_selectorELNS0_4arch9wavefront6targetE0EEEvT1_,comdat
.Lfunc_end161:
	.size	_ZN7rocprim17ROCPRIM_400000_NS6detail17trampoline_kernelINS0_14default_configENS1_25transform_config_selectorIjLb0EEEZNS1_14transform_implILb0ES3_S5_N6thrust23THRUST_200600_302600_NS6detail15normal_iteratorINS8_10device_ptrIjEEEEPjNS0_8identityIjEEEE10hipError_tT2_T3_mT4_P12ihipStream_tbEUlT_E_NS1_11comp_targetILNS1_3genE2ELNS1_11target_archE906ELNS1_3gpuE6ELNS1_3repE0EEENS1_30default_config_static_selectorELNS0_4arch9wavefront6targetE0EEEvT1_, .Lfunc_end161-_ZN7rocprim17ROCPRIM_400000_NS6detail17trampoline_kernelINS0_14default_configENS1_25transform_config_selectorIjLb0EEEZNS1_14transform_implILb0ES3_S5_N6thrust23THRUST_200600_302600_NS6detail15normal_iteratorINS8_10device_ptrIjEEEEPjNS0_8identityIjEEEE10hipError_tT2_T3_mT4_P12ihipStream_tbEUlT_E_NS1_11comp_targetILNS1_3genE2ELNS1_11target_archE906ELNS1_3gpuE6ELNS1_3repE0EEENS1_30default_config_static_selectorELNS0_4arch9wavefront6targetE0EEEvT1_
                                        ; -- End function
	.set _ZN7rocprim17ROCPRIM_400000_NS6detail17trampoline_kernelINS0_14default_configENS1_25transform_config_selectorIjLb0EEEZNS1_14transform_implILb0ES3_S5_N6thrust23THRUST_200600_302600_NS6detail15normal_iteratorINS8_10device_ptrIjEEEEPjNS0_8identityIjEEEE10hipError_tT2_T3_mT4_P12ihipStream_tbEUlT_E_NS1_11comp_targetILNS1_3genE2ELNS1_11target_archE906ELNS1_3gpuE6ELNS1_3repE0EEENS1_30default_config_static_selectorELNS0_4arch9wavefront6targetE0EEEvT1_.num_vgpr, 0
	.set _ZN7rocprim17ROCPRIM_400000_NS6detail17trampoline_kernelINS0_14default_configENS1_25transform_config_selectorIjLb0EEEZNS1_14transform_implILb0ES3_S5_N6thrust23THRUST_200600_302600_NS6detail15normal_iteratorINS8_10device_ptrIjEEEEPjNS0_8identityIjEEEE10hipError_tT2_T3_mT4_P12ihipStream_tbEUlT_E_NS1_11comp_targetILNS1_3genE2ELNS1_11target_archE906ELNS1_3gpuE6ELNS1_3repE0EEENS1_30default_config_static_selectorELNS0_4arch9wavefront6targetE0EEEvT1_.num_agpr, 0
	.set _ZN7rocprim17ROCPRIM_400000_NS6detail17trampoline_kernelINS0_14default_configENS1_25transform_config_selectorIjLb0EEEZNS1_14transform_implILb0ES3_S5_N6thrust23THRUST_200600_302600_NS6detail15normal_iteratorINS8_10device_ptrIjEEEEPjNS0_8identityIjEEEE10hipError_tT2_T3_mT4_P12ihipStream_tbEUlT_E_NS1_11comp_targetILNS1_3genE2ELNS1_11target_archE906ELNS1_3gpuE6ELNS1_3repE0EEENS1_30default_config_static_selectorELNS0_4arch9wavefront6targetE0EEEvT1_.numbered_sgpr, 0
	.set _ZN7rocprim17ROCPRIM_400000_NS6detail17trampoline_kernelINS0_14default_configENS1_25transform_config_selectorIjLb0EEEZNS1_14transform_implILb0ES3_S5_N6thrust23THRUST_200600_302600_NS6detail15normal_iteratorINS8_10device_ptrIjEEEEPjNS0_8identityIjEEEE10hipError_tT2_T3_mT4_P12ihipStream_tbEUlT_E_NS1_11comp_targetILNS1_3genE2ELNS1_11target_archE906ELNS1_3gpuE6ELNS1_3repE0EEENS1_30default_config_static_selectorELNS0_4arch9wavefront6targetE0EEEvT1_.num_named_barrier, 0
	.set _ZN7rocprim17ROCPRIM_400000_NS6detail17trampoline_kernelINS0_14default_configENS1_25transform_config_selectorIjLb0EEEZNS1_14transform_implILb0ES3_S5_N6thrust23THRUST_200600_302600_NS6detail15normal_iteratorINS8_10device_ptrIjEEEEPjNS0_8identityIjEEEE10hipError_tT2_T3_mT4_P12ihipStream_tbEUlT_E_NS1_11comp_targetILNS1_3genE2ELNS1_11target_archE906ELNS1_3gpuE6ELNS1_3repE0EEENS1_30default_config_static_selectorELNS0_4arch9wavefront6targetE0EEEvT1_.private_seg_size, 0
	.set _ZN7rocprim17ROCPRIM_400000_NS6detail17trampoline_kernelINS0_14default_configENS1_25transform_config_selectorIjLb0EEEZNS1_14transform_implILb0ES3_S5_N6thrust23THRUST_200600_302600_NS6detail15normal_iteratorINS8_10device_ptrIjEEEEPjNS0_8identityIjEEEE10hipError_tT2_T3_mT4_P12ihipStream_tbEUlT_E_NS1_11comp_targetILNS1_3genE2ELNS1_11target_archE906ELNS1_3gpuE6ELNS1_3repE0EEENS1_30default_config_static_selectorELNS0_4arch9wavefront6targetE0EEEvT1_.uses_vcc, 0
	.set _ZN7rocprim17ROCPRIM_400000_NS6detail17trampoline_kernelINS0_14default_configENS1_25transform_config_selectorIjLb0EEEZNS1_14transform_implILb0ES3_S5_N6thrust23THRUST_200600_302600_NS6detail15normal_iteratorINS8_10device_ptrIjEEEEPjNS0_8identityIjEEEE10hipError_tT2_T3_mT4_P12ihipStream_tbEUlT_E_NS1_11comp_targetILNS1_3genE2ELNS1_11target_archE906ELNS1_3gpuE6ELNS1_3repE0EEENS1_30default_config_static_selectorELNS0_4arch9wavefront6targetE0EEEvT1_.uses_flat_scratch, 0
	.set _ZN7rocprim17ROCPRIM_400000_NS6detail17trampoline_kernelINS0_14default_configENS1_25transform_config_selectorIjLb0EEEZNS1_14transform_implILb0ES3_S5_N6thrust23THRUST_200600_302600_NS6detail15normal_iteratorINS8_10device_ptrIjEEEEPjNS0_8identityIjEEEE10hipError_tT2_T3_mT4_P12ihipStream_tbEUlT_E_NS1_11comp_targetILNS1_3genE2ELNS1_11target_archE906ELNS1_3gpuE6ELNS1_3repE0EEENS1_30default_config_static_selectorELNS0_4arch9wavefront6targetE0EEEvT1_.has_dyn_sized_stack, 0
	.set _ZN7rocprim17ROCPRIM_400000_NS6detail17trampoline_kernelINS0_14default_configENS1_25transform_config_selectorIjLb0EEEZNS1_14transform_implILb0ES3_S5_N6thrust23THRUST_200600_302600_NS6detail15normal_iteratorINS8_10device_ptrIjEEEEPjNS0_8identityIjEEEE10hipError_tT2_T3_mT4_P12ihipStream_tbEUlT_E_NS1_11comp_targetILNS1_3genE2ELNS1_11target_archE906ELNS1_3gpuE6ELNS1_3repE0EEENS1_30default_config_static_selectorELNS0_4arch9wavefront6targetE0EEEvT1_.has_recursion, 0
	.set _ZN7rocprim17ROCPRIM_400000_NS6detail17trampoline_kernelINS0_14default_configENS1_25transform_config_selectorIjLb0EEEZNS1_14transform_implILb0ES3_S5_N6thrust23THRUST_200600_302600_NS6detail15normal_iteratorINS8_10device_ptrIjEEEEPjNS0_8identityIjEEEE10hipError_tT2_T3_mT4_P12ihipStream_tbEUlT_E_NS1_11comp_targetILNS1_3genE2ELNS1_11target_archE906ELNS1_3gpuE6ELNS1_3repE0EEENS1_30default_config_static_selectorELNS0_4arch9wavefront6targetE0EEEvT1_.has_indirect_call, 0
	.section	.AMDGPU.csdata,"",@progbits
; Kernel info:
; codeLenInByte = 0
; TotalNumSgprs: 0
; NumVgprs: 0
; ScratchSize: 0
; MemoryBound: 0
; FloatMode: 240
; IeeeMode: 1
; LDSByteSize: 0 bytes/workgroup (compile time only)
; SGPRBlocks: 0
; VGPRBlocks: 0
; NumSGPRsForWavesPerEU: 1
; NumVGPRsForWavesPerEU: 1
; NamedBarCnt: 0
; Occupancy: 16
; WaveLimiterHint : 0
; COMPUTE_PGM_RSRC2:SCRATCH_EN: 0
; COMPUTE_PGM_RSRC2:USER_SGPR: 2
; COMPUTE_PGM_RSRC2:TRAP_HANDLER: 0
; COMPUTE_PGM_RSRC2:TGID_X_EN: 1
; COMPUTE_PGM_RSRC2:TGID_Y_EN: 0
; COMPUTE_PGM_RSRC2:TGID_Z_EN: 0
; COMPUTE_PGM_RSRC2:TIDIG_COMP_CNT: 0
	.section	.text._ZN7rocprim17ROCPRIM_400000_NS6detail17trampoline_kernelINS0_14default_configENS1_25transform_config_selectorIjLb0EEEZNS1_14transform_implILb0ES3_S5_N6thrust23THRUST_200600_302600_NS6detail15normal_iteratorINS8_10device_ptrIjEEEEPjNS0_8identityIjEEEE10hipError_tT2_T3_mT4_P12ihipStream_tbEUlT_E_NS1_11comp_targetILNS1_3genE10ELNS1_11target_archE1201ELNS1_3gpuE5ELNS1_3repE0EEENS1_30default_config_static_selectorELNS0_4arch9wavefront6targetE0EEEvT1_,"axG",@progbits,_ZN7rocprim17ROCPRIM_400000_NS6detail17trampoline_kernelINS0_14default_configENS1_25transform_config_selectorIjLb0EEEZNS1_14transform_implILb0ES3_S5_N6thrust23THRUST_200600_302600_NS6detail15normal_iteratorINS8_10device_ptrIjEEEEPjNS0_8identityIjEEEE10hipError_tT2_T3_mT4_P12ihipStream_tbEUlT_E_NS1_11comp_targetILNS1_3genE10ELNS1_11target_archE1201ELNS1_3gpuE5ELNS1_3repE0EEENS1_30default_config_static_selectorELNS0_4arch9wavefront6targetE0EEEvT1_,comdat
	.protected	_ZN7rocprim17ROCPRIM_400000_NS6detail17trampoline_kernelINS0_14default_configENS1_25transform_config_selectorIjLb0EEEZNS1_14transform_implILb0ES3_S5_N6thrust23THRUST_200600_302600_NS6detail15normal_iteratorINS8_10device_ptrIjEEEEPjNS0_8identityIjEEEE10hipError_tT2_T3_mT4_P12ihipStream_tbEUlT_E_NS1_11comp_targetILNS1_3genE10ELNS1_11target_archE1201ELNS1_3gpuE5ELNS1_3repE0EEENS1_30default_config_static_selectorELNS0_4arch9wavefront6targetE0EEEvT1_ ; -- Begin function _ZN7rocprim17ROCPRIM_400000_NS6detail17trampoline_kernelINS0_14default_configENS1_25transform_config_selectorIjLb0EEEZNS1_14transform_implILb0ES3_S5_N6thrust23THRUST_200600_302600_NS6detail15normal_iteratorINS8_10device_ptrIjEEEEPjNS0_8identityIjEEEE10hipError_tT2_T3_mT4_P12ihipStream_tbEUlT_E_NS1_11comp_targetILNS1_3genE10ELNS1_11target_archE1201ELNS1_3gpuE5ELNS1_3repE0EEENS1_30default_config_static_selectorELNS0_4arch9wavefront6targetE0EEEvT1_
	.globl	_ZN7rocprim17ROCPRIM_400000_NS6detail17trampoline_kernelINS0_14default_configENS1_25transform_config_selectorIjLb0EEEZNS1_14transform_implILb0ES3_S5_N6thrust23THRUST_200600_302600_NS6detail15normal_iteratorINS8_10device_ptrIjEEEEPjNS0_8identityIjEEEE10hipError_tT2_T3_mT4_P12ihipStream_tbEUlT_E_NS1_11comp_targetILNS1_3genE10ELNS1_11target_archE1201ELNS1_3gpuE5ELNS1_3repE0EEENS1_30default_config_static_selectorELNS0_4arch9wavefront6targetE0EEEvT1_
	.p2align	8
	.type	_ZN7rocprim17ROCPRIM_400000_NS6detail17trampoline_kernelINS0_14default_configENS1_25transform_config_selectorIjLb0EEEZNS1_14transform_implILb0ES3_S5_N6thrust23THRUST_200600_302600_NS6detail15normal_iteratorINS8_10device_ptrIjEEEEPjNS0_8identityIjEEEE10hipError_tT2_T3_mT4_P12ihipStream_tbEUlT_E_NS1_11comp_targetILNS1_3genE10ELNS1_11target_archE1201ELNS1_3gpuE5ELNS1_3repE0EEENS1_30default_config_static_selectorELNS0_4arch9wavefront6targetE0EEEvT1_,@function
_ZN7rocprim17ROCPRIM_400000_NS6detail17trampoline_kernelINS0_14default_configENS1_25transform_config_selectorIjLb0EEEZNS1_14transform_implILb0ES3_S5_N6thrust23THRUST_200600_302600_NS6detail15normal_iteratorINS8_10device_ptrIjEEEEPjNS0_8identityIjEEEE10hipError_tT2_T3_mT4_P12ihipStream_tbEUlT_E_NS1_11comp_targetILNS1_3genE10ELNS1_11target_archE1201ELNS1_3gpuE5ELNS1_3repE0EEENS1_30default_config_static_selectorELNS0_4arch9wavefront6targetE0EEEvT1_: ; @_ZN7rocprim17ROCPRIM_400000_NS6detail17trampoline_kernelINS0_14default_configENS1_25transform_config_selectorIjLb0EEEZNS1_14transform_implILb0ES3_S5_N6thrust23THRUST_200600_302600_NS6detail15normal_iteratorINS8_10device_ptrIjEEEEPjNS0_8identityIjEEEE10hipError_tT2_T3_mT4_P12ihipStream_tbEUlT_E_NS1_11comp_targetILNS1_3genE10ELNS1_11target_archE1201ELNS1_3gpuE5ELNS1_3repE0EEENS1_30default_config_static_selectorELNS0_4arch9wavefront6targetE0EEEvT1_
; %bb.0:
	.section	.rodata,"a",@progbits
	.p2align	6, 0x0
	.amdhsa_kernel _ZN7rocprim17ROCPRIM_400000_NS6detail17trampoline_kernelINS0_14default_configENS1_25transform_config_selectorIjLb0EEEZNS1_14transform_implILb0ES3_S5_N6thrust23THRUST_200600_302600_NS6detail15normal_iteratorINS8_10device_ptrIjEEEEPjNS0_8identityIjEEEE10hipError_tT2_T3_mT4_P12ihipStream_tbEUlT_E_NS1_11comp_targetILNS1_3genE10ELNS1_11target_archE1201ELNS1_3gpuE5ELNS1_3repE0EEENS1_30default_config_static_selectorELNS0_4arch9wavefront6targetE0EEEvT1_
		.amdhsa_group_segment_fixed_size 0
		.amdhsa_private_segment_fixed_size 0
		.amdhsa_kernarg_size 40
		.amdhsa_user_sgpr_count 2
		.amdhsa_user_sgpr_dispatch_ptr 0
		.amdhsa_user_sgpr_queue_ptr 0
		.amdhsa_user_sgpr_kernarg_segment_ptr 1
		.amdhsa_user_sgpr_dispatch_id 0
		.amdhsa_user_sgpr_kernarg_preload_length 0
		.amdhsa_user_sgpr_kernarg_preload_offset 0
		.amdhsa_user_sgpr_private_segment_size 0
		.amdhsa_wavefront_size32 1
		.amdhsa_uses_dynamic_stack 0
		.amdhsa_enable_private_segment 0
		.amdhsa_system_sgpr_workgroup_id_x 1
		.amdhsa_system_sgpr_workgroup_id_y 0
		.amdhsa_system_sgpr_workgroup_id_z 0
		.amdhsa_system_sgpr_workgroup_info 0
		.amdhsa_system_vgpr_workitem_id 0
		.amdhsa_next_free_vgpr 1
		.amdhsa_next_free_sgpr 1
		.amdhsa_named_barrier_count 0
		.amdhsa_reserve_vcc 0
		.amdhsa_float_round_mode_32 0
		.amdhsa_float_round_mode_16_64 0
		.amdhsa_float_denorm_mode_32 3
		.amdhsa_float_denorm_mode_16_64 3
		.amdhsa_fp16_overflow 0
		.amdhsa_memory_ordered 1
		.amdhsa_forward_progress 1
		.amdhsa_inst_pref_size 0
		.amdhsa_round_robin_scheduling 0
		.amdhsa_exception_fp_ieee_invalid_op 0
		.amdhsa_exception_fp_denorm_src 0
		.amdhsa_exception_fp_ieee_div_zero 0
		.amdhsa_exception_fp_ieee_overflow 0
		.amdhsa_exception_fp_ieee_underflow 0
		.amdhsa_exception_fp_ieee_inexact 0
		.amdhsa_exception_int_div_zero 0
	.end_amdhsa_kernel
	.section	.text._ZN7rocprim17ROCPRIM_400000_NS6detail17trampoline_kernelINS0_14default_configENS1_25transform_config_selectorIjLb0EEEZNS1_14transform_implILb0ES3_S5_N6thrust23THRUST_200600_302600_NS6detail15normal_iteratorINS8_10device_ptrIjEEEEPjNS0_8identityIjEEEE10hipError_tT2_T3_mT4_P12ihipStream_tbEUlT_E_NS1_11comp_targetILNS1_3genE10ELNS1_11target_archE1201ELNS1_3gpuE5ELNS1_3repE0EEENS1_30default_config_static_selectorELNS0_4arch9wavefront6targetE0EEEvT1_,"axG",@progbits,_ZN7rocprim17ROCPRIM_400000_NS6detail17trampoline_kernelINS0_14default_configENS1_25transform_config_selectorIjLb0EEEZNS1_14transform_implILb0ES3_S5_N6thrust23THRUST_200600_302600_NS6detail15normal_iteratorINS8_10device_ptrIjEEEEPjNS0_8identityIjEEEE10hipError_tT2_T3_mT4_P12ihipStream_tbEUlT_E_NS1_11comp_targetILNS1_3genE10ELNS1_11target_archE1201ELNS1_3gpuE5ELNS1_3repE0EEENS1_30default_config_static_selectorELNS0_4arch9wavefront6targetE0EEEvT1_,comdat
.Lfunc_end162:
	.size	_ZN7rocprim17ROCPRIM_400000_NS6detail17trampoline_kernelINS0_14default_configENS1_25transform_config_selectorIjLb0EEEZNS1_14transform_implILb0ES3_S5_N6thrust23THRUST_200600_302600_NS6detail15normal_iteratorINS8_10device_ptrIjEEEEPjNS0_8identityIjEEEE10hipError_tT2_T3_mT4_P12ihipStream_tbEUlT_E_NS1_11comp_targetILNS1_3genE10ELNS1_11target_archE1201ELNS1_3gpuE5ELNS1_3repE0EEENS1_30default_config_static_selectorELNS0_4arch9wavefront6targetE0EEEvT1_, .Lfunc_end162-_ZN7rocprim17ROCPRIM_400000_NS6detail17trampoline_kernelINS0_14default_configENS1_25transform_config_selectorIjLb0EEEZNS1_14transform_implILb0ES3_S5_N6thrust23THRUST_200600_302600_NS6detail15normal_iteratorINS8_10device_ptrIjEEEEPjNS0_8identityIjEEEE10hipError_tT2_T3_mT4_P12ihipStream_tbEUlT_E_NS1_11comp_targetILNS1_3genE10ELNS1_11target_archE1201ELNS1_3gpuE5ELNS1_3repE0EEENS1_30default_config_static_selectorELNS0_4arch9wavefront6targetE0EEEvT1_
                                        ; -- End function
	.set _ZN7rocprim17ROCPRIM_400000_NS6detail17trampoline_kernelINS0_14default_configENS1_25transform_config_selectorIjLb0EEEZNS1_14transform_implILb0ES3_S5_N6thrust23THRUST_200600_302600_NS6detail15normal_iteratorINS8_10device_ptrIjEEEEPjNS0_8identityIjEEEE10hipError_tT2_T3_mT4_P12ihipStream_tbEUlT_E_NS1_11comp_targetILNS1_3genE10ELNS1_11target_archE1201ELNS1_3gpuE5ELNS1_3repE0EEENS1_30default_config_static_selectorELNS0_4arch9wavefront6targetE0EEEvT1_.num_vgpr, 0
	.set _ZN7rocprim17ROCPRIM_400000_NS6detail17trampoline_kernelINS0_14default_configENS1_25transform_config_selectorIjLb0EEEZNS1_14transform_implILb0ES3_S5_N6thrust23THRUST_200600_302600_NS6detail15normal_iteratorINS8_10device_ptrIjEEEEPjNS0_8identityIjEEEE10hipError_tT2_T3_mT4_P12ihipStream_tbEUlT_E_NS1_11comp_targetILNS1_3genE10ELNS1_11target_archE1201ELNS1_3gpuE5ELNS1_3repE0EEENS1_30default_config_static_selectorELNS0_4arch9wavefront6targetE0EEEvT1_.num_agpr, 0
	.set _ZN7rocprim17ROCPRIM_400000_NS6detail17trampoline_kernelINS0_14default_configENS1_25transform_config_selectorIjLb0EEEZNS1_14transform_implILb0ES3_S5_N6thrust23THRUST_200600_302600_NS6detail15normal_iteratorINS8_10device_ptrIjEEEEPjNS0_8identityIjEEEE10hipError_tT2_T3_mT4_P12ihipStream_tbEUlT_E_NS1_11comp_targetILNS1_3genE10ELNS1_11target_archE1201ELNS1_3gpuE5ELNS1_3repE0EEENS1_30default_config_static_selectorELNS0_4arch9wavefront6targetE0EEEvT1_.numbered_sgpr, 0
	.set _ZN7rocprim17ROCPRIM_400000_NS6detail17trampoline_kernelINS0_14default_configENS1_25transform_config_selectorIjLb0EEEZNS1_14transform_implILb0ES3_S5_N6thrust23THRUST_200600_302600_NS6detail15normal_iteratorINS8_10device_ptrIjEEEEPjNS0_8identityIjEEEE10hipError_tT2_T3_mT4_P12ihipStream_tbEUlT_E_NS1_11comp_targetILNS1_3genE10ELNS1_11target_archE1201ELNS1_3gpuE5ELNS1_3repE0EEENS1_30default_config_static_selectorELNS0_4arch9wavefront6targetE0EEEvT1_.num_named_barrier, 0
	.set _ZN7rocprim17ROCPRIM_400000_NS6detail17trampoline_kernelINS0_14default_configENS1_25transform_config_selectorIjLb0EEEZNS1_14transform_implILb0ES3_S5_N6thrust23THRUST_200600_302600_NS6detail15normal_iteratorINS8_10device_ptrIjEEEEPjNS0_8identityIjEEEE10hipError_tT2_T3_mT4_P12ihipStream_tbEUlT_E_NS1_11comp_targetILNS1_3genE10ELNS1_11target_archE1201ELNS1_3gpuE5ELNS1_3repE0EEENS1_30default_config_static_selectorELNS0_4arch9wavefront6targetE0EEEvT1_.private_seg_size, 0
	.set _ZN7rocprim17ROCPRIM_400000_NS6detail17trampoline_kernelINS0_14default_configENS1_25transform_config_selectorIjLb0EEEZNS1_14transform_implILb0ES3_S5_N6thrust23THRUST_200600_302600_NS6detail15normal_iteratorINS8_10device_ptrIjEEEEPjNS0_8identityIjEEEE10hipError_tT2_T3_mT4_P12ihipStream_tbEUlT_E_NS1_11comp_targetILNS1_3genE10ELNS1_11target_archE1201ELNS1_3gpuE5ELNS1_3repE0EEENS1_30default_config_static_selectorELNS0_4arch9wavefront6targetE0EEEvT1_.uses_vcc, 0
	.set _ZN7rocprim17ROCPRIM_400000_NS6detail17trampoline_kernelINS0_14default_configENS1_25transform_config_selectorIjLb0EEEZNS1_14transform_implILb0ES3_S5_N6thrust23THRUST_200600_302600_NS6detail15normal_iteratorINS8_10device_ptrIjEEEEPjNS0_8identityIjEEEE10hipError_tT2_T3_mT4_P12ihipStream_tbEUlT_E_NS1_11comp_targetILNS1_3genE10ELNS1_11target_archE1201ELNS1_3gpuE5ELNS1_3repE0EEENS1_30default_config_static_selectorELNS0_4arch9wavefront6targetE0EEEvT1_.uses_flat_scratch, 0
	.set _ZN7rocprim17ROCPRIM_400000_NS6detail17trampoline_kernelINS0_14default_configENS1_25transform_config_selectorIjLb0EEEZNS1_14transform_implILb0ES3_S5_N6thrust23THRUST_200600_302600_NS6detail15normal_iteratorINS8_10device_ptrIjEEEEPjNS0_8identityIjEEEE10hipError_tT2_T3_mT4_P12ihipStream_tbEUlT_E_NS1_11comp_targetILNS1_3genE10ELNS1_11target_archE1201ELNS1_3gpuE5ELNS1_3repE0EEENS1_30default_config_static_selectorELNS0_4arch9wavefront6targetE0EEEvT1_.has_dyn_sized_stack, 0
	.set _ZN7rocprim17ROCPRIM_400000_NS6detail17trampoline_kernelINS0_14default_configENS1_25transform_config_selectorIjLb0EEEZNS1_14transform_implILb0ES3_S5_N6thrust23THRUST_200600_302600_NS6detail15normal_iteratorINS8_10device_ptrIjEEEEPjNS0_8identityIjEEEE10hipError_tT2_T3_mT4_P12ihipStream_tbEUlT_E_NS1_11comp_targetILNS1_3genE10ELNS1_11target_archE1201ELNS1_3gpuE5ELNS1_3repE0EEENS1_30default_config_static_selectorELNS0_4arch9wavefront6targetE0EEEvT1_.has_recursion, 0
	.set _ZN7rocprim17ROCPRIM_400000_NS6detail17trampoline_kernelINS0_14default_configENS1_25transform_config_selectorIjLb0EEEZNS1_14transform_implILb0ES3_S5_N6thrust23THRUST_200600_302600_NS6detail15normal_iteratorINS8_10device_ptrIjEEEEPjNS0_8identityIjEEEE10hipError_tT2_T3_mT4_P12ihipStream_tbEUlT_E_NS1_11comp_targetILNS1_3genE10ELNS1_11target_archE1201ELNS1_3gpuE5ELNS1_3repE0EEENS1_30default_config_static_selectorELNS0_4arch9wavefront6targetE0EEEvT1_.has_indirect_call, 0
	.section	.AMDGPU.csdata,"",@progbits
; Kernel info:
; codeLenInByte = 0
; TotalNumSgprs: 0
; NumVgprs: 0
; ScratchSize: 0
; MemoryBound: 0
; FloatMode: 240
; IeeeMode: 1
; LDSByteSize: 0 bytes/workgroup (compile time only)
; SGPRBlocks: 0
; VGPRBlocks: 0
; NumSGPRsForWavesPerEU: 1
; NumVGPRsForWavesPerEU: 1
; NamedBarCnt: 0
; Occupancy: 16
; WaveLimiterHint : 0
; COMPUTE_PGM_RSRC2:SCRATCH_EN: 0
; COMPUTE_PGM_RSRC2:USER_SGPR: 2
; COMPUTE_PGM_RSRC2:TRAP_HANDLER: 0
; COMPUTE_PGM_RSRC2:TGID_X_EN: 1
; COMPUTE_PGM_RSRC2:TGID_Y_EN: 0
; COMPUTE_PGM_RSRC2:TGID_Z_EN: 0
; COMPUTE_PGM_RSRC2:TIDIG_COMP_CNT: 0
	.section	.text._ZN7rocprim17ROCPRIM_400000_NS6detail17trampoline_kernelINS0_14default_configENS1_25transform_config_selectorIjLb0EEEZNS1_14transform_implILb0ES3_S5_N6thrust23THRUST_200600_302600_NS6detail15normal_iteratorINS8_10device_ptrIjEEEEPjNS0_8identityIjEEEE10hipError_tT2_T3_mT4_P12ihipStream_tbEUlT_E_NS1_11comp_targetILNS1_3genE10ELNS1_11target_archE1200ELNS1_3gpuE4ELNS1_3repE0EEENS1_30default_config_static_selectorELNS0_4arch9wavefront6targetE0EEEvT1_,"axG",@progbits,_ZN7rocprim17ROCPRIM_400000_NS6detail17trampoline_kernelINS0_14default_configENS1_25transform_config_selectorIjLb0EEEZNS1_14transform_implILb0ES3_S5_N6thrust23THRUST_200600_302600_NS6detail15normal_iteratorINS8_10device_ptrIjEEEEPjNS0_8identityIjEEEE10hipError_tT2_T3_mT4_P12ihipStream_tbEUlT_E_NS1_11comp_targetILNS1_3genE10ELNS1_11target_archE1200ELNS1_3gpuE4ELNS1_3repE0EEENS1_30default_config_static_selectorELNS0_4arch9wavefront6targetE0EEEvT1_,comdat
	.protected	_ZN7rocprim17ROCPRIM_400000_NS6detail17trampoline_kernelINS0_14default_configENS1_25transform_config_selectorIjLb0EEEZNS1_14transform_implILb0ES3_S5_N6thrust23THRUST_200600_302600_NS6detail15normal_iteratorINS8_10device_ptrIjEEEEPjNS0_8identityIjEEEE10hipError_tT2_T3_mT4_P12ihipStream_tbEUlT_E_NS1_11comp_targetILNS1_3genE10ELNS1_11target_archE1200ELNS1_3gpuE4ELNS1_3repE0EEENS1_30default_config_static_selectorELNS0_4arch9wavefront6targetE0EEEvT1_ ; -- Begin function _ZN7rocprim17ROCPRIM_400000_NS6detail17trampoline_kernelINS0_14default_configENS1_25transform_config_selectorIjLb0EEEZNS1_14transform_implILb0ES3_S5_N6thrust23THRUST_200600_302600_NS6detail15normal_iteratorINS8_10device_ptrIjEEEEPjNS0_8identityIjEEEE10hipError_tT2_T3_mT4_P12ihipStream_tbEUlT_E_NS1_11comp_targetILNS1_3genE10ELNS1_11target_archE1200ELNS1_3gpuE4ELNS1_3repE0EEENS1_30default_config_static_selectorELNS0_4arch9wavefront6targetE0EEEvT1_
	.globl	_ZN7rocprim17ROCPRIM_400000_NS6detail17trampoline_kernelINS0_14default_configENS1_25transform_config_selectorIjLb0EEEZNS1_14transform_implILb0ES3_S5_N6thrust23THRUST_200600_302600_NS6detail15normal_iteratorINS8_10device_ptrIjEEEEPjNS0_8identityIjEEEE10hipError_tT2_T3_mT4_P12ihipStream_tbEUlT_E_NS1_11comp_targetILNS1_3genE10ELNS1_11target_archE1200ELNS1_3gpuE4ELNS1_3repE0EEENS1_30default_config_static_selectorELNS0_4arch9wavefront6targetE0EEEvT1_
	.p2align	8
	.type	_ZN7rocprim17ROCPRIM_400000_NS6detail17trampoline_kernelINS0_14default_configENS1_25transform_config_selectorIjLb0EEEZNS1_14transform_implILb0ES3_S5_N6thrust23THRUST_200600_302600_NS6detail15normal_iteratorINS8_10device_ptrIjEEEEPjNS0_8identityIjEEEE10hipError_tT2_T3_mT4_P12ihipStream_tbEUlT_E_NS1_11comp_targetILNS1_3genE10ELNS1_11target_archE1200ELNS1_3gpuE4ELNS1_3repE0EEENS1_30default_config_static_selectorELNS0_4arch9wavefront6targetE0EEEvT1_,@function
_ZN7rocprim17ROCPRIM_400000_NS6detail17trampoline_kernelINS0_14default_configENS1_25transform_config_selectorIjLb0EEEZNS1_14transform_implILb0ES3_S5_N6thrust23THRUST_200600_302600_NS6detail15normal_iteratorINS8_10device_ptrIjEEEEPjNS0_8identityIjEEEE10hipError_tT2_T3_mT4_P12ihipStream_tbEUlT_E_NS1_11comp_targetILNS1_3genE10ELNS1_11target_archE1200ELNS1_3gpuE4ELNS1_3repE0EEENS1_30default_config_static_selectorELNS0_4arch9wavefront6targetE0EEEvT1_: ; @_ZN7rocprim17ROCPRIM_400000_NS6detail17trampoline_kernelINS0_14default_configENS1_25transform_config_selectorIjLb0EEEZNS1_14transform_implILb0ES3_S5_N6thrust23THRUST_200600_302600_NS6detail15normal_iteratorINS8_10device_ptrIjEEEEPjNS0_8identityIjEEEE10hipError_tT2_T3_mT4_P12ihipStream_tbEUlT_E_NS1_11comp_targetILNS1_3genE10ELNS1_11target_archE1200ELNS1_3gpuE4ELNS1_3repE0EEENS1_30default_config_static_selectorELNS0_4arch9wavefront6targetE0EEEvT1_
; %bb.0:
	.section	.rodata,"a",@progbits
	.p2align	6, 0x0
	.amdhsa_kernel _ZN7rocprim17ROCPRIM_400000_NS6detail17trampoline_kernelINS0_14default_configENS1_25transform_config_selectorIjLb0EEEZNS1_14transform_implILb0ES3_S5_N6thrust23THRUST_200600_302600_NS6detail15normal_iteratorINS8_10device_ptrIjEEEEPjNS0_8identityIjEEEE10hipError_tT2_T3_mT4_P12ihipStream_tbEUlT_E_NS1_11comp_targetILNS1_3genE10ELNS1_11target_archE1200ELNS1_3gpuE4ELNS1_3repE0EEENS1_30default_config_static_selectorELNS0_4arch9wavefront6targetE0EEEvT1_
		.amdhsa_group_segment_fixed_size 0
		.amdhsa_private_segment_fixed_size 0
		.amdhsa_kernarg_size 40
		.amdhsa_user_sgpr_count 2
		.amdhsa_user_sgpr_dispatch_ptr 0
		.amdhsa_user_sgpr_queue_ptr 0
		.amdhsa_user_sgpr_kernarg_segment_ptr 1
		.amdhsa_user_sgpr_dispatch_id 0
		.amdhsa_user_sgpr_kernarg_preload_length 0
		.amdhsa_user_sgpr_kernarg_preload_offset 0
		.amdhsa_user_sgpr_private_segment_size 0
		.amdhsa_wavefront_size32 1
		.amdhsa_uses_dynamic_stack 0
		.amdhsa_enable_private_segment 0
		.amdhsa_system_sgpr_workgroup_id_x 1
		.amdhsa_system_sgpr_workgroup_id_y 0
		.amdhsa_system_sgpr_workgroup_id_z 0
		.amdhsa_system_sgpr_workgroup_info 0
		.amdhsa_system_vgpr_workitem_id 0
		.amdhsa_next_free_vgpr 1
		.amdhsa_next_free_sgpr 1
		.amdhsa_named_barrier_count 0
		.amdhsa_reserve_vcc 0
		.amdhsa_float_round_mode_32 0
		.amdhsa_float_round_mode_16_64 0
		.amdhsa_float_denorm_mode_32 3
		.amdhsa_float_denorm_mode_16_64 3
		.amdhsa_fp16_overflow 0
		.amdhsa_memory_ordered 1
		.amdhsa_forward_progress 1
		.amdhsa_inst_pref_size 0
		.amdhsa_round_robin_scheduling 0
		.amdhsa_exception_fp_ieee_invalid_op 0
		.amdhsa_exception_fp_denorm_src 0
		.amdhsa_exception_fp_ieee_div_zero 0
		.amdhsa_exception_fp_ieee_overflow 0
		.amdhsa_exception_fp_ieee_underflow 0
		.amdhsa_exception_fp_ieee_inexact 0
		.amdhsa_exception_int_div_zero 0
	.end_amdhsa_kernel
	.section	.text._ZN7rocprim17ROCPRIM_400000_NS6detail17trampoline_kernelINS0_14default_configENS1_25transform_config_selectorIjLb0EEEZNS1_14transform_implILb0ES3_S5_N6thrust23THRUST_200600_302600_NS6detail15normal_iteratorINS8_10device_ptrIjEEEEPjNS0_8identityIjEEEE10hipError_tT2_T3_mT4_P12ihipStream_tbEUlT_E_NS1_11comp_targetILNS1_3genE10ELNS1_11target_archE1200ELNS1_3gpuE4ELNS1_3repE0EEENS1_30default_config_static_selectorELNS0_4arch9wavefront6targetE0EEEvT1_,"axG",@progbits,_ZN7rocprim17ROCPRIM_400000_NS6detail17trampoline_kernelINS0_14default_configENS1_25transform_config_selectorIjLb0EEEZNS1_14transform_implILb0ES3_S5_N6thrust23THRUST_200600_302600_NS6detail15normal_iteratorINS8_10device_ptrIjEEEEPjNS0_8identityIjEEEE10hipError_tT2_T3_mT4_P12ihipStream_tbEUlT_E_NS1_11comp_targetILNS1_3genE10ELNS1_11target_archE1200ELNS1_3gpuE4ELNS1_3repE0EEENS1_30default_config_static_selectorELNS0_4arch9wavefront6targetE0EEEvT1_,comdat
.Lfunc_end163:
	.size	_ZN7rocprim17ROCPRIM_400000_NS6detail17trampoline_kernelINS0_14default_configENS1_25transform_config_selectorIjLb0EEEZNS1_14transform_implILb0ES3_S5_N6thrust23THRUST_200600_302600_NS6detail15normal_iteratorINS8_10device_ptrIjEEEEPjNS0_8identityIjEEEE10hipError_tT2_T3_mT4_P12ihipStream_tbEUlT_E_NS1_11comp_targetILNS1_3genE10ELNS1_11target_archE1200ELNS1_3gpuE4ELNS1_3repE0EEENS1_30default_config_static_selectorELNS0_4arch9wavefront6targetE0EEEvT1_, .Lfunc_end163-_ZN7rocprim17ROCPRIM_400000_NS6detail17trampoline_kernelINS0_14default_configENS1_25transform_config_selectorIjLb0EEEZNS1_14transform_implILb0ES3_S5_N6thrust23THRUST_200600_302600_NS6detail15normal_iteratorINS8_10device_ptrIjEEEEPjNS0_8identityIjEEEE10hipError_tT2_T3_mT4_P12ihipStream_tbEUlT_E_NS1_11comp_targetILNS1_3genE10ELNS1_11target_archE1200ELNS1_3gpuE4ELNS1_3repE0EEENS1_30default_config_static_selectorELNS0_4arch9wavefront6targetE0EEEvT1_
                                        ; -- End function
	.set _ZN7rocprim17ROCPRIM_400000_NS6detail17trampoline_kernelINS0_14default_configENS1_25transform_config_selectorIjLb0EEEZNS1_14transform_implILb0ES3_S5_N6thrust23THRUST_200600_302600_NS6detail15normal_iteratorINS8_10device_ptrIjEEEEPjNS0_8identityIjEEEE10hipError_tT2_T3_mT4_P12ihipStream_tbEUlT_E_NS1_11comp_targetILNS1_3genE10ELNS1_11target_archE1200ELNS1_3gpuE4ELNS1_3repE0EEENS1_30default_config_static_selectorELNS0_4arch9wavefront6targetE0EEEvT1_.num_vgpr, 0
	.set _ZN7rocprim17ROCPRIM_400000_NS6detail17trampoline_kernelINS0_14default_configENS1_25transform_config_selectorIjLb0EEEZNS1_14transform_implILb0ES3_S5_N6thrust23THRUST_200600_302600_NS6detail15normal_iteratorINS8_10device_ptrIjEEEEPjNS0_8identityIjEEEE10hipError_tT2_T3_mT4_P12ihipStream_tbEUlT_E_NS1_11comp_targetILNS1_3genE10ELNS1_11target_archE1200ELNS1_3gpuE4ELNS1_3repE0EEENS1_30default_config_static_selectorELNS0_4arch9wavefront6targetE0EEEvT1_.num_agpr, 0
	.set _ZN7rocprim17ROCPRIM_400000_NS6detail17trampoline_kernelINS0_14default_configENS1_25transform_config_selectorIjLb0EEEZNS1_14transform_implILb0ES3_S5_N6thrust23THRUST_200600_302600_NS6detail15normal_iteratorINS8_10device_ptrIjEEEEPjNS0_8identityIjEEEE10hipError_tT2_T3_mT4_P12ihipStream_tbEUlT_E_NS1_11comp_targetILNS1_3genE10ELNS1_11target_archE1200ELNS1_3gpuE4ELNS1_3repE0EEENS1_30default_config_static_selectorELNS0_4arch9wavefront6targetE0EEEvT1_.numbered_sgpr, 0
	.set _ZN7rocprim17ROCPRIM_400000_NS6detail17trampoline_kernelINS0_14default_configENS1_25transform_config_selectorIjLb0EEEZNS1_14transform_implILb0ES3_S5_N6thrust23THRUST_200600_302600_NS6detail15normal_iteratorINS8_10device_ptrIjEEEEPjNS0_8identityIjEEEE10hipError_tT2_T3_mT4_P12ihipStream_tbEUlT_E_NS1_11comp_targetILNS1_3genE10ELNS1_11target_archE1200ELNS1_3gpuE4ELNS1_3repE0EEENS1_30default_config_static_selectorELNS0_4arch9wavefront6targetE0EEEvT1_.num_named_barrier, 0
	.set _ZN7rocprim17ROCPRIM_400000_NS6detail17trampoline_kernelINS0_14default_configENS1_25transform_config_selectorIjLb0EEEZNS1_14transform_implILb0ES3_S5_N6thrust23THRUST_200600_302600_NS6detail15normal_iteratorINS8_10device_ptrIjEEEEPjNS0_8identityIjEEEE10hipError_tT2_T3_mT4_P12ihipStream_tbEUlT_E_NS1_11comp_targetILNS1_3genE10ELNS1_11target_archE1200ELNS1_3gpuE4ELNS1_3repE0EEENS1_30default_config_static_selectorELNS0_4arch9wavefront6targetE0EEEvT1_.private_seg_size, 0
	.set _ZN7rocprim17ROCPRIM_400000_NS6detail17trampoline_kernelINS0_14default_configENS1_25transform_config_selectorIjLb0EEEZNS1_14transform_implILb0ES3_S5_N6thrust23THRUST_200600_302600_NS6detail15normal_iteratorINS8_10device_ptrIjEEEEPjNS0_8identityIjEEEE10hipError_tT2_T3_mT4_P12ihipStream_tbEUlT_E_NS1_11comp_targetILNS1_3genE10ELNS1_11target_archE1200ELNS1_3gpuE4ELNS1_3repE0EEENS1_30default_config_static_selectorELNS0_4arch9wavefront6targetE0EEEvT1_.uses_vcc, 0
	.set _ZN7rocprim17ROCPRIM_400000_NS6detail17trampoline_kernelINS0_14default_configENS1_25transform_config_selectorIjLb0EEEZNS1_14transform_implILb0ES3_S5_N6thrust23THRUST_200600_302600_NS6detail15normal_iteratorINS8_10device_ptrIjEEEEPjNS0_8identityIjEEEE10hipError_tT2_T3_mT4_P12ihipStream_tbEUlT_E_NS1_11comp_targetILNS1_3genE10ELNS1_11target_archE1200ELNS1_3gpuE4ELNS1_3repE0EEENS1_30default_config_static_selectorELNS0_4arch9wavefront6targetE0EEEvT1_.uses_flat_scratch, 0
	.set _ZN7rocprim17ROCPRIM_400000_NS6detail17trampoline_kernelINS0_14default_configENS1_25transform_config_selectorIjLb0EEEZNS1_14transform_implILb0ES3_S5_N6thrust23THRUST_200600_302600_NS6detail15normal_iteratorINS8_10device_ptrIjEEEEPjNS0_8identityIjEEEE10hipError_tT2_T3_mT4_P12ihipStream_tbEUlT_E_NS1_11comp_targetILNS1_3genE10ELNS1_11target_archE1200ELNS1_3gpuE4ELNS1_3repE0EEENS1_30default_config_static_selectorELNS0_4arch9wavefront6targetE0EEEvT1_.has_dyn_sized_stack, 0
	.set _ZN7rocprim17ROCPRIM_400000_NS6detail17trampoline_kernelINS0_14default_configENS1_25transform_config_selectorIjLb0EEEZNS1_14transform_implILb0ES3_S5_N6thrust23THRUST_200600_302600_NS6detail15normal_iteratorINS8_10device_ptrIjEEEEPjNS0_8identityIjEEEE10hipError_tT2_T3_mT4_P12ihipStream_tbEUlT_E_NS1_11comp_targetILNS1_3genE10ELNS1_11target_archE1200ELNS1_3gpuE4ELNS1_3repE0EEENS1_30default_config_static_selectorELNS0_4arch9wavefront6targetE0EEEvT1_.has_recursion, 0
	.set _ZN7rocprim17ROCPRIM_400000_NS6detail17trampoline_kernelINS0_14default_configENS1_25transform_config_selectorIjLb0EEEZNS1_14transform_implILb0ES3_S5_N6thrust23THRUST_200600_302600_NS6detail15normal_iteratorINS8_10device_ptrIjEEEEPjNS0_8identityIjEEEE10hipError_tT2_T3_mT4_P12ihipStream_tbEUlT_E_NS1_11comp_targetILNS1_3genE10ELNS1_11target_archE1200ELNS1_3gpuE4ELNS1_3repE0EEENS1_30default_config_static_selectorELNS0_4arch9wavefront6targetE0EEEvT1_.has_indirect_call, 0
	.section	.AMDGPU.csdata,"",@progbits
; Kernel info:
; codeLenInByte = 0
; TotalNumSgprs: 0
; NumVgprs: 0
; ScratchSize: 0
; MemoryBound: 0
; FloatMode: 240
; IeeeMode: 1
; LDSByteSize: 0 bytes/workgroup (compile time only)
; SGPRBlocks: 0
; VGPRBlocks: 0
; NumSGPRsForWavesPerEU: 1
; NumVGPRsForWavesPerEU: 1
; NamedBarCnt: 0
; Occupancy: 16
; WaveLimiterHint : 0
; COMPUTE_PGM_RSRC2:SCRATCH_EN: 0
; COMPUTE_PGM_RSRC2:USER_SGPR: 2
; COMPUTE_PGM_RSRC2:TRAP_HANDLER: 0
; COMPUTE_PGM_RSRC2:TGID_X_EN: 1
; COMPUTE_PGM_RSRC2:TGID_Y_EN: 0
; COMPUTE_PGM_RSRC2:TGID_Z_EN: 0
; COMPUTE_PGM_RSRC2:TIDIG_COMP_CNT: 0
	.section	.text._ZN7rocprim17ROCPRIM_400000_NS6detail17trampoline_kernelINS0_14default_configENS1_25transform_config_selectorIjLb0EEEZNS1_14transform_implILb0ES3_S5_N6thrust23THRUST_200600_302600_NS6detail15normal_iteratorINS8_10device_ptrIjEEEEPjNS0_8identityIjEEEE10hipError_tT2_T3_mT4_P12ihipStream_tbEUlT_E_NS1_11comp_targetILNS1_3genE9ELNS1_11target_archE1100ELNS1_3gpuE3ELNS1_3repE0EEENS1_30default_config_static_selectorELNS0_4arch9wavefront6targetE0EEEvT1_,"axG",@progbits,_ZN7rocprim17ROCPRIM_400000_NS6detail17trampoline_kernelINS0_14default_configENS1_25transform_config_selectorIjLb0EEEZNS1_14transform_implILb0ES3_S5_N6thrust23THRUST_200600_302600_NS6detail15normal_iteratorINS8_10device_ptrIjEEEEPjNS0_8identityIjEEEE10hipError_tT2_T3_mT4_P12ihipStream_tbEUlT_E_NS1_11comp_targetILNS1_3genE9ELNS1_11target_archE1100ELNS1_3gpuE3ELNS1_3repE0EEENS1_30default_config_static_selectorELNS0_4arch9wavefront6targetE0EEEvT1_,comdat
	.protected	_ZN7rocprim17ROCPRIM_400000_NS6detail17trampoline_kernelINS0_14default_configENS1_25transform_config_selectorIjLb0EEEZNS1_14transform_implILb0ES3_S5_N6thrust23THRUST_200600_302600_NS6detail15normal_iteratorINS8_10device_ptrIjEEEEPjNS0_8identityIjEEEE10hipError_tT2_T3_mT4_P12ihipStream_tbEUlT_E_NS1_11comp_targetILNS1_3genE9ELNS1_11target_archE1100ELNS1_3gpuE3ELNS1_3repE0EEENS1_30default_config_static_selectorELNS0_4arch9wavefront6targetE0EEEvT1_ ; -- Begin function _ZN7rocprim17ROCPRIM_400000_NS6detail17trampoline_kernelINS0_14default_configENS1_25transform_config_selectorIjLb0EEEZNS1_14transform_implILb0ES3_S5_N6thrust23THRUST_200600_302600_NS6detail15normal_iteratorINS8_10device_ptrIjEEEEPjNS0_8identityIjEEEE10hipError_tT2_T3_mT4_P12ihipStream_tbEUlT_E_NS1_11comp_targetILNS1_3genE9ELNS1_11target_archE1100ELNS1_3gpuE3ELNS1_3repE0EEENS1_30default_config_static_selectorELNS0_4arch9wavefront6targetE0EEEvT1_
	.globl	_ZN7rocprim17ROCPRIM_400000_NS6detail17trampoline_kernelINS0_14default_configENS1_25transform_config_selectorIjLb0EEEZNS1_14transform_implILb0ES3_S5_N6thrust23THRUST_200600_302600_NS6detail15normal_iteratorINS8_10device_ptrIjEEEEPjNS0_8identityIjEEEE10hipError_tT2_T3_mT4_P12ihipStream_tbEUlT_E_NS1_11comp_targetILNS1_3genE9ELNS1_11target_archE1100ELNS1_3gpuE3ELNS1_3repE0EEENS1_30default_config_static_selectorELNS0_4arch9wavefront6targetE0EEEvT1_
	.p2align	8
	.type	_ZN7rocprim17ROCPRIM_400000_NS6detail17trampoline_kernelINS0_14default_configENS1_25transform_config_selectorIjLb0EEEZNS1_14transform_implILb0ES3_S5_N6thrust23THRUST_200600_302600_NS6detail15normal_iteratorINS8_10device_ptrIjEEEEPjNS0_8identityIjEEEE10hipError_tT2_T3_mT4_P12ihipStream_tbEUlT_E_NS1_11comp_targetILNS1_3genE9ELNS1_11target_archE1100ELNS1_3gpuE3ELNS1_3repE0EEENS1_30default_config_static_selectorELNS0_4arch9wavefront6targetE0EEEvT1_,@function
_ZN7rocprim17ROCPRIM_400000_NS6detail17trampoline_kernelINS0_14default_configENS1_25transform_config_selectorIjLb0EEEZNS1_14transform_implILb0ES3_S5_N6thrust23THRUST_200600_302600_NS6detail15normal_iteratorINS8_10device_ptrIjEEEEPjNS0_8identityIjEEEE10hipError_tT2_T3_mT4_P12ihipStream_tbEUlT_E_NS1_11comp_targetILNS1_3genE9ELNS1_11target_archE1100ELNS1_3gpuE3ELNS1_3repE0EEENS1_30default_config_static_selectorELNS0_4arch9wavefront6targetE0EEEvT1_: ; @_ZN7rocprim17ROCPRIM_400000_NS6detail17trampoline_kernelINS0_14default_configENS1_25transform_config_selectorIjLb0EEEZNS1_14transform_implILb0ES3_S5_N6thrust23THRUST_200600_302600_NS6detail15normal_iteratorINS8_10device_ptrIjEEEEPjNS0_8identityIjEEEE10hipError_tT2_T3_mT4_P12ihipStream_tbEUlT_E_NS1_11comp_targetILNS1_3genE9ELNS1_11target_archE1100ELNS1_3gpuE3ELNS1_3repE0EEENS1_30default_config_static_selectorELNS0_4arch9wavefront6targetE0EEEvT1_
; %bb.0:
	.section	.rodata,"a",@progbits
	.p2align	6, 0x0
	.amdhsa_kernel _ZN7rocprim17ROCPRIM_400000_NS6detail17trampoline_kernelINS0_14default_configENS1_25transform_config_selectorIjLb0EEEZNS1_14transform_implILb0ES3_S5_N6thrust23THRUST_200600_302600_NS6detail15normal_iteratorINS8_10device_ptrIjEEEEPjNS0_8identityIjEEEE10hipError_tT2_T3_mT4_P12ihipStream_tbEUlT_E_NS1_11comp_targetILNS1_3genE9ELNS1_11target_archE1100ELNS1_3gpuE3ELNS1_3repE0EEENS1_30default_config_static_selectorELNS0_4arch9wavefront6targetE0EEEvT1_
		.amdhsa_group_segment_fixed_size 0
		.amdhsa_private_segment_fixed_size 0
		.amdhsa_kernarg_size 40
		.amdhsa_user_sgpr_count 2
		.amdhsa_user_sgpr_dispatch_ptr 0
		.amdhsa_user_sgpr_queue_ptr 0
		.amdhsa_user_sgpr_kernarg_segment_ptr 1
		.amdhsa_user_sgpr_dispatch_id 0
		.amdhsa_user_sgpr_kernarg_preload_length 0
		.amdhsa_user_sgpr_kernarg_preload_offset 0
		.amdhsa_user_sgpr_private_segment_size 0
		.amdhsa_wavefront_size32 1
		.amdhsa_uses_dynamic_stack 0
		.amdhsa_enable_private_segment 0
		.amdhsa_system_sgpr_workgroup_id_x 1
		.amdhsa_system_sgpr_workgroup_id_y 0
		.amdhsa_system_sgpr_workgroup_id_z 0
		.amdhsa_system_sgpr_workgroup_info 0
		.amdhsa_system_vgpr_workitem_id 0
		.amdhsa_next_free_vgpr 1
		.amdhsa_next_free_sgpr 1
		.amdhsa_named_barrier_count 0
		.amdhsa_reserve_vcc 0
		.amdhsa_float_round_mode_32 0
		.amdhsa_float_round_mode_16_64 0
		.amdhsa_float_denorm_mode_32 3
		.amdhsa_float_denorm_mode_16_64 3
		.amdhsa_fp16_overflow 0
		.amdhsa_memory_ordered 1
		.amdhsa_forward_progress 1
		.amdhsa_inst_pref_size 0
		.amdhsa_round_robin_scheduling 0
		.amdhsa_exception_fp_ieee_invalid_op 0
		.amdhsa_exception_fp_denorm_src 0
		.amdhsa_exception_fp_ieee_div_zero 0
		.amdhsa_exception_fp_ieee_overflow 0
		.amdhsa_exception_fp_ieee_underflow 0
		.amdhsa_exception_fp_ieee_inexact 0
		.amdhsa_exception_int_div_zero 0
	.end_amdhsa_kernel
	.section	.text._ZN7rocprim17ROCPRIM_400000_NS6detail17trampoline_kernelINS0_14default_configENS1_25transform_config_selectorIjLb0EEEZNS1_14transform_implILb0ES3_S5_N6thrust23THRUST_200600_302600_NS6detail15normal_iteratorINS8_10device_ptrIjEEEEPjNS0_8identityIjEEEE10hipError_tT2_T3_mT4_P12ihipStream_tbEUlT_E_NS1_11comp_targetILNS1_3genE9ELNS1_11target_archE1100ELNS1_3gpuE3ELNS1_3repE0EEENS1_30default_config_static_selectorELNS0_4arch9wavefront6targetE0EEEvT1_,"axG",@progbits,_ZN7rocprim17ROCPRIM_400000_NS6detail17trampoline_kernelINS0_14default_configENS1_25transform_config_selectorIjLb0EEEZNS1_14transform_implILb0ES3_S5_N6thrust23THRUST_200600_302600_NS6detail15normal_iteratorINS8_10device_ptrIjEEEEPjNS0_8identityIjEEEE10hipError_tT2_T3_mT4_P12ihipStream_tbEUlT_E_NS1_11comp_targetILNS1_3genE9ELNS1_11target_archE1100ELNS1_3gpuE3ELNS1_3repE0EEENS1_30default_config_static_selectorELNS0_4arch9wavefront6targetE0EEEvT1_,comdat
.Lfunc_end164:
	.size	_ZN7rocprim17ROCPRIM_400000_NS6detail17trampoline_kernelINS0_14default_configENS1_25transform_config_selectorIjLb0EEEZNS1_14transform_implILb0ES3_S5_N6thrust23THRUST_200600_302600_NS6detail15normal_iteratorINS8_10device_ptrIjEEEEPjNS0_8identityIjEEEE10hipError_tT2_T3_mT4_P12ihipStream_tbEUlT_E_NS1_11comp_targetILNS1_3genE9ELNS1_11target_archE1100ELNS1_3gpuE3ELNS1_3repE0EEENS1_30default_config_static_selectorELNS0_4arch9wavefront6targetE0EEEvT1_, .Lfunc_end164-_ZN7rocprim17ROCPRIM_400000_NS6detail17trampoline_kernelINS0_14default_configENS1_25transform_config_selectorIjLb0EEEZNS1_14transform_implILb0ES3_S5_N6thrust23THRUST_200600_302600_NS6detail15normal_iteratorINS8_10device_ptrIjEEEEPjNS0_8identityIjEEEE10hipError_tT2_T3_mT4_P12ihipStream_tbEUlT_E_NS1_11comp_targetILNS1_3genE9ELNS1_11target_archE1100ELNS1_3gpuE3ELNS1_3repE0EEENS1_30default_config_static_selectorELNS0_4arch9wavefront6targetE0EEEvT1_
                                        ; -- End function
	.set _ZN7rocprim17ROCPRIM_400000_NS6detail17trampoline_kernelINS0_14default_configENS1_25transform_config_selectorIjLb0EEEZNS1_14transform_implILb0ES3_S5_N6thrust23THRUST_200600_302600_NS6detail15normal_iteratorINS8_10device_ptrIjEEEEPjNS0_8identityIjEEEE10hipError_tT2_T3_mT4_P12ihipStream_tbEUlT_E_NS1_11comp_targetILNS1_3genE9ELNS1_11target_archE1100ELNS1_3gpuE3ELNS1_3repE0EEENS1_30default_config_static_selectorELNS0_4arch9wavefront6targetE0EEEvT1_.num_vgpr, 0
	.set _ZN7rocprim17ROCPRIM_400000_NS6detail17trampoline_kernelINS0_14default_configENS1_25transform_config_selectorIjLb0EEEZNS1_14transform_implILb0ES3_S5_N6thrust23THRUST_200600_302600_NS6detail15normal_iteratorINS8_10device_ptrIjEEEEPjNS0_8identityIjEEEE10hipError_tT2_T3_mT4_P12ihipStream_tbEUlT_E_NS1_11comp_targetILNS1_3genE9ELNS1_11target_archE1100ELNS1_3gpuE3ELNS1_3repE0EEENS1_30default_config_static_selectorELNS0_4arch9wavefront6targetE0EEEvT1_.num_agpr, 0
	.set _ZN7rocprim17ROCPRIM_400000_NS6detail17trampoline_kernelINS0_14default_configENS1_25transform_config_selectorIjLb0EEEZNS1_14transform_implILb0ES3_S5_N6thrust23THRUST_200600_302600_NS6detail15normal_iteratorINS8_10device_ptrIjEEEEPjNS0_8identityIjEEEE10hipError_tT2_T3_mT4_P12ihipStream_tbEUlT_E_NS1_11comp_targetILNS1_3genE9ELNS1_11target_archE1100ELNS1_3gpuE3ELNS1_3repE0EEENS1_30default_config_static_selectorELNS0_4arch9wavefront6targetE0EEEvT1_.numbered_sgpr, 0
	.set _ZN7rocprim17ROCPRIM_400000_NS6detail17trampoline_kernelINS0_14default_configENS1_25transform_config_selectorIjLb0EEEZNS1_14transform_implILb0ES3_S5_N6thrust23THRUST_200600_302600_NS6detail15normal_iteratorINS8_10device_ptrIjEEEEPjNS0_8identityIjEEEE10hipError_tT2_T3_mT4_P12ihipStream_tbEUlT_E_NS1_11comp_targetILNS1_3genE9ELNS1_11target_archE1100ELNS1_3gpuE3ELNS1_3repE0EEENS1_30default_config_static_selectorELNS0_4arch9wavefront6targetE0EEEvT1_.num_named_barrier, 0
	.set _ZN7rocprim17ROCPRIM_400000_NS6detail17trampoline_kernelINS0_14default_configENS1_25transform_config_selectorIjLb0EEEZNS1_14transform_implILb0ES3_S5_N6thrust23THRUST_200600_302600_NS6detail15normal_iteratorINS8_10device_ptrIjEEEEPjNS0_8identityIjEEEE10hipError_tT2_T3_mT4_P12ihipStream_tbEUlT_E_NS1_11comp_targetILNS1_3genE9ELNS1_11target_archE1100ELNS1_3gpuE3ELNS1_3repE0EEENS1_30default_config_static_selectorELNS0_4arch9wavefront6targetE0EEEvT1_.private_seg_size, 0
	.set _ZN7rocprim17ROCPRIM_400000_NS6detail17trampoline_kernelINS0_14default_configENS1_25transform_config_selectorIjLb0EEEZNS1_14transform_implILb0ES3_S5_N6thrust23THRUST_200600_302600_NS6detail15normal_iteratorINS8_10device_ptrIjEEEEPjNS0_8identityIjEEEE10hipError_tT2_T3_mT4_P12ihipStream_tbEUlT_E_NS1_11comp_targetILNS1_3genE9ELNS1_11target_archE1100ELNS1_3gpuE3ELNS1_3repE0EEENS1_30default_config_static_selectorELNS0_4arch9wavefront6targetE0EEEvT1_.uses_vcc, 0
	.set _ZN7rocprim17ROCPRIM_400000_NS6detail17trampoline_kernelINS0_14default_configENS1_25transform_config_selectorIjLb0EEEZNS1_14transform_implILb0ES3_S5_N6thrust23THRUST_200600_302600_NS6detail15normal_iteratorINS8_10device_ptrIjEEEEPjNS0_8identityIjEEEE10hipError_tT2_T3_mT4_P12ihipStream_tbEUlT_E_NS1_11comp_targetILNS1_3genE9ELNS1_11target_archE1100ELNS1_3gpuE3ELNS1_3repE0EEENS1_30default_config_static_selectorELNS0_4arch9wavefront6targetE0EEEvT1_.uses_flat_scratch, 0
	.set _ZN7rocprim17ROCPRIM_400000_NS6detail17trampoline_kernelINS0_14default_configENS1_25transform_config_selectorIjLb0EEEZNS1_14transform_implILb0ES3_S5_N6thrust23THRUST_200600_302600_NS6detail15normal_iteratorINS8_10device_ptrIjEEEEPjNS0_8identityIjEEEE10hipError_tT2_T3_mT4_P12ihipStream_tbEUlT_E_NS1_11comp_targetILNS1_3genE9ELNS1_11target_archE1100ELNS1_3gpuE3ELNS1_3repE0EEENS1_30default_config_static_selectorELNS0_4arch9wavefront6targetE0EEEvT1_.has_dyn_sized_stack, 0
	.set _ZN7rocprim17ROCPRIM_400000_NS6detail17trampoline_kernelINS0_14default_configENS1_25transform_config_selectorIjLb0EEEZNS1_14transform_implILb0ES3_S5_N6thrust23THRUST_200600_302600_NS6detail15normal_iteratorINS8_10device_ptrIjEEEEPjNS0_8identityIjEEEE10hipError_tT2_T3_mT4_P12ihipStream_tbEUlT_E_NS1_11comp_targetILNS1_3genE9ELNS1_11target_archE1100ELNS1_3gpuE3ELNS1_3repE0EEENS1_30default_config_static_selectorELNS0_4arch9wavefront6targetE0EEEvT1_.has_recursion, 0
	.set _ZN7rocprim17ROCPRIM_400000_NS6detail17trampoline_kernelINS0_14default_configENS1_25transform_config_selectorIjLb0EEEZNS1_14transform_implILb0ES3_S5_N6thrust23THRUST_200600_302600_NS6detail15normal_iteratorINS8_10device_ptrIjEEEEPjNS0_8identityIjEEEE10hipError_tT2_T3_mT4_P12ihipStream_tbEUlT_E_NS1_11comp_targetILNS1_3genE9ELNS1_11target_archE1100ELNS1_3gpuE3ELNS1_3repE0EEENS1_30default_config_static_selectorELNS0_4arch9wavefront6targetE0EEEvT1_.has_indirect_call, 0
	.section	.AMDGPU.csdata,"",@progbits
; Kernel info:
; codeLenInByte = 0
; TotalNumSgprs: 0
; NumVgprs: 0
; ScratchSize: 0
; MemoryBound: 0
; FloatMode: 240
; IeeeMode: 1
; LDSByteSize: 0 bytes/workgroup (compile time only)
; SGPRBlocks: 0
; VGPRBlocks: 0
; NumSGPRsForWavesPerEU: 1
; NumVGPRsForWavesPerEU: 1
; NamedBarCnt: 0
; Occupancy: 16
; WaveLimiterHint : 0
; COMPUTE_PGM_RSRC2:SCRATCH_EN: 0
; COMPUTE_PGM_RSRC2:USER_SGPR: 2
; COMPUTE_PGM_RSRC2:TRAP_HANDLER: 0
; COMPUTE_PGM_RSRC2:TGID_X_EN: 1
; COMPUTE_PGM_RSRC2:TGID_Y_EN: 0
; COMPUTE_PGM_RSRC2:TGID_Z_EN: 0
; COMPUTE_PGM_RSRC2:TIDIG_COMP_CNT: 0
	.section	.text._ZN7rocprim17ROCPRIM_400000_NS6detail17trampoline_kernelINS0_14default_configENS1_25transform_config_selectorIjLb0EEEZNS1_14transform_implILb0ES3_S5_N6thrust23THRUST_200600_302600_NS6detail15normal_iteratorINS8_10device_ptrIjEEEEPjNS0_8identityIjEEEE10hipError_tT2_T3_mT4_P12ihipStream_tbEUlT_E_NS1_11comp_targetILNS1_3genE8ELNS1_11target_archE1030ELNS1_3gpuE2ELNS1_3repE0EEENS1_30default_config_static_selectorELNS0_4arch9wavefront6targetE0EEEvT1_,"axG",@progbits,_ZN7rocprim17ROCPRIM_400000_NS6detail17trampoline_kernelINS0_14default_configENS1_25transform_config_selectorIjLb0EEEZNS1_14transform_implILb0ES3_S5_N6thrust23THRUST_200600_302600_NS6detail15normal_iteratorINS8_10device_ptrIjEEEEPjNS0_8identityIjEEEE10hipError_tT2_T3_mT4_P12ihipStream_tbEUlT_E_NS1_11comp_targetILNS1_3genE8ELNS1_11target_archE1030ELNS1_3gpuE2ELNS1_3repE0EEENS1_30default_config_static_selectorELNS0_4arch9wavefront6targetE0EEEvT1_,comdat
	.protected	_ZN7rocprim17ROCPRIM_400000_NS6detail17trampoline_kernelINS0_14default_configENS1_25transform_config_selectorIjLb0EEEZNS1_14transform_implILb0ES3_S5_N6thrust23THRUST_200600_302600_NS6detail15normal_iteratorINS8_10device_ptrIjEEEEPjNS0_8identityIjEEEE10hipError_tT2_T3_mT4_P12ihipStream_tbEUlT_E_NS1_11comp_targetILNS1_3genE8ELNS1_11target_archE1030ELNS1_3gpuE2ELNS1_3repE0EEENS1_30default_config_static_selectorELNS0_4arch9wavefront6targetE0EEEvT1_ ; -- Begin function _ZN7rocprim17ROCPRIM_400000_NS6detail17trampoline_kernelINS0_14default_configENS1_25transform_config_selectorIjLb0EEEZNS1_14transform_implILb0ES3_S5_N6thrust23THRUST_200600_302600_NS6detail15normal_iteratorINS8_10device_ptrIjEEEEPjNS0_8identityIjEEEE10hipError_tT2_T3_mT4_P12ihipStream_tbEUlT_E_NS1_11comp_targetILNS1_3genE8ELNS1_11target_archE1030ELNS1_3gpuE2ELNS1_3repE0EEENS1_30default_config_static_selectorELNS0_4arch9wavefront6targetE0EEEvT1_
	.globl	_ZN7rocprim17ROCPRIM_400000_NS6detail17trampoline_kernelINS0_14default_configENS1_25transform_config_selectorIjLb0EEEZNS1_14transform_implILb0ES3_S5_N6thrust23THRUST_200600_302600_NS6detail15normal_iteratorINS8_10device_ptrIjEEEEPjNS0_8identityIjEEEE10hipError_tT2_T3_mT4_P12ihipStream_tbEUlT_E_NS1_11comp_targetILNS1_3genE8ELNS1_11target_archE1030ELNS1_3gpuE2ELNS1_3repE0EEENS1_30default_config_static_selectorELNS0_4arch9wavefront6targetE0EEEvT1_
	.p2align	8
	.type	_ZN7rocprim17ROCPRIM_400000_NS6detail17trampoline_kernelINS0_14default_configENS1_25transform_config_selectorIjLb0EEEZNS1_14transform_implILb0ES3_S5_N6thrust23THRUST_200600_302600_NS6detail15normal_iteratorINS8_10device_ptrIjEEEEPjNS0_8identityIjEEEE10hipError_tT2_T3_mT4_P12ihipStream_tbEUlT_E_NS1_11comp_targetILNS1_3genE8ELNS1_11target_archE1030ELNS1_3gpuE2ELNS1_3repE0EEENS1_30default_config_static_selectorELNS0_4arch9wavefront6targetE0EEEvT1_,@function
_ZN7rocprim17ROCPRIM_400000_NS6detail17trampoline_kernelINS0_14default_configENS1_25transform_config_selectorIjLb0EEEZNS1_14transform_implILb0ES3_S5_N6thrust23THRUST_200600_302600_NS6detail15normal_iteratorINS8_10device_ptrIjEEEEPjNS0_8identityIjEEEE10hipError_tT2_T3_mT4_P12ihipStream_tbEUlT_E_NS1_11comp_targetILNS1_3genE8ELNS1_11target_archE1030ELNS1_3gpuE2ELNS1_3repE0EEENS1_30default_config_static_selectorELNS0_4arch9wavefront6targetE0EEEvT1_: ; @_ZN7rocprim17ROCPRIM_400000_NS6detail17trampoline_kernelINS0_14default_configENS1_25transform_config_selectorIjLb0EEEZNS1_14transform_implILb0ES3_S5_N6thrust23THRUST_200600_302600_NS6detail15normal_iteratorINS8_10device_ptrIjEEEEPjNS0_8identityIjEEEE10hipError_tT2_T3_mT4_P12ihipStream_tbEUlT_E_NS1_11comp_targetILNS1_3genE8ELNS1_11target_archE1030ELNS1_3gpuE2ELNS1_3repE0EEENS1_30default_config_static_selectorELNS0_4arch9wavefront6targetE0EEEvT1_
; %bb.0:
	.section	.rodata,"a",@progbits
	.p2align	6, 0x0
	.amdhsa_kernel _ZN7rocprim17ROCPRIM_400000_NS6detail17trampoline_kernelINS0_14default_configENS1_25transform_config_selectorIjLb0EEEZNS1_14transform_implILb0ES3_S5_N6thrust23THRUST_200600_302600_NS6detail15normal_iteratorINS8_10device_ptrIjEEEEPjNS0_8identityIjEEEE10hipError_tT2_T3_mT4_P12ihipStream_tbEUlT_E_NS1_11comp_targetILNS1_3genE8ELNS1_11target_archE1030ELNS1_3gpuE2ELNS1_3repE0EEENS1_30default_config_static_selectorELNS0_4arch9wavefront6targetE0EEEvT1_
		.amdhsa_group_segment_fixed_size 0
		.amdhsa_private_segment_fixed_size 0
		.amdhsa_kernarg_size 40
		.amdhsa_user_sgpr_count 2
		.amdhsa_user_sgpr_dispatch_ptr 0
		.amdhsa_user_sgpr_queue_ptr 0
		.amdhsa_user_sgpr_kernarg_segment_ptr 1
		.amdhsa_user_sgpr_dispatch_id 0
		.amdhsa_user_sgpr_kernarg_preload_length 0
		.amdhsa_user_sgpr_kernarg_preload_offset 0
		.amdhsa_user_sgpr_private_segment_size 0
		.amdhsa_wavefront_size32 1
		.amdhsa_uses_dynamic_stack 0
		.amdhsa_enable_private_segment 0
		.amdhsa_system_sgpr_workgroup_id_x 1
		.amdhsa_system_sgpr_workgroup_id_y 0
		.amdhsa_system_sgpr_workgroup_id_z 0
		.amdhsa_system_sgpr_workgroup_info 0
		.amdhsa_system_vgpr_workitem_id 0
		.amdhsa_next_free_vgpr 1
		.amdhsa_next_free_sgpr 1
		.amdhsa_named_barrier_count 0
		.amdhsa_reserve_vcc 0
		.amdhsa_float_round_mode_32 0
		.amdhsa_float_round_mode_16_64 0
		.amdhsa_float_denorm_mode_32 3
		.amdhsa_float_denorm_mode_16_64 3
		.amdhsa_fp16_overflow 0
		.amdhsa_memory_ordered 1
		.amdhsa_forward_progress 1
		.amdhsa_inst_pref_size 0
		.amdhsa_round_robin_scheduling 0
		.amdhsa_exception_fp_ieee_invalid_op 0
		.amdhsa_exception_fp_denorm_src 0
		.amdhsa_exception_fp_ieee_div_zero 0
		.amdhsa_exception_fp_ieee_overflow 0
		.amdhsa_exception_fp_ieee_underflow 0
		.amdhsa_exception_fp_ieee_inexact 0
		.amdhsa_exception_int_div_zero 0
	.end_amdhsa_kernel
	.section	.text._ZN7rocprim17ROCPRIM_400000_NS6detail17trampoline_kernelINS0_14default_configENS1_25transform_config_selectorIjLb0EEEZNS1_14transform_implILb0ES3_S5_N6thrust23THRUST_200600_302600_NS6detail15normal_iteratorINS8_10device_ptrIjEEEEPjNS0_8identityIjEEEE10hipError_tT2_T3_mT4_P12ihipStream_tbEUlT_E_NS1_11comp_targetILNS1_3genE8ELNS1_11target_archE1030ELNS1_3gpuE2ELNS1_3repE0EEENS1_30default_config_static_selectorELNS0_4arch9wavefront6targetE0EEEvT1_,"axG",@progbits,_ZN7rocprim17ROCPRIM_400000_NS6detail17trampoline_kernelINS0_14default_configENS1_25transform_config_selectorIjLb0EEEZNS1_14transform_implILb0ES3_S5_N6thrust23THRUST_200600_302600_NS6detail15normal_iteratorINS8_10device_ptrIjEEEEPjNS0_8identityIjEEEE10hipError_tT2_T3_mT4_P12ihipStream_tbEUlT_E_NS1_11comp_targetILNS1_3genE8ELNS1_11target_archE1030ELNS1_3gpuE2ELNS1_3repE0EEENS1_30default_config_static_selectorELNS0_4arch9wavefront6targetE0EEEvT1_,comdat
.Lfunc_end165:
	.size	_ZN7rocprim17ROCPRIM_400000_NS6detail17trampoline_kernelINS0_14default_configENS1_25transform_config_selectorIjLb0EEEZNS1_14transform_implILb0ES3_S5_N6thrust23THRUST_200600_302600_NS6detail15normal_iteratorINS8_10device_ptrIjEEEEPjNS0_8identityIjEEEE10hipError_tT2_T3_mT4_P12ihipStream_tbEUlT_E_NS1_11comp_targetILNS1_3genE8ELNS1_11target_archE1030ELNS1_3gpuE2ELNS1_3repE0EEENS1_30default_config_static_selectorELNS0_4arch9wavefront6targetE0EEEvT1_, .Lfunc_end165-_ZN7rocprim17ROCPRIM_400000_NS6detail17trampoline_kernelINS0_14default_configENS1_25transform_config_selectorIjLb0EEEZNS1_14transform_implILb0ES3_S5_N6thrust23THRUST_200600_302600_NS6detail15normal_iteratorINS8_10device_ptrIjEEEEPjNS0_8identityIjEEEE10hipError_tT2_T3_mT4_P12ihipStream_tbEUlT_E_NS1_11comp_targetILNS1_3genE8ELNS1_11target_archE1030ELNS1_3gpuE2ELNS1_3repE0EEENS1_30default_config_static_selectorELNS0_4arch9wavefront6targetE0EEEvT1_
                                        ; -- End function
	.set _ZN7rocprim17ROCPRIM_400000_NS6detail17trampoline_kernelINS0_14default_configENS1_25transform_config_selectorIjLb0EEEZNS1_14transform_implILb0ES3_S5_N6thrust23THRUST_200600_302600_NS6detail15normal_iteratorINS8_10device_ptrIjEEEEPjNS0_8identityIjEEEE10hipError_tT2_T3_mT4_P12ihipStream_tbEUlT_E_NS1_11comp_targetILNS1_3genE8ELNS1_11target_archE1030ELNS1_3gpuE2ELNS1_3repE0EEENS1_30default_config_static_selectorELNS0_4arch9wavefront6targetE0EEEvT1_.num_vgpr, 0
	.set _ZN7rocprim17ROCPRIM_400000_NS6detail17trampoline_kernelINS0_14default_configENS1_25transform_config_selectorIjLb0EEEZNS1_14transform_implILb0ES3_S5_N6thrust23THRUST_200600_302600_NS6detail15normal_iteratorINS8_10device_ptrIjEEEEPjNS0_8identityIjEEEE10hipError_tT2_T3_mT4_P12ihipStream_tbEUlT_E_NS1_11comp_targetILNS1_3genE8ELNS1_11target_archE1030ELNS1_3gpuE2ELNS1_3repE0EEENS1_30default_config_static_selectorELNS0_4arch9wavefront6targetE0EEEvT1_.num_agpr, 0
	.set _ZN7rocprim17ROCPRIM_400000_NS6detail17trampoline_kernelINS0_14default_configENS1_25transform_config_selectorIjLb0EEEZNS1_14transform_implILb0ES3_S5_N6thrust23THRUST_200600_302600_NS6detail15normal_iteratorINS8_10device_ptrIjEEEEPjNS0_8identityIjEEEE10hipError_tT2_T3_mT4_P12ihipStream_tbEUlT_E_NS1_11comp_targetILNS1_3genE8ELNS1_11target_archE1030ELNS1_3gpuE2ELNS1_3repE0EEENS1_30default_config_static_selectorELNS0_4arch9wavefront6targetE0EEEvT1_.numbered_sgpr, 0
	.set _ZN7rocprim17ROCPRIM_400000_NS6detail17trampoline_kernelINS0_14default_configENS1_25transform_config_selectorIjLb0EEEZNS1_14transform_implILb0ES3_S5_N6thrust23THRUST_200600_302600_NS6detail15normal_iteratorINS8_10device_ptrIjEEEEPjNS0_8identityIjEEEE10hipError_tT2_T3_mT4_P12ihipStream_tbEUlT_E_NS1_11comp_targetILNS1_3genE8ELNS1_11target_archE1030ELNS1_3gpuE2ELNS1_3repE0EEENS1_30default_config_static_selectorELNS0_4arch9wavefront6targetE0EEEvT1_.num_named_barrier, 0
	.set _ZN7rocprim17ROCPRIM_400000_NS6detail17trampoline_kernelINS0_14default_configENS1_25transform_config_selectorIjLb0EEEZNS1_14transform_implILb0ES3_S5_N6thrust23THRUST_200600_302600_NS6detail15normal_iteratorINS8_10device_ptrIjEEEEPjNS0_8identityIjEEEE10hipError_tT2_T3_mT4_P12ihipStream_tbEUlT_E_NS1_11comp_targetILNS1_3genE8ELNS1_11target_archE1030ELNS1_3gpuE2ELNS1_3repE0EEENS1_30default_config_static_selectorELNS0_4arch9wavefront6targetE0EEEvT1_.private_seg_size, 0
	.set _ZN7rocprim17ROCPRIM_400000_NS6detail17trampoline_kernelINS0_14default_configENS1_25transform_config_selectorIjLb0EEEZNS1_14transform_implILb0ES3_S5_N6thrust23THRUST_200600_302600_NS6detail15normal_iteratorINS8_10device_ptrIjEEEEPjNS0_8identityIjEEEE10hipError_tT2_T3_mT4_P12ihipStream_tbEUlT_E_NS1_11comp_targetILNS1_3genE8ELNS1_11target_archE1030ELNS1_3gpuE2ELNS1_3repE0EEENS1_30default_config_static_selectorELNS0_4arch9wavefront6targetE0EEEvT1_.uses_vcc, 0
	.set _ZN7rocprim17ROCPRIM_400000_NS6detail17trampoline_kernelINS0_14default_configENS1_25transform_config_selectorIjLb0EEEZNS1_14transform_implILb0ES3_S5_N6thrust23THRUST_200600_302600_NS6detail15normal_iteratorINS8_10device_ptrIjEEEEPjNS0_8identityIjEEEE10hipError_tT2_T3_mT4_P12ihipStream_tbEUlT_E_NS1_11comp_targetILNS1_3genE8ELNS1_11target_archE1030ELNS1_3gpuE2ELNS1_3repE0EEENS1_30default_config_static_selectorELNS0_4arch9wavefront6targetE0EEEvT1_.uses_flat_scratch, 0
	.set _ZN7rocprim17ROCPRIM_400000_NS6detail17trampoline_kernelINS0_14default_configENS1_25transform_config_selectorIjLb0EEEZNS1_14transform_implILb0ES3_S5_N6thrust23THRUST_200600_302600_NS6detail15normal_iteratorINS8_10device_ptrIjEEEEPjNS0_8identityIjEEEE10hipError_tT2_T3_mT4_P12ihipStream_tbEUlT_E_NS1_11comp_targetILNS1_3genE8ELNS1_11target_archE1030ELNS1_3gpuE2ELNS1_3repE0EEENS1_30default_config_static_selectorELNS0_4arch9wavefront6targetE0EEEvT1_.has_dyn_sized_stack, 0
	.set _ZN7rocprim17ROCPRIM_400000_NS6detail17trampoline_kernelINS0_14default_configENS1_25transform_config_selectorIjLb0EEEZNS1_14transform_implILb0ES3_S5_N6thrust23THRUST_200600_302600_NS6detail15normal_iteratorINS8_10device_ptrIjEEEEPjNS0_8identityIjEEEE10hipError_tT2_T3_mT4_P12ihipStream_tbEUlT_E_NS1_11comp_targetILNS1_3genE8ELNS1_11target_archE1030ELNS1_3gpuE2ELNS1_3repE0EEENS1_30default_config_static_selectorELNS0_4arch9wavefront6targetE0EEEvT1_.has_recursion, 0
	.set _ZN7rocprim17ROCPRIM_400000_NS6detail17trampoline_kernelINS0_14default_configENS1_25transform_config_selectorIjLb0EEEZNS1_14transform_implILb0ES3_S5_N6thrust23THRUST_200600_302600_NS6detail15normal_iteratorINS8_10device_ptrIjEEEEPjNS0_8identityIjEEEE10hipError_tT2_T3_mT4_P12ihipStream_tbEUlT_E_NS1_11comp_targetILNS1_3genE8ELNS1_11target_archE1030ELNS1_3gpuE2ELNS1_3repE0EEENS1_30default_config_static_selectorELNS0_4arch9wavefront6targetE0EEEvT1_.has_indirect_call, 0
	.section	.AMDGPU.csdata,"",@progbits
; Kernel info:
; codeLenInByte = 0
; TotalNumSgprs: 0
; NumVgprs: 0
; ScratchSize: 0
; MemoryBound: 0
; FloatMode: 240
; IeeeMode: 1
; LDSByteSize: 0 bytes/workgroup (compile time only)
; SGPRBlocks: 0
; VGPRBlocks: 0
; NumSGPRsForWavesPerEU: 1
; NumVGPRsForWavesPerEU: 1
; NamedBarCnt: 0
; Occupancy: 16
; WaveLimiterHint : 0
; COMPUTE_PGM_RSRC2:SCRATCH_EN: 0
; COMPUTE_PGM_RSRC2:USER_SGPR: 2
; COMPUTE_PGM_RSRC2:TRAP_HANDLER: 0
; COMPUTE_PGM_RSRC2:TGID_X_EN: 1
; COMPUTE_PGM_RSRC2:TGID_Y_EN: 0
; COMPUTE_PGM_RSRC2:TGID_Z_EN: 0
; COMPUTE_PGM_RSRC2:TIDIG_COMP_CNT: 0
	.section	.text._ZN7rocprim17ROCPRIM_400000_NS6detail17trampoline_kernelINS0_14default_configENS1_25transform_config_selectorIN6thrust23THRUST_200600_302600_NS5tupleIffNS6_9null_typeES8_S8_S8_S8_S8_S8_S8_EELb0EEEZNS1_14transform_implILb0ES3_SA_NS6_6detail15normal_iteratorINS6_10device_ptrIS9_EEEEPS9_NS0_8identityIS9_EEEE10hipError_tT2_T3_mT4_P12ihipStream_tbEUlT_E_NS1_11comp_targetILNS1_3genE0ELNS1_11target_archE4294967295ELNS1_3gpuE0ELNS1_3repE0EEENS1_30default_config_static_selectorELNS0_4arch9wavefront6targetE0EEEvT1_,"axG",@progbits,_ZN7rocprim17ROCPRIM_400000_NS6detail17trampoline_kernelINS0_14default_configENS1_25transform_config_selectorIN6thrust23THRUST_200600_302600_NS5tupleIffNS6_9null_typeES8_S8_S8_S8_S8_S8_S8_EELb0EEEZNS1_14transform_implILb0ES3_SA_NS6_6detail15normal_iteratorINS6_10device_ptrIS9_EEEEPS9_NS0_8identityIS9_EEEE10hipError_tT2_T3_mT4_P12ihipStream_tbEUlT_E_NS1_11comp_targetILNS1_3genE0ELNS1_11target_archE4294967295ELNS1_3gpuE0ELNS1_3repE0EEENS1_30default_config_static_selectorELNS0_4arch9wavefront6targetE0EEEvT1_,comdat
	.protected	_ZN7rocprim17ROCPRIM_400000_NS6detail17trampoline_kernelINS0_14default_configENS1_25transform_config_selectorIN6thrust23THRUST_200600_302600_NS5tupleIffNS6_9null_typeES8_S8_S8_S8_S8_S8_S8_EELb0EEEZNS1_14transform_implILb0ES3_SA_NS6_6detail15normal_iteratorINS6_10device_ptrIS9_EEEEPS9_NS0_8identityIS9_EEEE10hipError_tT2_T3_mT4_P12ihipStream_tbEUlT_E_NS1_11comp_targetILNS1_3genE0ELNS1_11target_archE4294967295ELNS1_3gpuE0ELNS1_3repE0EEENS1_30default_config_static_selectorELNS0_4arch9wavefront6targetE0EEEvT1_ ; -- Begin function _ZN7rocprim17ROCPRIM_400000_NS6detail17trampoline_kernelINS0_14default_configENS1_25transform_config_selectorIN6thrust23THRUST_200600_302600_NS5tupleIffNS6_9null_typeES8_S8_S8_S8_S8_S8_S8_EELb0EEEZNS1_14transform_implILb0ES3_SA_NS6_6detail15normal_iteratorINS6_10device_ptrIS9_EEEEPS9_NS0_8identityIS9_EEEE10hipError_tT2_T3_mT4_P12ihipStream_tbEUlT_E_NS1_11comp_targetILNS1_3genE0ELNS1_11target_archE4294967295ELNS1_3gpuE0ELNS1_3repE0EEENS1_30default_config_static_selectorELNS0_4arch9wavefront6targetE0EEEvT1_
	.globl	_ZN7rocprim17ROCPRIM_400000_NS6detail17trampoline_kernelINS0_14default_configENS1_25transform_config_selectorIN6thrust23THRUST_200600_302600_NS5tupleIffNS6_9null_typeES8_S8_S8_S8_S8_S8_S8_EELb0EEEZNS1_14transform_implILb0ES3_SA_NS6_6detail15normal_iteratorINS6_10device_ptrIS9_EEEEPS9_NS0_8identityIS9_EEEE10hipError_tT2_T3_mT4_P12ihipStream_tbEUlT_E_NS1_11comp_targetILNS1_3genE0ELNS1_11target_archE4294967295ELNS1_3gpuE0ELNS1_3repE0EEENS1_30default_config_static_selectorELNS0_4arch9wavefront6targetE0EEEvT1_
	.p2align	8
	.type	_ZN7rocprim17ROCPRIM_400000_NS6detail17trampoline_kernelINS0_14default_configENS1_25transform_config_selectorIN6thrust23THRUST_200600_302600_NS5tupleIffNS6_9null_typeES8_S8_S8_S8_S8_S8_S8_EELb0EEEZNS1_14transform_implILb0ES3_SA_NS6_6detail15normal_iteratorINS6_10device_ptrIS9_EEEEPS9_NS0_8identityIS9_EEEE10hipError_tT2_T3_mT4_P12ihipStream_tbEUlT_E_NS1_11comp_targetILNS1_3genE0ELNS1_11target_archE4294967295ELNS1_3gpuE0ELNS1_3repE0EEENS1_30default_config_static_selectorELNS0_4arch9wavefront6targetE0EEEvT1_,@function
_ZN7rocprim17ROCPRIM_400000_NS6detail17trampoline_kernelINS0_14default_configENS1_25transform_config_selectorIN6thrust23THRUST_200600_302600_NS5tupleIffNS6_9null_typeES8_S8_S8_S8_S8_S8_S8_EELb0EEEZNS1_14transform_implILb0ES3_SA_NS6_6detail15normal_iteratorINS6_10device_ptrIS9_EEEEPS9_NS0_8identityIS9_EEEE10hipError_tT2_T3_mT4_P12ihipStream_tbEUlT_E_NS1_11comp_targetILNS1_3genE0ELNS1_11target_archE4294967295ELNS1_3gpuE0ELNS1_3repE0EEENS1_30default_config_static_selectorELNS0_4arch9wavefront6targetE0EEEvT1_: ; @_ZN7rocprim17ROCPRIM_400000_NS6detail17trampoline_kernelINS0_14default_configENS1_25transform_config_selectorIN6thrust23THRUST_200600_302600_NS5tupleIffNS6_9null_typeES8_S8_S8_S8_S8_S8_S8_EELb0EEEZNS1_14transform_implILb0ES3_SA_NS6_6detail15normal_iteratorINS6_10device_ptrIS9_EEEEPS9_NS0_8identityIS9_EEEE10hipError_tT2_T3_mT4_P12ihipStream_tbEUlT_E_NS1_11comp_targetILNS1_3genE0ELNS1_11target_archE4294967295ELNS1_3gpuE0ELNS1_3repE0EEENS1_30default_config_static_selectorELNS0_4arch9wavefront6targetE0EEEvT1_
; %bb.0:
	s_clause 0x2
	s_load_b128 s[4:7], s[0:1], 0x0
	s_load_b64 s[2:3], s[0:1], 0x18
	s_load_b32 s8, s[0:1], 0x28
	s_bfe_u32 s9, ttmp6, 0x4000c
	s_and_b32 s10, ttmp6, 15
	s_add_co_i32 s9, s9, 1
	s_getreg_b32 s11, hwreg(HW_REG_IB_STS2, 6, 4)
	s_mul_i32 s9, ttmp9, s9
	s_delay_alu instid0(SALU_CYCLE_1)
	s_add_co_i32 s10, s10, s9
	s_wait_kmcnt 0x0
	s_lshl_b64 s[6:7], s[6:7], 3
	s_cmp_eq_u32 s11, 0
	s_add_nc_u64 s[4:5], s[4:5], s[6:7]
	s_cselect_b32 s9, ttmp9, s10
	s_add_co_i32 s8, s8, -1
	s_add_nc_u64 s[2:3], s[2:3], s[6:7]
	s_lshl_b32 s6, s9, 7
	s_mov_b32 s7, 0
	s_cmp_lg_u32 s9, s8
	s_mov_b32 s8, -1
	s_cbranch_scc0 .LBB166_2
; %bb.1:
	s_lshl_b64 s[8:9], s[6:7], 3
	s_delay_alu instid0(SALU_CYCLE_1)
	s_add_nc_u64 s[10:11], s[4:5], s[8:9]
	flat_load_b64 v[2:3], v0, s[10:11] scale_offset
	s_wait_xcnt 0x0
	s_add_nc_u64 s[10:11], s[2:3], s[8:9]
	s_mov_b32 s8, s7
	s_wait_loadcnt_dscnt 0x0
	global_store_b64 v0, v[2:3], s[10:11] scale_offset
.LBB166_2:
	s_and_not1_b32 vcc_lo, exec_lo, s8
	s_cbranch_vccnz .LBB166_5
; %bb.3:
	s_load_b32 s0, s[0:1], 0x10
	s_wait_kmcnt 0x0
	s_sub_co_i32 s0, s0, s6
	s_delay_alu instid0(SALU_CYCLE_1)
	v_cmp_gt_u32_e32 vcc_lo, s0, v0
	s_and_saveexec_b32 s0, vcc_lo
	s_cbranch_execz .LBB166_5
; %bb.4:
	s_lshl_b64 s[0:1], s[6:7], 3
	s_delay_alu instid0(SALU_CYCLE_1)
	s_add_nc_u64 s[4:5], s[4:5], s[0:1]
	s_add_nc_u64 s[0:1], s[2:3], s[0:1]
	flat_load_b64 v[2:3], v0, s[4:5] scale_offset
	s_wait_loadcnt_dscnt 0x0
	global_store_b64 v0, v[2:3], s[0:1] scale_offset
.LBB166_5:
	s_endpgm
	.section	.rodata,"a",@progbits
	.p2align	6, 0x0
	.amdhsa_kernel _ZN7rocprim17ROCPRIM_400000_NS6detail17trampoline_kernelINS0_14default_configENS1_25transform_config_selectorIN6thrust23THRUST_200600_302600_NS5tupleIffNS6_9null_typeES8_S8_S8_S8_S8_S8_S8_EELb0EEEZNS1_14transform_implILb0ES3_SA_NS6_6detail15normal_iteratorINS6_10device_ptrIS9_EEEEPS9_NS0_8identityIS9_EEEE10hipError_tT2_T3_mT4_P12ihipStream_tbEUlT_E_NS1_11comp_targetILNS1_3genE0ELNS1_11target_archE4294967295ELNS1_3gpuE0ELNS1_3repE0EEENS1_30default_config_static_selectorELNS0_4arch9wavefront6targetE0EEEvT1_
		.amdhsa_group_segment_fixed_size 0
		.amdhsa_private_segment_fixed_size 0
		.amdhsa_kernarg_size 296
		.amdhsa_user_sgpr_count 2
		.amdhsa_user_sgpr_dispatch_ptr 0
		.amdhsa_user_sgpr_queue_ptr 0
		.amdhsa_user_sgpr_kernarg_segment_ptr 1
		.amdhsa_user_sgpr_dispatch_id 0
		.amdhsa_user_sgpr_kernarg_preload_length 0
		.amdhsa_user_sgpr_kernarg_preload_offset 0
		.amdhsa_user_sgpr_private_segment_size 0
		.amdhsa_wavefront_size32 1
		.amdhsa_uses_dynamic_stack 0
		.amdhsa_enable_private_segment 0
		.amdhsa_system_sgpr_workgroup_id_x 1
		.amdhsa_system_sgpr_workgroup_id_y 0
		.amdhsa_system_sgpr_workgroup_id_z 0
		.amdhsa_system_sgpr_workgroup_info 0
		.amdhsa_system_vgpr_workitem_id 0
		.amdhsa_next_free_vgpr 4
		.amdhsa_next_free_sgpr 12
		.amdhsa_named_barrier_count 0
		.amdhsa_reserve_vcc 1
		.amdhsa_float_round_mode_32 0
		.amdhsa_float_round_mode_16_64 0
		.amdhsa_float_denorm_mode_32 3
		.amdhsa_float_denorm_mode_16_64 3
		.amdhsa_fp16_overflow 0
		.amdhsa_memory_ordered 1
		.amdhsa_forward_progress 1
		.amdhsa_inst_pref_size 2
		.amdhsa_round_robin_scheduling 0
		.amdhsa_exception_fp_ieee_invalid_op 0
		.amdhsa_exception_fp_denorm_src 0
		.amdhsa_exception_fp_ieee_div_zero 0
		.amdhsa_exception_fp_ieee_overflow 0
		.amdhsa_exception_fp_ieee_underflow 0
		.amdhsa_exception_fp_ieee_inexact 0
		.amdhsa_exception_int_div_zero 0
	.end_amdhsa_kernel
	.section	.text._ZN7rocprim17ROCPRIM_400000_NS6detail17trampoline_kernelINS0_14default_configENS1_25transform_config_selectorIN6thrust23THRUST_200600_302600_NS5tupleIffNS6_9null_typeES8_S8_S8_S8_S8_S8_S8_EELb0EEEZNS1_14transform_implILb0ES3_SA_NS6_6detail15normal_iteratorINS6_10device_ptrIS9_EEEEPS9_NS0_8identityIS9_EEEE10hipError_tT2_T3_mT4_P12ihipStream_tbEUlT_E_NS1_11comp_targetILNS1_3genE0ELNS1_11target_archE4294967295ELNS1_3gpuE0ELNS1_3repE0EEENS1_30default_config_static_selectorELNS0_4arch9wavefront6targetE0EEEvT1_,"axG",@progbits,_ZN7rocprim17ROCPRIM_400000_NS6detail17trampoline_kernelINS0_14default_configENS1_25transform_config_selectorIN6thrust23THRUST_200600_302600_NS5tupleIffNS6_9null_typeES8_S8_S8_S8_S8_S8_S8_EELb0EEEZNS1_14transform_implILb0ES3_SA_NS6_6detail15normal_iteratorINS6_10device_ptrIS9_EEEEPS9_NS0_8identityIS9_EEEE10hipError_tT2_T3_mT4_P12ihipStream_tbEUlT_E_NS1_11comp_targetILNS1_3genE0ELNS1_11target_archE4294967295ELNS1_3gpuE0ELNS1_3repE0EEENS1_30default_config_static_selectorELNS0_4arch9wavefront6targetE0EEEvT1_,comdat
.Lfunc_end166:
	.size	_ZN7rocprim17ROCPRIM_400000_NS6detail17trampoline_kernelINS0_14default_configENS1_25transform_config_selectorIN6thrust23THRUST_200600_302600_NS5tupleIffNS6_9null_typeES8_S8_S8_S8_S8_S8_S8_EELb0EEEZNS1_14transform_implILb0ES3_SA_NS6_6detail15normal_iteratorINS6_10device_ptrIS9_EEEEPS9_NS0_8identityIS9_EEEE10hipError_tT2_T3_mT4_P12ihipStream_tbEUlT_E_NS1_11comp_targetILNS1_3genE0ELNS1_11target_archE4294967295ELNS1_3gpuE0ELNS1_3repE0EEENS1_30default_config_static_selectorELNS0_4arch9wavefront6targetE0EEEvT1_, .Lfunc_end166-_ZN7rocprim17ROCPRIM_400000_NS6detail17trampoline_kernelINS0_14default_configENS1_25transform_config_selectorIN6thrust23THRUST_200600_302600_NS5tupleIffNS6_9null_typeES8_S8_S8_S8_S8_S8_S8_EELb0EEEZNS1_14transform_implILb0ES3_SA_NS6_6detail15normal_iteratorINS6_10device_ptrIS9_EEEEPS9_NS0_8identityIS9_EEEE10hipError_tT2_T3_mT4_P12ihipStream_tbEUlT_E_NS1_11comp_targetILNS1_3genE0ELNS1_11target_archE4294967295ELNS1_3gpuE0ELNS1_3repE0EEENS1_30default_config_static_selectorELNS0_4arch9wavefront6targetE0EEEvT1_
                                        ; -- End function
	.set _ZN7rocprim17ROCPRIM_400000_NS6detail17trampoline_kernelINS0_14default_configENS1_25transform_config_selectorIN6thrust23THRUST_200600_302600_NS5tupleIffNS6_9null_typeES8_S8_S8_S8_S8_S8_S8_EELb0EEEZNS1_14transform_implILb0ES3_SA_NS6_6detail15normal_iteratorINS6_10device_ptrIS9_EEEEPS9_NS0_8identityIS9_EEEE10hipError_tT2_T3_mT4_P12ihipStream_tbEUlT_E_NS1_11comp_targetILNS1_3genE0ELNS1_11target_archE4294967295ELNS1_3gpuE0ELNS1_3repE0EEENS1_30default_config_static_selectorELNS0_4arch9wavefront6targetE0EEEvT1_.num_vgpr, 4
	.set _ZN7rocprim17ROCPRIM_400000_NS6detail17trampoline_kernelINS0_14default_configENS1_25transform_config_selectorIN6thrust23THRUST_200600_302600_NS5tupleIffNS6_9null_typeES8_S8_S8_S8_S8_S8_S8_EELb0EEEZNS1_14transform_implILb0ES3_SA_NS6_6detail15normal_iteratorINS6_10device_ptrIS9_EEEEPS9_NS0_8identityIS9_EEEE10hipError_tT2_T3_mT4_P12ihipStream_tbEUlT_E_NS1_11comp_targetILNS1_3genE0ELNS1_11target_archE4294967295ELNS1_3gpuE0ELNS1_3repE0EEENS1_30default_config_static_selectorELNS0_4arch9wavefront6targetE0EEEvT1_.num_agpr, 0
	.set _ZN7rocprim17ROCPRIM_400000_NS6detail17trampoline_kernelINS0_14default_configENS1_25transform_config_selectorIN6thrust23THRUST_200600_302600_NS5tupleIffNS6_9null_typeES8_S8_S8_S8_S8_S8_S8_EELb0EEEZNS1_14transform_implILb0ES3_SA_NS6_6detail15normal_iteratorINS6_10device_ptrIS9_EEEEPS9_NS0_8identityIS9_EEEE10hipError_tT2_T3_mT4_P12ihipStream_tbEUlT_E_NS1_11comp_targetILNS1_3genE0ELNS1_11target_archE4294967295ELNS1_3gpuE0ELNS1_3repE0EEENS1_30default_config_static_selectorELNS0_4arch9wavefront6targetE0EEEvT1_.numbered_sgpr, 12
	.set _ZN7rocprim17ROCPRIM_400000_NS6detail17trampoline_kernelINS0_14default_configENS1_25transform_config_selectorIN6thrust23THRUST_200600_302600_NS5tupleIffNS6_9null_typeES8_S8_S8_S8_S8_S8_S8_EELb0EEEZNS1_14transform_implILb0ES3_SA_NS6_6detail15normal_iteratorINS6_10device_ptrIS9_EEEEPS9_NS0_8identityIS9_EEEE10hipError_tT2_T3_mT4_P12ihipStream_tbEUlT_E_NS1_11comp_targetILNS1_3genE0ELNS1_11target_archE4294967295ELNS1_3gpuE0ELNS1_3repE0EEENS1_30default_config_static_selectorELNS0_4arch9wavefront6targetE0EEEvT1_.num_named_barrier, 0
	.set _ZN7rocprim17ROCPRIM_400000_NS6detail17trampoline_kernelINS0_14default_configENS1_25transform_config_selectorIN6thrust23THRUST_200600_302600_NS5tupleIffNS6_9null_typeES8_S8_S8_S8_S8_S8_S8_EELb0EEEZNS1_14transform_implILb0ES3_SA_NS6_6detail15normal_iteratorINS6_10device_ptrIS9_EEEEPS9_NS0_8identityIS9_EEEE10hipError_tT2_T3_mT4_P12ihipStream_tbEUlT_E_NS1_11comp_targetILNS1_3genE0ELNS1_11target_archE4294967295ELNS1_3gpuE0ELNS1_3repE0EEENS1_30default_config_static_selectorELNS0_4arch9wavefront6targetE0EEEvT1_.private_seg_size, 0
	.set _ZN7rocprim17ROCPRIM_400000_NS6detail17trampoline_kernelINS0_14default_configENS1_25transform_config_selectorIN6thrust23THRUST_200600_302600_NS5tupleIffNS6_9null_typeES8_S8_S8_S8_S8_S8_S8_EELb0EEEZNS1_14transform_implILb0ES3_SA_NS6_6detail15normal_iteratorINS6_10device_ptrIS9_EEEEPS9_NS0_8identityIS9_EEEE10hipError_tT2_T3_mT4_P12ihipStream_tbEUlT_E_NS1_11comp_targetILNS1_3genE0ELNS1_11target_archE4294967295ELNS1_3gpuE0ELNS1_3repE0EEENS1_30default_config_static_selectorELNS0_4arch9wavefront6targetE0EEEvT1_.uses_vcc, 1
	.set _ZN7rocprim17ROCPRIM_400000_NS6detail17trampoline_kernelINS0_14default_configENS1_25transform_config_selectorIN6thrust23THRUST_200600_302600_NS5tupleIffNS6_9null_typeES8_S8_S8_S8_S8_S8_S8_EELb0EEEZNS1_14transform_implILb0ES3_SA_NS6_6detail15normal_iteratorINS6_10device_ptrIS9_EEEEPS9_NS0_8identityIS9_EEEE10hipError_tT2_T3_mT4_P12ihipStream_tbEUlT_E_NS1_11comp_targetILNS1_3genE0ELNS1_11target_archE4294967295ELNS1_3gpuE0ELNS1_3repE0EEENS1_30default_config_static_selectorELNS0_4arch9wavefront6targetE0EEEvT1_.uses_flat_scratch, 0
	.set _ZN7rocprim17ROCPRIM_400000_NS6detail17trampoline_kernelINS0_14default_configENS1_25transform_config_selectorIN6thrust23THRUST_200600_302600_NS5tupleIffNS6_9null_typeES8_S8_S8_S8_S8_S8_S8_EELb0EEEZNS1_14transform_implILb0ES3_SA_NS6_6detail15normal_iteratorINS6_10device_ptrIS9_EEEEPS9_NS0_8identityIS9_EEEE10hipError_tT2_T3_mT4_P12ihipStream_tbEUlT_E_NS1_11comp_targetILNS1_3genE0ELNS1_11target_archE4294967295ELNS1_3gpuE0ELNS1_3repE0EEENS1_30default_config_static_selectorELNS0_4arch9wavefront6targetE0EEEvT1_.has_dyn_sized_stack, 0
	.set _ZN7rocprim17ROCPRIM_400000_NS6detail17trampoline_kernelINS0_14default_configENS1_25transform_config_selectorIN6thrust23THRUST_200600_302600_NS5tupleIffNS6_9null_typeES8_S8_S8_S8_S8_S8_S8_EELb0EEEZNS1_14transform_implILb0ES3_SA_NS6_6detail15normal_iteratorINS6_10device_ptrIS9_EEEEPS9_NS0_8identityIS9_EEEE10hipError_tT2_T3_mT4_P12ihipStream_tbEUlT_E_NS1_11comp_targetILNS1_3genE0ELNS1_11target_archE4294967295ELNS1_3gpuE0ELNS1_3repE0EEENS1_30default_config_static_selectorELNS0_4arch9wavefront6targetE0EEEvT1_.has_recursion, 0
	.set _ZN7rocprim17ROCPRIM_400000_NS6detail17trampoline_kernelINS0_14default_configENS1_25transform_config_selectorIN6thrust23THRUST_200600_302600_NS5tupleIffNS6_9null_typeES8_S8_S8_S8_S8_S8_S8_EELb0EEEZNS1_14transform_implILb0ES3_SA_NS6_6detail15normal_iteratorINS6_10device_ptrIS9_EEEEPS9_NS0_8identityIS9_EEEE10hipError_tT2_T3_mT4_P12ihipStream_tbEUlT_E_NS1_11comp_targetILNS1_3genE0ELNS1_11target_archE4294967295ELNS1_3gpuE0ELNS1_3repE0EEENS1_30default_config_static_selectorELNS0_4arch9wavefront6targetE0EEEvT1_.has_indirect_call, 0
	.section	.AMDGPU.csdata,"",@progbits
; Kernel info:
; codeLenInByte = 248
; TotalNumSgprs: 14
; NumVgprs: 4
; ScratchSize: 0
; MemoryBound: 0
; FloatMode: 240
; IeeeMode: 1
; LDSByteSize: 0 bytes/workgroup (compile time only)
; SGPRBlocks: 0
; VGPRBlocks: 0
; NumSGPRsForWavesPerEU: 14
; NumVGPRsForWavesPerEU: 4
; NamedBarCnt: 0
; Occupancy: 16
; WaveLimiterHint : 0
; COMPUTE_PGM_RSRC2:SCRATCH_EN: 0
; COMPUTE_PGM_RSRC2:USER_SGPR: 2
; COMPUTE_PGM_RSRC2:TRAP_HANDLER: 0
; COMPUTE_PGM_RSRC2:TGID_X_EN: 1
; COMPUTE_PGM_RSRC2:TGID_Y_EN: 0
; COMPUTE_PGM_RSRC2:TGID_Z_EN: 0
; COMPUTE_PGM_RSRC2:TIDIG_COMP_CNT: 0
	.section	.text._ZN7rocprim17ROCPRIM_400000_NS6detail17trampoline_kernelINS0_14default_configENS1_25transform_config_selectorIN6thrust23THRUST_200600_302600_NS5tupleIffNS6_9null_typeES8_S8_S8_S8_S8_S8_S8_EELb0EEEZNS1_14transform_implILb0ES3_SA_NS6_6detail15normal_iteratorINS6_10device_ptrIS9_EEEEPS9_NS0_8identityIS9_EEEE10hipError_tT2_T3_mT4_P12ihipStream_tbEUlT_E_NS1_11comp_targetILNS1_3genE5ELNS1_11target_archE942ELNS1_3gpuE9ELNS1_3repE0EEENS1_30default_config_static_selectorELNS0_4arch9wavefront6targetE0EEEvT1_,"axG",@progbits,_ZN7rocprim17ROCPRIM_400000_NS6detail17trampoline_kernelINS0_14default_configENS1_25transform_config_selectorIN6thrust23THRUST_200600_302600_NS5tupleIffNS6_9null_typeES8_S8_S8_S8_S8_S8_S8_EELb0EEEZNS1_14transform_implILb0ES3_SA_NS6_6detail15normal_iteratorINS6_10device_ptrIS9_EEEEPS9_NS0_8identityIS9_EEEE10hipError_tT2_T3_mT4_P12ihipStream_tbEUlT_E_NS1_11comp_targetILNS1_3genE5ELNS1_11target_archE942ELNS1_3gpuE9ELNS1_3repE0EEENS1_30default_config_static_selectorELNS0_4arch9wavefront6targetE0EEEvT1_,comdat
	.protected	_ZN7rocprim17ROCPRIM_400000_NS6detail17trampoline_kernelINS0_14default_configENS1_25transform_config_selectorIN6thrust23THRUST_200600_302600_NS5tupleIffNS6_9null_typeES8_S8_S8_S8_S8_S8_S8_EELb0EEEZNS1_14transform_implILb0ES3_SA_NS6_6detail15normal_iteratorINS6_10device_ptrIS9_EEEEPS9_NS0_8identityIS9_EEEE10hipError_tT2_T3_mT4_P12ihipStream_tbEUlT_E_NS1_11comp_targetILNS1_3genE5ELNS1_11target_archE942ELNS1_3gpuE9ELNS1_3repE0EEENS1_30default_config_static_selectorELNS0_4arch9wavefront6targetE0EEEvT1_ ; -- Begin function _ZN7rocprim17ROCPRIM_400000_NS6detail17trampoline_kernelINS0_14default_configENS1_25transform_config_selectorIN6thrust23THRUST_200600_302600_NS5tupleIffNS6_9null_typeES8_S8_S8_S8_S8_S8_S8_EELb0EEEZNS1_14transform_implILb0ES3_SA_NS6_6detail15normal_iteratorINS6_10device_ptrIS9_EEEEPS9_NS0_8identityIS9_EEEE10hipError_tT2_T3_mT4_P12ihipStream_tbEUlT_E_NS1_11comp_targetILNS1_3genE5ELNS1_11target_archE942ELNS1_3gpuE9ELNS1_3repE0EEENS1_30default_config_static_selectorELNS0_4arch9wavefront6targetE0EEEvT1_
	.globl	_ZN7rocprim17ROCPRIM_400000_NS6detail17trampoline_kernelINS0_14default_configENS1_25transform_config_selectorIN6thrust23THRUST_200600_302600_NS5tupleIffNS6_9null_typeES8_S8_S8_S8_S8_S8_S8_EELb0EEEZNS1_14transform_implILb0ES3_SA_NS6_6detail15normal_iteratorINS6_10device_ptrIS9_EEEEPS9_NS0_8identityIS9_EEEE10hipError_tT2_T3_mT4_P12ihipStream_tbEUlT_E_NS1_11comp_targetILNS1_3genE5ELNS1_11target_archE942ELNS1_3gpuE9ELNS1_3repE0EEENS1_30default_config_static_selectorELNS0_4arch9wavefront6targetE0EEEvT1_
	.p2align	8
	.type	_ZN7rocprim17ROCPRIM_400000_NS6detail17trampoline_kernelINS0_14default_configENS1_25transform_config_selectorIN6thrust23THRUST_200600_302600_NS5tupleIffNS6_9null_typeES8_S8_S8_S8_S8_S8_S8_EELb0EEEZNS1_14transform_implILb0ES3_SA_NS6_6detail15normal_iteratorINS6_10device_ptrIS9_EEEEPS9_NS0_8identityIS9_EEEE10hipError_tT2_T3_mT4_P12ihipStream_tbEUlT_E_NS1_11comp_targetILNS1_3genE5ELNS1_11target_archE942ELNS1_3gpuE9ELNS1_3repE0EEENS1_30default_config_static_selectorELNS0_4arch9wavefront6targetE0EEEvT1_,@function
_ZN7rocprim17ROCPRIM_400000_NS6detail17trampoline_kernelINS0_14default_configENS1_25transform_config_selectorIN6thrust23THRUST_200600_302600_NS5tupleIffNS6_9null_typeES8_S8_S8_S8_S8_S8_S8_EELb0EEEZNS1_14transform_implILb0ES3_SA_NS6_6detail15normal_iteratorINS6_10device_ptrIS9_EEEEPS9_NS0_8identityIS9_EEEE10hipError_tT2_T3_mT4_P12ihipStream_tbEUlT_E_NS1_11comp_targetILNS1_3genE5ELNS1_11target_archE942ELNS1_3gpuE9ELNS1_3repE0EEENS1_30default_config_static_selectorELNS0_4arch9wavefront6targetE0EEEvT1_: ; @_ZN7rocprim17ROCPRIM_400000_NS6detail17trampoline_kernelINS0_14default_configENS1_25transform_config_selectorIN6thrust23THRUST_200600_302600_NS5tupleIffNS6_9null_typeES8_S8_S8_S8_S8_S8_S8_EELb0EEEZNS1_14transform_implILb0ES3_SA_NS6_6detail15normal_iteratorINS6_10device_ptrIS9_EEEEPS9_NS0_8identityIS9_EEEE10hipError_tT2_T3_mT4_P12ihipStream_tbEUlT_E_NS1_11comp_targetILNS1_3genE5ELNS1_11target_archE942ELNS1_3gpuE9ELNS1_3repE0EEENS1_30default_config_static_selectorELNS0_4arch9wavefront6targetE0EEEvT1_
; %bb.0:
	.section	.rodata,"a",@progbits
	.p2align	6, 0x0
	.amdhsa_kernel _ZN7rocprim17ROCPRIM_400000_NS6detail17trampoline_kernelINS0_14default_configENS1_25transform_config_selectorIN6thrust23THRUST_200600_302600_NS5tupleIffNS6_9null_typeES8_S8_S8_S8_S8_S8_S8_EELb0EEEZNS1_14transform_implILb0ES3_SA_NS6_6detail15normal_iteratorINS6_10device_ptrIS9_EEEEPS9_NS0_8identityIS9_EEEE10hipError_tT2_T3_mT4_P12ihipStream_tbEUlT_E_NS1_11comp_targetILNS1_3genE5ELNS1_11target_archE942ELNS1_3gpuE9ELNS1_3repE0EEENS1_30default_config_static_selectorELNS0_4arch9wavefront6targetE0EEEvT1_
		.amdhsa_group_segment_fixed_size 0
		.amdhsa_private_segment_fixed_size 0
		.amdhsa_kernarg_size 40
		.amdhsa_user_sgpr_count 2
		.amdhsa_user_sgpr_dispatch_ptr 0
		.amdhsa_user_sgpr_queue_ptr 0
		.amdhsa_user_sgpr_kernarg_segment_ptr 1
		.amdhsa_user_sgpr_dispatch_id 0
		.amdhsa_user_sgpr_kernarg_preload_length 0
		.amdhsa_user_sgpr_kernarg_preload_offset 0
		.amdhsa_user_sgpr_private_segment_size 0
		.amdhsa_wavefront_size32 1
		.amdhsa_uses_dynamic_stack 0
		.amdhsa_enable_private_segment 0
		.amdhsa_system_sgpr_workgroup_id_x 1
		.amdhsa_system_sgpr_workgroup_id_y 0
		.amdhsa_system_sgpr_workgroup_id_z 0
		.amdhsa_system_sgpr_workgroup_info 0
		.amdhsa_system_vgpr_workitem_id 0
		.amdhsa_next_free_vgpr 1
		.amdhsa_next_free_sgpr 1
		.amdhsa_named_barrier_count 0
		.amdhsa_reserve_vcc 0
		.amdhsa_float_round_mode_32 0
		.amdhsa_float_round_mode_16_64 0
		.amdhsa_float_denorm_mode_32 3
		.amdhsa_float_denorm_mode_16_64 3
		.amdhsa_fp16_overflow 0
		.amdhsa_memory_ordered 1
		.amdhsa_forward_progress 1
		.amdhsa_inst_pref_size 0
		.amdhsa_round_robin_scheduling 0
		.amdhsa_exception_fp_ieee_invalid_op 0
		.amdhsa_exception_fp_denorm_src 0
		.amdhsa_exception_fp_ieee_div_zero 0
		.amdhsa_exception_fp_ieee_overflow 0
		.amdhsa_exception_fp_ieee_underflow 0
		.amdhsa_exception_fp_ieee_inexact 0
		.amdhsa_exception_int_div_zero 0
	.end_amdhsa_kernel
	.section	.text._ZN7rocprim17ROCPRIM_400000_NS6detail17trampoline_kernelINS0_14default_configENS1_25transform_config_selectorIN6thrust23THRUST_200600_302600_NS5tupleIffNS6_9null_typeES8_S8_S8_S8_S8_S8_S8_EELb0EEEZNS1_14transform_implILb0ES3_SA_NS6_6detail15normal_iteratorINS6_10device_ptrIS9_EEEEPS9_NS0_8identityIS9_EEEE10hipError_tT2_T3_mT4_P12ihipStream_tbEUlT_E_NS1_11comp_targetILNS1_3genE5ELNS1_11target_archE942ELNS1_3gpuE9ELNS1_3repE0EEENS1_30default_config_static_selectorELNS0_4arch9wavefront6targetE0EEEvT1_,"axG",@progbits,_ZN7rocprim17ROCPRIM_400000_NS6detail17trampoline_kernelINS0_14default_configENS1_25transform_config_selectorIN6thrust23THRUST_200600_302600_NS5tupleIffNS6_9null_typeES8_S8_S8_S8_S8_S8_S8_EELb0EEEZNS1_14transform_implILb0ES3_SA_NS6_6detail15normal_iteratorINS6_10device_ptrIS9_EEEEPS9_NS0_8identityIS9_EEEE10hipError_tT2_T3_mT4_P12ihipStream_tbEUlT_E_NS1_11comp_targetILNS1_3genE5ELNS1_11target_archE942ELNS1_3gpuE9ELNS1_3repE0EEENS1_30default_config_static_selectorELNS0_4arch9wavefront6targetE0EEEvT1_,comdat
.Lfunc_end167:
	.size	_ZN7rocprim17ROCPRIM_400000_NS6detail17trampoline_kernelINS0_14default_configENS1_25transform_config_selectorIN6thrust23THRUST_200600_302600_NS5tupleIffNS6_9null_typeES8_S8_S8_S8_S8_S8_S8_EELb0EEEZNS1_14transform_implILb0ES3_SA_NS6_6detail15normal_iteratorINS6_10device_ptrIS9_EEEEPS9_NS0_8identityIS9_EEEE10hipError_tT2_T3_mT4_P12ihipStream_tbEUlT_E_NS1_11comp_targetILNS1_3genE5ELNS1_11target_archE942ELNS1_3gpuE9ELNS1_3repE0EEENS1_30default_config_static_selectorELNS0_4arch9wavefront6targetE0EEEvT1_, .Lfunc_end167-_ZN7rocprim17ROCPRIM_400000_NS6detail17trampoline_kernelINS0_14default_configENS1_25transform_config_selectorIN6thrust23THRUST_200600_302600_NS5tupleIffNS6_9null_typeES8_S8_S8_S8_S8_S8_S8_EELb0EEEZNS1_14transform_implILb0ES3_SA_NS6_6detail15normal_iteratorINS6_10device_ptrIS9_EEEEPS9_NS0_8identityIS9_EEEE10hipError_tT2_T3_mT4_P12ihipStream_tbEUlT_E_NS1_11comp_targetILNS1_3genE5ELNS1_11target_archE942ELNS1_3gpuE9ELNS1_3repE0EEENS1_30default_config_static_selectorELNS0_4arch9wavefront6targetE0EEEvT1_
                                        ; -- End function
	.set _ZN7rocprim17ROCPRIM_400000_NS6detail17trampoline_kernelINS0_14default_configENS1_25transform_config_selectorIN6thrust23THRUST_200600_302600_NS5tupleIffNS6_9null_typeES8_S8_S8_S8_S8_S8_S8_EELb0EEEZNS1_14transform_implILb0ES3_SA_NS6_6detail15normal_iteratorINS6_10device_ptrIS9_EEEEPS9_NS0_8identityIS9_EEEE10hipError_tT2_T3_mT4_P12ihipStream_tbEUlT_E_NS1_11comp_targetILNS1_3genE5ELNS1_11target_archE942ELNS1_3gpuE9ELNS1_3repE0EEENS1_30default_config_static_selectorELNS0_4arch9wavefront6targetE0EEEvT1_.num_vgpr, 0
	.set _ZN7rocprim17ROCPRIM_400000_NS6detail17trampoline_kernelINS0_14default_configENS1_25transform_config_selectorIN6thrust23THRUST_200600_302600_NS5tupleIffNS6_9null_typeES8_S8_S8_S8_S8_S8_S8_EELb0EEEZNS1_14transform_implILb0ES3_SA_NS6_6detail15normal_iteratorINS6_10device_ptrIS9_EEEEPS9_NS0_8identityIS9_EEEE10hipError_tT2_T3_mT4_P12ihipStream_tbEUlT_E_NS1_11comp_targetILNS1_3genE5ELNS1_11target_archE942ELNS1_3gpuE9ELNS1_3repE0EEENS1_30default_config_static_selectorELNS0_4arch9wavefront6targetE0EEEvT1_.num_agpr, 0
	.set _ZN7rocprim17ROCPRIM_400000_NS6detail17trampoline_kernelINS0_14default_configENS1_25transform_config_selectorIN6thrust23THRUST_200600_302600_NS5tupleIffNS6_9null_typeES8_S8_S8_S8_S8_S8_S8_EELb0EEEZNS1_14transform_implILb0ES3_SA_NS6_6detail15normal_iteratorINS6_10device_ptrIS9_EEEEPS9_NS0_8identityIS9_EEEE10hipError_tT2_T3_mT4_P12ihipStream_tbEUlT_E_NS1_11comp_targetILNS1_3genE5ELNS1_11target_archE942ELNS1_3gpuE9ELNS1_3repE0EEENS1_30default_config_static_selectorELNS0_4arch9wavefront6targetE0EEEvT1_.numbered_sgpr, 0
	.set _ZN7rocprim17ROCPRIM_400000_NS6detail17trampoline_kernelINS0_14default_configENS1_25transform_config_selectorIN6thrust23THRUST_200600_302600_NS5tupleIffNS6_9null_typeES8_S8_S8_S8_S8_S8_S8_EELb0EEEZNS1_14transform_implILb0ES3_SA_NS6_6detail15normal_iteratorINS6_10device_ptrIS9_EEEEPS9_NS0_8identityIS9_EEEE10hipError_tT2_T3_mT4_P12ihipStream_tbEUlT_E_NS1_11comp_targetILNS1_3genE5ELNS1_11target_archE942ELNS1_3gpuE9ELNS1_3repE0EEENS1_30default_config_static_selectorELNS0_4arch9wavefront6targetE0EEEvT1_.num_named_barrier, 0
	.set _ZN7rocprim17ROCPRIM_400000_NS6detail17trampoline_kernelINS0_14default_configENS1_25transform_config_selectorIN6thrust23THRUST_200600_302600_NS5tupleIffNS6_9null_typeES8_S8_S8_S8_S8_S8_S8_EELb0EEEZNS1_14transform_implILb0ES3_SA_NS6_6detail15normal_iteratorINS6_10device_ptrIS9_EEEEPS9_NS0_8identityIS9_EEEE10hipError_tT2_T3_mT4_P12ihipStream_tbEUlT_E_NS1_11comp_targetILNS1_3genE5ELNS1_11target_archE942ELNS1_3gpuE9ELNS1_3repE0EEENS1_30default_config_static_selectorELNS0_4arch9wavefront6targetE0EEEvT1_.private_seg_size, 0
	.set _ZN7rocprim17ROCPRIM_400000_NS6detail17trampoline_kernelINS0_14default_configENS1_25transform_config_selectorIN6thrust23THRUST_200600_302600_NS5tupleIffNS6_9null_typeES8_S8_S8_S8_S8_S8_S8_EELb0EEEZNS1_14transform_implILb0ES3_SA_NS6_6detail15normal_iteratorINS6_10device_ptrIS9_EEEEPS9_NS0_8identityIS9_EEEE10hipError_tT2_T3_mT4_P12ihipStream_tbEUlT_E_NS1_11comp_targetILNS1_3genE5ELNS1_11target_archE942ELNS1_3gpuE9ELNS1_3repE0EEENS1_30default_config_static_selectorELNS0_4arch9wavefront6targetE0EEEvT1_.uses_vcc, 0
	.set _ZN7rocprim17ROCPRIM_400000_NS6detail17trampoline_kernelINS0_14default_configENS1_25transform_config_selectorIN6thrust23THRUST_200600_302600_NS5tupleIffNS6_9null_typeES8_S8_S8_S8_S8_S8_S8_EELb0EEEZNS1_14transform_implILb0ES3_SA_NS6_6detail15normal_iteratorINS6_10device_ptrIS9_EEEEPS9_NS0_8identityIS9_EEEE10hipError_tT2_T3_mT4_P12ihipStream_tbEUlT_E_NS1_11comp_targetILNS1_3genE5ELNS1_11target_archE942ELNS1_3gpuE9ELNS1_3repE0EEENS1_30default_config_static_selectorELNS0_4arch9wavefront6targetE0EEEvT1_.uses_flat_scratch, 0
	.set _ZN7rocprim17ROCPRIM_400000_NS6detail17trampoline_kernelINS0_14default_configENS1_25transform_config_selectorIN6thrust23THRUST_200600_302600_NS5tupleIffNS6_9null_typeES8_S8_S8_S8_S8_S8_S8_EELb0EEEZNS1_14transform_implILb0ES3_SA_NS6_6detail15normal_iteratorINS6_10device_ptrIS9_EEEEPS9_NS0_8identityIS9_EEEE10hipError_tT2_T3_mT4_P12ihipStream_tbEUlT_E_NS1_11comp_targetILNS1_3genE5ELNS1_11target_archE942ELNS1_3gpuE9ELNS1_3repE0EEENS1_30default_config_static_selectorELNS0_4arch9wavefront6targetE0EEEvT1_.has_dyn_sized_stack, 0
	.set _ZN7rocprim17ROCPRIM_400000_NS6detail17trampoline_kernelINS0_14default_configENS1_25transform_config_selectorIN6thrust23THRUST_200600_302600_NS5tupleIffNS6_9null_typeES8_S8_S8_S8_S8_S8_S8_EELb0EEEZNS1_14transform_implILb0ES3_SA_NS6_6detail15normal_iteratorINS6_10device_ptrIS9_EEEEPS9_NS0_8identityIS9_EEEE10hipError_tT2_T3_mT4_P12ihipStream_tbEUlT_E_NS1_11comp_targetILNS1_3genE5ELNS1_11target_archE942ELNS1_3gpuE9ELNS1_3repE0EEENS1_30default_config_static_selectorELNS0_4arch9wavefront6targetE0EEEvT1_.has_recursion, 0
	.set _ZN7rocprim17ROCPRIM_400000_NS6detail17trampoline_kernelINS0_14default_configENS1_25transform_config_selectorIN6thrust23THRUST_200600_302600_NS5tupleIffNS6_9null_typeES8_S8_S8_S8_S8_S8_S8_EELb0EEEZNS1_14transform_implILb0ES3_SA_NS6_6detail15normal_iteratorINS6_10device_ptrIS9_EEEEPS9_NS0_8identityIS9_EEEE10hipError_tT2_T3_mT4_P12ihipStream_tbEUlT_E_NS1_11comp_targetILNS1_3genE5ELNS1_11target_archE942ELNS1_3gpuE9ELNS1_3repE0EEENS1_30default_config_static_selectorELNS0_4arch9wavefront6targetE0EEEvT1_.has_indirect_call, 0
	.section	.AMDGPU.csdata,"",@progbits
; Kernel info:
; codeLenInByte = 0
; TotalNumSgprs: 0
; NumVgprs: 0
; ScratchSize: 0
; MemoryBound: 0
; FloatMode: 240
; IeeeMode: 1
; LDSByteSize: 0 bytes/workgroup (compile time only)
; SGPRBlocks: 0
; VGPRBlocks: 0
; NumSGPRsForWavesPerEU: 1
; NumVGPRsForWavesPerEU: 1
; NamedBarCnt: 0
; Occupancy: 16
; WaveLimiterHint : 0
; COMPUTE_PGM_RSRC2:SCRATCH_EN: 0
; COMPUTE_PGM_RSRC2:USER_SGPR: 2
; COMPUTE_PGM_RSRC2:TRAP_HANDLER: 0
; COMPUTE_PGM_RSRC2:TGID_X_EN: 1
; COMPUTE_PGM_RSRC2:TGID_Y_EN: 0
; COMPUTE_PGM_RSRC2:TGID_Z_EN: 0
; COMPUTE_PGM_RSRC2:TIDIG_COMP_CNT: 0
	.section	.text._ZN7rocprim17ROCPRIM_400000_NS6detail17trampoline_kernelINS0_14default_configENS1_25transform_config_selectorIN6thrust23THRUST_200600_302600_NS5tupleIffNS6_9null_typeES8_S8_S8_S8_S8_S8_S8_EELb0EEEZNS1_14transform_implILb0ES3_SA_NS6_6detail15normal_iteratorINS6_10device_ptrIS9_EEEEPS9_NS0_8identityIS9_EEEE10hipError_tT2_T3_mT4_P12ihipStream_tbEUlT_E_NS1_11comp_targetILNS1_3genE4ELNS1_11target_archE910ELNS1_3gpuE8ELNS1_3repE0EEENS1_30default_config_static_selectorELNS0_4arch9wavefront6targetE0EEEvT1_,"axG",@progbits,_ZN7rocprim17ROCPRIM_400000_NS6detail17trampoline_kernelINS0_14default_configENS1_25transform_config_selectorIN6thrust23THRUST_200600_302600_NS5tupleIffNS6_9null_typeES8_S8_S8_S8_S8_S8_S8_EELb0EEEZNS1_14transform_implILb0ES3_SA_NS6_6detail15normal_iteratorINS6_10device_ptrIS9_EEEEPS9_NS0_8identityIS9_EEEE10hipError_tT2_T3_mT4_P12ihipStream_tbEUlT_E_NS1_11comp_targetILNS1_3genE4ELNS1_11target_archE910ELNS1_3gpuE8ELNS1_3repE0EEENS1_30default_config_static_selectorELNS0_4arch9wavefront6targetE0EEEvT1_,comdat
	.protected	_ZN7rocprim17ROCPRIM_400000_NS6detail17trampoline_kernelINS0_14default_configENS1_25transform_config_selectorIN6thrust23THRUST_200600_302600_NS5tupleIffNS6_9null_typeES8_S8_S8_S8_S8_S8_S8_EELb0EEEZNS1_14transform_implILb0ES3_SA_NS6_6detail15normal_iteratorINS6_10device_ptrIS9_EEEEPS9_NS0_8identityIS9_EEEE10hipError_tT2_T3_mT4_P12ihipStream_tbEUlT_E_NS1_11comp_targetILNS1_3genE4ELNS1_11target_archE910ELNS1_3gpuE8ELNS1_3repE0EEENS1_30default_config_static_selectorELNS0_4arch9wavefront6targetE0EEEvT1_ ; -- Begin function _ZN7rocprim17ROCPRIM_400000_NS6detail17trampoline_kernelINS0_14default_configENS1_25transform_config_selectorIN6thrust23THRUST_200600_302600_NS5tupleIffNS6_9null_typeES8_S8_S8_S8_S8_S8_S8_EELb0EEEZNS1_14transform_implILb0ES3_SA_NS6_6detail15normal_iteratorINS6_10device_ptrIS9_EEEEPS9_NS0_8identityIS9_EEEE10hipError_tT2_T3_mT4_P12ihipStream_tbEUlT_E_NS1_11comp_targetILNS1_3genE4ELNS1_11target_archE910ELNS1_3gpuE8ELNS1_3repE0EEENS1_30default_config_static_selectorELNS0_4arch9wavefront6targetE0EEEvT1_
	.globl	_ZN7rocprim17ROCPRIM_400000_NS6detail17trampoline_kernelINS0_14default_configENS1_25transform_config_selectorIN6thrust23THRUST_200600_302600_NS5tupleIffNS6_9null_typeES8_S8_S8_S8_S8_S8_S8_EELb0EEEZNS1_14transform_implILb0ES3_SA_NS6_6detail15normal_iteratorINS6_10device_ptrIS9_EEEEPS9_NS0_8identityIS9_EEEE10hipError_tT2_T3_mT4_P12ihipStream_tbEUlT_E_NS1_11comp_targetILNS1_3genE4ELNS1_11target_archE910ELNS1_3gpuE8ELNS1_3repE0EEENS1_30default_config_static_selectorELNS0_4arch9wavefront6targetE0EEEvT1_
	.p2align	8
	.type	_ZN7rocprim17ROCPRIM_400000_NS6detail17trampoline_kernelINS0_14default_configENS1_25transform_config_selectorIN6thrust23THRUST_200600_302600_NS5tupleIffNS6_9null_typeES8_S8_S8_S8_S8_S8_S8_EELb0EEEZNS1_14transform_implILb0ES3_SA_NS6_6detail15normal_iteratorINS6_10device_ptrIS9_EEEEPS9_NS0_8identityIS9_EEEE10hipError_tT2_T3_mT4_P12ihipStream_tbEUlT_E_NS1_11comp_targetILNS1_3genE4ELNS1_11target_archE910ELNS1_3gpuE8ELNS1_3repE0EEENS1_30default_config_static_selectorELNS0_4arch9wavefront6targetE0EEEvT1_,@function
_ZN7rocprim17ROCPRIM_400000_NS6detail17trampoline_kernelINS0_14default_configENS1_25transform_config_selectorIN6thrust23THRUST_200600_302600_NS5tupleIffNS6_9null_typeES8_S8_S8_S8_S8_S8_S8_EELb0EEEZNS1_14transform_implILb0ES3_SA_NS6_6detail15normal_iteratorINS6_10device_ptrIS9_EEEEPS9_NS0_8identityIS9_EEEE10hipError_tT2_T3_mT4_P12ihipStream_tbEUlT_E_NS1_11comp_targetILNS1_3genE4ELNS1_11target_archE910ELNS1_3gpuE8ELNS1_3repE0EEENS1_30default_config_static_selectorELNS0_4arch9wavefront6targetE0EEEvT1_: ; @_ZN7rocprim17ROCPRIM_400000_NS6detail17trampoline_kernelINS0_14default_configENS1_25transform_config_selectorIN6thrust23THRUST_200600_302600_NS5tupleIffNS6_9null_typeES8_S8_S8_S8_S8_S8_S8_EELb0EEEZNS1_14transform_implILb0ES3_SA_NS6_6detail15normal_iteratorINS6_10device_ptrIS9_EEEEPS9_NS0_8identityIS9_EEEE10hipError_tT2_T3_mT4_P12ihipStream_tbEUlT_E_NS1_11comp_targetILNS1_3genE4ELNS1_11target_archE910ELNS1_3gpuE8ELNS1_3repE0EEENS1_30default_config_static_selectorELNS0_4arch9wavefront6targetE0EEEvT1_
; %bb.0:
	.section	.rodata,"a",@progbits
	.p2align	6, 0x0
	.amdhsa_kernel _ZN7rocprim17ROCPRIM_400000_NS6detail17trampoline_kernelINS0_14default_configENS1_25transform_config_selectorIN6thrust23THRUST_200600_302600_NS5tupleIffNS6_9null_typeES8_S8_S8_S8_S8_S8_S8_EELb0EEEZNS1_14transform_implILb0ES3_SA_NS6_6detail15normal_iteratorINS6_10device_ptrIS9_EEEEPS9_NS0_8identityIS9_EEEE10hipError_tT2_T3_mT4_P12ihipStream_tbEUlT_E_NS1_11comp_targetILNS1_3genE4ELNS1_11target_archE910ELNS1_3gpuE8ELNS1_3repE0EEENS1_30default_config_static_selectorELNS0_4arch9wavefront6targetE0EEEvT1_
		.amdhsa_group_segment_fixed_size 0
		.amdhsa_private_segment_fixed_size 0
		.amdhsa_kernarg_size 40
		.amdhsa_user_sgpr_count 2
		.amdhsa_user_sgpr_dispatch_ptr 0
		.amdhsa_user_sgpr_queue_ptr 0
		.amdhsa_user_sgpr_kernarg_segment_ptr 1
		.amdhsa_user_sgpr_dispatch_id 0
		.amdhsa_user_sgpr_kernarg_preload_length 0
		.amdhsa_user_sgpr_kernarg_preload_offset 0
		.amdhsa_user_sgpr_private_segment_size 0
		.amdhsa_wavefront_size32 1
		.amdhsa_uses_dynamic_stack 0
		.amdhsa_enable_private_segment 0
		.amdhsa_system_sgpr_workgroup_id_x 1
		.amdhsa_system_sgpr_workgroup_id_y 0
		.amdhsa_system_sgpr_workgroup_id_z 0
		.amdhsa_system_sgpr_workgroup_info 0
		.amdhsa_system_vgpr_workitem_id 0
		.amdhsa_next_free_vgpr 1
		.amdhsa_next_free_sgpr 1
		.amdhsa_named_barrier_count 0
		.amdhsa_reserve_vcc 0
		.amdhsa_float_round_mode_32 0
		.amdhsa_float_round_mode_16_64 0
		.amdhsa_float_denorm_mode_32 3
		.amdhsa_float_denorm_mode_16_64 3
		.amdhsa_fp16_overflow 0
		.amdhsa_memory_ordered 1
		.amdhsa_forward_progress 1
		.amdhsa_inst_pref_size 0
		.amdhsa_round_robin_scheduling 0
		.amdhsa_exception_fp_ieee_invalid_op 0
		.amdhsa_exception_fp_denorm_src 0
		.amdhsa_exception_fp_ieee_div_zero 0
		.amdhsa_exception_fp_ieee_overflow 0
		.amdhsa_exception_fp_ieee_underflow 0
		.amdhsa_exception_fp_ieee_inexact 0
		.amdhsa_exception_int_div_zero 0
	.end_amdhsa_kernel
	.section	.text._ZN7rocprim17ROCPRIM_400000_NS6detail17trampoline_kernelINS0_14default_configENS1_25transform_config_selectorIN6thrust23THRUST_200600_302600_NS5tupleIffNS6_9null_typeES8_S8_S8_S8_S8_S8_S8_EELb0EEEZNS1_14transform_implILb0ES3_SA_NS6_6detail15normal_iteratorINS6_10device_ptrIS9_EEEEPS9_NS0_8identityIS9_EEEE10hipError_tT2_T3_mT4_P12ihipStream_tbEUlT_E_NS1_11comp_targetILNS1_3genE4ELNS1_11target_archE910ELNS1_3gpuE8ELNS1_3repE0EEENS1_30default_config_static_selectorELNS0_4arch9wavefront6targetE0EEEvT1_,"axG",@progbits,_ZN7rocprim17ROCPRIM_400000_NS6detail17trampoline_kernelINS0_14default_configENS1_25transform_config_selectorIN6thrust23THRUST_200600_302600_NS5tupleIffNS6_9null_typeES8_S8_S8_S8_S8_S8_S8_EELb0EEEZNS1_14transform_implILb0ES3_SA_NS6_6detail15normal_iteratorINS6_10device_ptrIS9_EEEEPS9_NS0_8identityIS9_EEEE10hipError_tT2_T3_mT4_P12ihipStream_tbEUlT_E_NS1_11comp_targetILNS1_3genE4ELNS1_11target_archE910ELNS1_3gpuE8ELNS1_3repE0EEENS1_30default_config_static_selectorELNS0_4arch9wavefront6targetE0EEEvT1_,comdat
.Lfunc_end168:
	.size	_ZN7rocprim17ROCPRIM_400000_NS6detail17trampoline_kernelINS0_14default_configENS1_25transform_config_selectorIN6thrust23THRUST_200600_302600_NS5tupleIffNS6_9null_typeES8_S8_S8_S8_S8_S8_S8_EELb0EEEZNS1_14transform_implILb0ES3_SA_NS6_6detail15normal_iteratorINS6_10device_ptrIS9_EEEEPS9_NS0_8identityIS9_EEEE10hipError_tT2_T3_mT4_P12ihipStream_tbEUlT_E_NS1_11comp_targetILNS1_3genE4ELNS1_11target_archE910ELNS1_3gpuE8ELNS1_3repE0EEENS1_30default_config_static_selectorELNS0_4arch9wavefront6targetE0EEEvT1_, .Lfunc_end168-_ZN7rocprim17ROCPRIM_400000_NS6detail17trampoline_kernelINS0_14default_configENS1_25transform_config_selectorIN6thrust23THRUST_200600_302600_NS5tupleIffNS6_9null_typeES8_S8_S8_S8_S8_S8_S8_EELb0EEEZNS1_14transform_implILb0ES3_SA_NS6_6detail15normal_iteratorINS6_10device_ptrIS9_EEEEPS9_NS0_8identityIS9_EEEE10hipError_tT2_T3_mT4_P12ihipStream_tbEUlT_E_NS1_11comp_targetILNS1_3genE4ELNS1_11target_archE910ELNS1_3gpuE8ELNS1_3repE0EEENS1_30default_config_static_selectorELNS0_4arch9wavefront6targetE0EEEvT1_
                                        ; -- End function
	.set _ZN7rocprim17ROCPRIM_400000_NS6detail17trampoline_kernelINS0_14default_configENS1_25transform_config_selectorIN6thrust23THRUST_200600_302600_NS5tupleIffNS6_9null_typeES8_S8_S8_S8_S8_S8_S8_EELb0EEEZNS1_14transform_implILb0ES3_SA_NS6_6detail15normal_iteratorINS6_10device_ptrIS9_EEEEPS9_NS0_8identityIS9_EEEE10hipError_tT2_T3_mT4_P12ihipStream_tbEUlT_E_NS1_11comp_targetILNS1_3genE4ELNS1_11target_archE910ELNS1_3gpuE8ELNS1_3repE0EEENS1_30default_config_static_selectorELNS0_4arch9wavefront6targetE0EEEvT1_.num_vgpr, 0
	.set _ZN7rocprim17ROCPRIM_400000_NS6detail17trampoline_kernelINS0_14default_configENS1_25transform_config_selectorIN6thrust23THRUST_200600_302600_NS5tupleIffNS6_9null_typeES8_S8_S8_S8_S8_S8_S8_EELb0EEEZNS1_14transform_implILb0ES3_SA_NS6_6detail15normal_iteratorINS6_10device_ptrIS9_EEEEPS9_NS0_8identityIS9_EEEE10hipError_tT2_T3_mT4_P12ihipStream_tbEUlT_E_NS1_11comp_targetILNS1_3genE4ELNS1_11target_archE910ELNS1_3gpuE8ELNS1_3repE0EEENS1_30default_config_static_selectorELNS0_4arch9wavefront6targetE0EEEvT1_.num_agpr, 0
	.set _ZN7rocprim17ROCPRIM_400000_NS6detail17trampoline_kernelINS0_14default_configENS1_25transform_config_selectorIN6thrust23THRUST_200600_302600_NS5tupleIffNS6_9null_typeES8_S8_S8_S8_S8_S8_S8_EELb0EEEZNS1_14transform_implILb0ES3_SA_NS6_6detail15normal_iteratorINS6_10device_ptrIS9_EEEEPS9_NS0_8identityIS9_EEEE10hipError_tT2_T3_mT4_P12ihipStream_tbEUlT_E_NS1_11comp_targetILNS1_3genE4ELNS1_11target_archE910ELNS1_3gpuE8ELNS1_3repE0EEENS1_30default_config_static_selectorELNS0_4arch9wavefront6targetE0EEEvT1_.numbered_sgpr, 0
	.set _ZN7rocprim17ROCPRIM_400000_NS6detail17trampoline_kernelINS0_14default_configENS1_25transform_config_selectorIN6thrust23THRUST_200600_302600_NS5tupleIffNS6_9null_typeES8_S8_S8_S8_S8_S8_S8_EELb0EEEZNS1_14transform_implILb0ES3_SA_NS6_6detail15normal_iteratorINS6_10device_ptrIS9_EEEEPS9_NS0_8identityIS9_EEEE10hipError_tT2_T3_mT4_P12ihipStream_tbEUlT_E_NS1_11comp_targetILNS1_3genE4ELNS1_11target_archE910ELNS1_3gpuE8ELNS1_3repE0EEENS1_30default_config_static_selectorELNS0_4arch9wavefront6targetE0EEEvT1_.num_named_barrier, 0
	.set _ZN7rocprim17ROCPRIM_400000_NS6detail17trampoline_kernelINS0_14default_configENS1_25transform_config_selectorIN6thrust23THRUST_200600_302600_NS5tupleIffNS6_9null_typeES8_S8_S8_S8_S8_S8_S8_EELb0EEEZNS1_14transform_implILb0ES3_SA_NS6_6detail15normal_iteratorINS6_10device_ptrIS9_EEEEPS9_NS0_8identityIS9_EEEE10hipError_tT2_T3_mT4_P12ihipStream_tbEUlT_E_NS1_11comp_targetILNS1_3genE4ELNS1_11target_archE910ELNS1_3gpuE8ELNS1_3repE0EEENS1_30default_config_static_selectorELNS0_4arch9wavefront6targetE0EEEvT1_.private_seg_size, 0
	.set _ZN7rocprim17ROCPRIM_400000_NS6detail17trampoline_kernelINS0_14default_configENS1_25transform_config_selectorIN6thrust23THRUST_200600_302600_NS5tupleIffNS6_9null_typeES8_S8_S8_S8_S8_S8_S8_EELb0EEEZNS1_14transform_implILb0ES3_SA_NS6_6detail15normal_iteratorINS6_10device_ptrIS9_EEEEPS9_NS0_8identityIS9_EEEE10hipError_tT2_T3_mT4_P12ihipStream_tbEUlT_E_NS1_11comp_targetILNS1_3genE4ELNS1_11target_archE910ELNS1_3gpuE8ELNS1_3repE0EEENS1_30default_config_static_selectorELNS0_4arch9wavefront6targetE0EEEvT1_.uses_vcc, 0
	.set _ZN7rocprim17ROCPRIM_400000_NS6detail17trampoline_kernelINS0_14default_configENS1_25transform_config_selectorIN6thrust23THRUST_200600_302600_NS5tupleIffNS6_9null_typeES8_S8_S8_S8_S8_S8_S8_EELb0EEEZNS1_14transform_implILb0ES3_SA_NS6_6detail15normal_iteratorINS6_10device_ptrIS9_EEEEPS9_NS0_8identityIS9_EEEE10hipError_tT2_T3_mT4_P12ihipStream_tbEUlT_E_NS1_11comp_targetILNS1_3genE4ELNS1_11target_archE910ELNS1_3gpuE8ELNS1_3repE0EEENS1_30default_config_static_selectorELNS0_4arch9wavefront6targetE0EEEvT1_.uses_flat_scratch, 0
	.set _ZN7rocprim17ROCPRIM_400000_NS6detail17trampoline_kernelINS0_14default_configENS1_25transform_config_selectorIN6thrust23THRUST_200600_302600_NS5tupleIffNS6_9null_typeES8_S8_S8_S8_S8_S8_S8_EELb0EEEZNS1_14transform_implILb0ES3_SA_NS6_6detail15normal_iteratorINS6_10device_ptrIS9_EEEEPS9_NS0_8identityIS9_EEEE10hipError_tT2_T3_mT4_P12ihipStream_tbEUlT_E_NS1_11comp_targetILNS1_3genE4ELNS1_11target_archE910ELNS1_3gpuE8ELNS1_3repE0EEENS1_30default_config_static_selectorELNS0_4arch9wavefront6targetE0EEEvT1_.has_dyn_sized_stack, 0
	.set _ZN7rocprim17ROCPRIM_400000_NS6detail17trampoline_kernelINS0_14default_configENS1_25transform_config_selectorIN6thrust23THRUST_200600_302600_NS5tupleIffNS6_9null_typeES8_S8_S8_S8_S8_S8_S8_EELb0EEEZNS1_14transform_implILb0ES3_SA_NS6_6detail15normal_iteratorINS6_10device_ptrIS9_EEEEPS9_NS0_8identityIS9_EEEE10hipError_tT2_T3_mT4_P12ihipStream_tbEUlT_E_NS1_11comp_targetILNS1_3genE4ELNS1_11target_archE910ELNS1_3gpuE8ELNS1_3repE0EEENS1_30default_config_static_selectorELNS0_4arch9wavefront6targetE0EEEvT1_.has_recursion, 0
	.set _ZN7rocprim17ROCPRIM_400000_NS6detail17trampoline_kernelINS0_14default_configENS1_25transform_config_selectorIN6thrust23THRUST_200600_302600_NS5tupleIffNS6_9null_typeES8_S8_S8_S8_S8_S8_S8_EELb0EEEZNS1_14transform_implILb0ES3_SA_NS6_6detail15normal_iteratorINS6_10device_ptrIS9_EEEEPS9_NS0_8identityIS9_EEEE10hipError_tT2_T3_mT4_P12ihipStream_tbEUlT_E_NS1_11comp_targetILNS1_3genE4ELNS1_11target_archE910ELNS1_3gpuE8ELNS1_3repE0EEENS1_30default_config_static_selectorELNS0_4arch9wavefront6targetE0EEEvT1_.has_indirect_call, 0
	.section	.AMDGPU.csdata,"",@progbits
; Kernel info:
; codeLenInByte = 0
; TotalNumSgprs: 0
; NumVgprs: 0
; ScratchSize: 0
; MemoryBound: 0
; FloatMode: 240
; IeeeMode: 1
; LDSByteSize: 0 bytes/workgroup (compile time only)
; SGPRBlocks: 0
; VGPRBlocks: 0
; NumSGPRsForWavesPerEU: 1
; NumVGPRsForWavesPerEU: 1
; NamedBarCnt: 0
; Occupancy: 16
; WaveLimiterHint : 0
; COMPUTE_PGM_RSRC2:SCRATCH_EN: 0
; COMPUTE_PGM_RSRC2:USER_SGPR: 2
; COMPUTE_PGM_RSRC2:TRAP_HANDLER: 0
; COMPUTE_PGM_RSRC2:TGID_X_EN: 1
; COMPUTE_PGM_RSRC2:TGID_Y_EN: 0
; COMPUTE_PGM_RSRC2:TGID_Z_EN: 0
; COMPUTE_PGM_RSRC2:TIDIG_COMP_CNT: 0
	.section	.text._ZN7rocprim17ROCPRIM_400000_NS6detail17trampoline_kernelINS0_14default_configENS1_25transform_config_selectorIN6thrust23THRUST_200600_302600_NS5tupleIffNS6_9null_typeES8_S8_S8_S8_S8_S8_S8_EELb0EEEZNS1_14transform_implILb0ES3_SA_NS6_6detail15normal_iteratorINS6_10device_ptrIS9_EEEEPS9_NS0_8identityIS9_EEEE10hipError_tT2_T3_mT4_P12ihipStream_tbEUlT_E_NS1_11comp_targetILNS1_3genE3ELNS1_11target_archE908ELNS1_3gpuE7ELNS1_3repE0EEENS1_30default_config_static_selectorELNS0_4arch9wavefront6targetE0EEEvT1_,"axG",@progbits,_ZN7rocprim17ROCPRIM_400000_NS6detail17trampoline_kernelINS0_14default_configENS1_25transform_config_selectorIN6thrust23THRUST_200600_302600_NS5tupleIffNS6_9null_typeES8_S8_S8_S8_S8_S8_S8_EELb0EEEZNS1_14transform_implILb0ES3_SA_NS6_6detail15normal_iteratorINS6_10device_ptrIS9_EEEEPS9_NS0_8identityIS9_EEEE10hipError_tT2_T3_mT4_P12ihipStream_tbEUlT_E_NS1_11comp_targetILNS1_3genE3ELNS1_11target_archE908ELNS1_3gpuE7ELNS1_3repE0EEENS1_30default_config_static_selectorELNS0_4arch9wavefront6targetE0EEEvT1_,comdat
	.protected	_ZN7rocprim17ROCPRIM_400000_NS6detail17trampoline_kernelINS0_14default_configENS1_25transform_config_selectorIN6thrust23THRUST_200600_302600_NS5tupleIffNS6_9null_typeES8_S8_S8_S8_S8_S8_S8_EELb0EEEZNS1_14transform_implILb0ES3_SA_NS6_6detail15normal_iteratorINS6_10device_ptrIS9_EEEEPS9_NS0_8identityIS9_EEEE10hipError_tT2_T3_mT4_P12ihipStream_tbEUlT_E_NS1_11comp_targetILNS1_3genE3ELNS1_11target_archE908ELNS1_3gpuE7ELNS1_3repE0EEENS1_30default_config_static_selectorELNS0_4arch9wavefront6targetE0EEEvT1_ ; -- Begin function _ZN7rocprim17ROCPRIM_400000_NS6detail17trampoline_kernelINS0_14default_configENS1_25transform_config_selectorIN6thrust23THRUST_200600_302600_NS5tupleIffNS6_9null_typeES8_S8_S8_S8_S8_S8_S8_EELb0EEEZNS1_14transform_implILb0ES3_SA_NS6_6detail15normal_iteratorINS6_10device_ptrIS9_EEEEPS9_NS0_8identityIS9_EEEE10hipError_tT2_T3_mT4_P12ihipStream_tbEUlT_E_NS1_11comp_targetILNS1_3genE3ELNS1_11target_archE908ELNS1_3gpuE7ELNS1_3repE0EEENS1_30default_config_static_selectorELNS0_4arch9wavefront6targetE0EEEvT1_
	.globl	_ZN7rocprim17ROCPRIM_400000_NS6detail17trampoline_kernelINS0_14default_configENS1_25transform_config_selectorIN6thrust23THRUST_200600_302600_NS5tupleIffNS6_9null_typeES8_S8_S8_S8_S8_S8_S8_EELb0EEEZNS1_14transform_implILb0ES3_SA_NS6_6detail15normal_iteratorINS6_10device_ptrIS9_EEEEPS9_NS0_8identityIS9_EEEE10hipError_tT2_T3_mT4_P12ihipStream_tbEUlT_E_NS1_11comp_targetILNS1_3genE3ELNS1_11target_archE908ELNS1_3gpuE7ELNS1_3repE0EEENS1_30default_config_static_selectorELNS0_4arch9wavefront6targetE0EEEvT1_
	.p2align	8
	.type	_ZN7rocprim17ROCPRIM_400000_NS6detail17trampoline_kernelINS0_14default_configENS1_25transform_config_selectorIN6thrust23THRUST_200600_302600_NS5tupleIffNS6_9null_typeES8_S8_S8_S8_S8_S8_S8_EELb0EEEZNS1_14transform_implILb0ES3_SA_NS6_6detail15normal_iteratorINS6_10device_ptrIS9_EEEEPS9_NS0_8identityIS9_EEEE10hipError_tT2_T3_mT4_P12ihipStream_tbEUlT_E_NS1_11comp_targetILNS1_3genE3ELNS1_11target_archE908ELNS1_3gpuE7ELNS1_3repE0EEENS1_30default_config_static_selectorELNS0_4arch9wavefront6targetE0EEEvT1_,@function
_ZN7rocprim17ROCPRIM_400000_NS6detail17trampoline_kernelINS0_14default_configENS1_25transform_config_selectorIN6thrust23THRUST_200600_302600_NS5tupleIffNS6_9null_typeES8_S8_S8_S8_S8_S8_S8_EELb0EEEZNS1_14transform_implILb0ES3_SA_NS6_6detail15normal_iteratorINS6_10device_ptrIS9_EEEEPS9_NS0_8identityIS9_EEEE10hipError_tT2_T3_mT4_P12ihipStream_tbEUlT_E_NS1_11comp_targetILNS1_3genE3ELNS1_11target_archE908ELNS1_3gpuE7ELNS1_3repE0EEENS1_30default_config_static_selectorELNS0_4arch9wavefront6targetE0EEEvT1_: ; @_ZN7rocprim17ROCPRIM_400000_NS6detail17trampoline_kernelINS0_14default_configENS1_25transform_config_selectorIN6thrust23THRUST_200600_302600_NS5tupleIffNS6_9null_typeES8_S8_S8_S8_S8_S8_S8_EELb0EEEZNS1_14transform_implILb0ES3_SA_NS6_6detail15normal_iteratorINS6_10device_ptrIS9_EEEEPS9_NS0_8identityIS9_EEEE10hipError_tT2_T3_mT4_P12ihipStream_tbEUlT_E_NS1_11comp_targetILNS1_3genE3ELNS1_11target_archE908ELNS1_3gpuE7ELNS1_3repE0EEENS1_30default_config_static_selectorELNS0_4arch9wavefront6targetE0EEEvT1_
; %bb.0:
	.section	.rodata,"a",@progbits
	.p2align	6, 0x0
	.amdhsa_kernel _ZN7rocprim17ROCPRIM_400000_NS6detail17trampoline_kernelINS0_14default_configENS1_25transform_config_selectorIN6thrust23THRUST_200600_302600_NS5tupleIffNS6_9null_typeES8_S8_S8_S8_S8_S8_S8_EELb0EEEZNS1_14transform_implILb0ES3_SA_NS6_6detail15normal_iteratorINS6_10device_ptrIS9_EEEEPS9_NS0_8identityIS9_EEEE10hipError_tT2_T3_mT4_P12ihipStream_tbEUlT_E_NS1_11comp_targetILNS1_3genE3ELNS1_11target_archE908ELNS1_3gpuE7ELNS1_3repE0EEENS1_30default_config_static_selectorELNS0_4arch9wavefront6targetE0EEEvT1_
		.amdhsa_group_segment_fixed_size 0
		.amdhsa_private_segment_fixed_size 0
		.amdhsa_kernarg_size 40
		.amdhsa_user_sgpr_count 2
		.amdhsa_user_sgpr_dispatch_ptr 0
		.amdhsa_user_sgpr_queue_ptr 0
		.amdhsa_user_sgpr_kernarg_segment_ptr 1
		.amdhsa_user_sgpr_dispatch_id 0
		.amdhsa_user_sgpr_kernarg_preload_length 0
		.amdhsa_user_sgpr_kernarg_preload_offset 0
		.amdhsa_user_sgpr_private_segment_size 0
		.amdhsa_wavefront_size32 1
		.amdhsa_uses_dynamic_stack 0
		.amdhsa_enable_private_segment 0
		.amdhsa_system_sgpr_workgroup_id_x 1
		.amdhsa_system_sgpr_workgroup_id_y 0
		.amdhsa_system_sgpr_workgroup_id_z 0
		.amdhsa_system_sgpr_workgroup_info 0
		.amdhsa_system_vgpr_workitem_id 0
		.amdhsa_next_free_vgpr 1
		.amdhsa_next_free_sgpr 1
		.amdhsa_named_barrier_count 0
		.amdhsa_reserve_vcc 0
		.amdhsa_float_round_mode_32 0
		.amdhsa_float_round_mode_16_64 0
		.amdhsa_float_denorm_mode_32 3
		.amdhsa_float_denorm_mode_16_64 3
		.amdhsa_fp16_overflow 0
		.amdhsa_memory_ordered 1
		.amdhsa_forward_progress 1
		.amdhsa_inst_pref_size 0
		.amdhsa_round_robin_scheduling 0
		.amdhsa_exception_fp_ieee_invalid_op 0
		.amdhsa_exception_fp_denorm_src 0
		.amdhsa_exception_fp_ieee_div_zero 0
		.amdhsa_exception_fp_ieee_overflow 0
		.amdhsa_exception_fp_ieee_underflow 0
		.amdhsa_exception_fp_ieee_inexact 0
		.amdhsa_exception_int_div_zero 0
	.end_amdhsa_kernel
	.section	.text._ZN7rocprim17ROCPRIM_400000_NS6detail17trampoline_kernelINS0_14default_configENS1_25transform_config_selectorIN6thrust23THRUST_200600_302600_NS5tupleIffNS6_9null_typeES8_S8_S8_S8_S8_S8_S8_EELb0EEEZNS1_14transform_implILb0ES3_SA_NS6_6detail15normal_iteratorINS6_10device_ptrIS9_EEEEPS9_NS0_8identityIS9_EEEE10hipError_tT2_T3_mT4_P12ihipStream_tbEUlT_E_NS1_11comp_targetILNS1_3genE3ELNS1_11target_archE908ELNS1_3gpuE7ELNS1_3repE0EEENS1_30default_config_static_selectorELNS0_4arch9wavefront6targetE0EEEvT1_,"axG",@progbits,_ZN7rocprim17ROCPRIM_400000_NS6detail17trampoline_kernelINS0_14default_configENS1_25transform_config_selectorIN6thrust23THRUST_200600_302600_NS5tupleIffNS6_9null_typeES8_S8_S8_S8_S8_S8_S8_EELb0EEEZNS1_14transform_implILb0ES3_SA_NS6_6detail15normal_iteratorINS6_10device_ptrIS9_EEEEPS9_NS0_8identityIS9_EEEE10hipError_tT2_T3_mT4_P12ihipStream_tbEUlT_E_NS1_11comp_targetILNS1_3genE3ELNS1_11target_archE908ELNS1_3gpuE7ELNS1_3repE0EEENS1_30default_config_static_selectorELNS0_4arch9wavefront6targetE0EEEvT1_,comdat
.Lfunc_end169:
	.size	_ZN7rocprim17ROCPRIM_400000_NS6detail17trampoline_kernelINS0_14default_configENS1_25transform_config_selectorIN6thrust23THRUST_200600_302600_NS5tupleIffNS6_9null_typeES8_S8_S8_S8_S8_S8_S8_EELb0EEEZNS1_14transform_implILb0ES3_SA_NS6_6detail15normal_iteratorINS6_10device_ptrIS9_EEEEPS9_NS0_8identityIS9_EEEE10hipError_tT2_T3_mT4_P12ihipStream_tbEUlT_E_NS1_11comp_targetILNS1_3genE3ELNS1_11target_archE908ELNS1_3gpuE7ELNS1_3repE0EEENS1_30default_config_static_selectorELNS0_4arch9wavefront6targetE0EEEvT1_, .Lfunc_end169-_ZN7rocprim17ROCPRIM_400000_NS6detail17trampoline_kernelINS0_14default_configENS1_25transform_config_selectorIN6thrust23THRUST_200600_302600_NS5tupleIffNS6_9null_typeES8_S8_S8_S8_S8_S8_S8_EELb0EEEZNS1_14transform_implILb0ES3_SA_NS6_6detail15normal_iteratorINS6_10device_ptrIS9_EEEEPS9_NS0_8identityIS9_EEEE10hipError_tT2_T3_mT4_P12ihipStream_tbEUlT_E_NS1_11comp_targetILNS1_3genE3ELNS1_11target_archE908ELNS1_3gpuE7ELNS1_3repE0EEENS1_30default_config_static_selectorELNS0_4arch9wavefront6targetE0EEEvT1_
                                        ; -- End function
	.set _ZN7rocprim17ROCPRIM_400000_NS6detail17trampoline_kernelINS0_14default_configENS1_25transform_config_selectorIN6thrust23THRUST_200600_302600_NS5tupleIffNS6_9null_typeES8_S8_S8_S8_S8_S8_S8_EELb0EEEZNS1_14transform_implILb0ES3_SA_NS6_6detail15normal_iteratorINS6_10device_ptrIS9_EEEEPS9_NS0_8identityIS9_EEEE10hipError_tT2_T3_mT4_P12ihipStream_tbEUlT_E_NS1_11comp_targetILNS1_3genE3ELNS1_11target_archE908ELNS1_3gpuE7ELNS1_3repE0EEENS1_30default_config_static_selectorELNS0_4arch9wavefront6targetE0EEEvT1_.num_vgpr, 0
	.set _ZN7rocprim17ROCPRIM_400000_NS6detail17trampoline_kernelINS0_14default_configENS1_25transform_config_selectorIN6thrust23THRUST_200600_302600_NS5tupleIffNS6_9null_typeES8_S8_S8_S8_S8_S8_S8_EELb0EEEZNS1_14transform_implILb0ES3_SA_NS6_6detail15normal_iteratorINS6_10device_ptrIS9_EEEEPS9_NS0_8identityIS9_EEEE10hipError_tT2_T3_mT4_P12ihipStream_tbEUlT_E_NS1_11comp_targetILNS1_3genE3ELNS1_11target_archE908ELNS1_3gpuE7ELNS1_3repE0EEENS1_30default_config_static_selectorELNS0_4arch9wavefront6targetE0EEEvT1_.num_agpr, 0
	.set _ZN7rocprim17ROCPRIM_400000_NS6detail17trampoline_kernelINS0_14default_configENS1_25transform_config_selectorIN6thrust23THRUST_200600_302600_NS5tupleIffNS6_9null_typeES8_S8_S8_S8_S8_S8_S8_EELb0EEEZNS1_14transform_implILb0ES3_SA_NS6_6detail15normal_iteratorINS6_10device_ptrIS9_EEEEPS9_NS0_8identityIS9_EEEE10hipError_tT2_T3_mT4_P12ihipStream_tbEUlT_E_NS1_11comp_targetILNS1_3genE3ELNS1_11target_archE908ELNS1_3gpuE7ELNS1_3repE0EEENS1_30default_config_static_selectorELNS0_4arch9wavefront6targetE0EEEvT1_.numbered_sgpr, 0
	.set _ZN7rocprim17ROCPRIM_400000_NS6detail17trampoline_kernelINS0_14default_configENS1_25transform_config_selectorIN6thrust23THRUST_200600_302600_NS5tupleIffNS6_9null_typeES8_S8_S8_S8_S8_S8_S8_EELb0EEEZNS1_14transform_implILb0ES3_SA_NS6_6detail15normal_iteratorINS6_10device_ptrIS9_EEEEPS9_NS0_8identityIS9_EEEE10hipError_tT2_T3_mT4_P12ihipStream_tbEUlT_E_NS1_11comp_targetILNS1_3genE3ELNS1_11target_archE908ELNS1_3gpuE7ELNS1_3repE0EEENS1_30default_config_static_selectorELNS0_4arch9wavefront6targetE0EEEvT1_.num_named_barrier, 0
	.set _ZN7rocprim17ROCPRIM_400000_NS6detail17trampoline_kernelINS0_14default_configENS1_25transform_config_selectorIN6thrust23THRUST_200600_302600_NS5tupleIffNS6_9null_typeES8_S8_S8_S8_S8_S8_S8_EELb0EEEZNS1_14transform_implILb0ES3_SA_NS6_6detail15normal_iteratorINS6_10device_ptrIS9_EEEEPS9_NS0_8identityIS9_EEEE10hipError_tT2_T3_mT4_P12ihipStream_tbEUlT_E_NS1_11comp_targetILNS1_3genE3ELNS1_11target_archE908ELNS1_3gpuE7ELNS1_3repE0EEENS1_30default_config_static_selectorELNS0_4arch9wavefront6targetE0EEEvT1_.private_seg_size, 0
	.set _ZN7rocprim17ROCPRIM_400000_NS6detail17trampoline_kernelINS0_14default_configENS1_25transform_config_selectorIN6thrust23THRUST_200600_302600_NS5tupleIffNS6_9null_typeES8_S8_S8_S8_S8_S8_S8_EELb0EEEZNS1_14transform_implILb0ES3_SA_NS6_6detail15normal_iteratorINS6_10device_ptrIS9_EEEEPS9_NS0_8identityIS9_EEEE10hipError_tT2_T3_mT4_P12ihipStream_tbEUlT_E_NS1_11comp_targetILNS1_3genE3ELNS1_11target_archE908ELNS1_3gpuE7ELNS1_3repE0EEENS1_30default_config_static_selectorELNS0_4arch9wavefront6targetE0EEEvT1_.uses_vcc, 0
	.set _ZN7rocprim17ROCPRIM_400000_NS6detail17trampoline_kernelINS0_14default_configENS1_25transform_config_selectorIN6thrust23THRUST_200600_302600_NS5tupleIffNS6_9null_typeES8_S8_S8_S8_S8_S8_S8_EELb0EEEZNS1_14transform_implILb0ES3_SA_NS6_6detail15normal_iteratorINS6_10device_ptrIS9_EEEEPS9_NS0_8identityIS9_EEEE10hipError_tT2_T3_mT4_P12ihipStream_tbEUlT_E_NS1_11comp_targetILNS1_3genE3ELNS1_11target_archE908ELNS1_3gpuE7ELNS1_3repE0EEENS1_30default_config_static_selectorELNS0_4arch9wavefront6targetE0EEEvT1_.uses_flat_scratch, 0
	.set _ZN7rocprim17ROCPRIM_400000_NS6detail17trampoline_kernelINS0_14default_configENS1_25transform_config_selectorIN6thrust23THRUST_200600_302600_NS5tupleIffNS6_9null_typeES8_S8_S8_S8_S8_S8_S8_EELb0EEEZNS1_14transform_implILb0ES3_SA_NS6_6detail15normal_iteratorINS6_10device_ptrIS9_EEEEPS9_NS0_8identityIS9_EEEE10hipError_tT2_T3_mT4_P12ihipStream_tbEUlT_E_NS1_11comp_targetILNS1_3genE3ELNS1_11target_archE908ELNS1_3gpuE7ELNS1_3repE0EEENS1_30default_config_static_selectorELNS0_4arch9wavefront6targetE0EEEvT1_.has_dyn_sized_stack, 0
	.set _ZN7rocprim17ROCPRIM_400000_NS6detail17trampoline_kernelINS0_14default_configENS1_25transform_config_selectorIN6thrust23THRUST_200600_302600_NS5tupleIffNS6_9null_typeES8_S8_S8_S8_S8_S8_S8_EELb0EEEZNS1_14transform_implILb0ES3_SA_NS6_6detail15normal_iteratorINS6_10device_ptrIS9_EEEEPS9_NS0_8identityIS9_EEEE10hipError_tT2_T3_mT4_P12ihipStream_tbEUlT_E_NS1_11comp_targetILNS1_3genE3ELNS1_11target_archE908ELNS1_3gpuE7ELNS1_3repE0EEENS1_30default_config_static_selectorELNS0_4arch9wavefront6targetE0EEEvT1_.has_recursion, 0
	.set _ZN7rocprim17ROCPRIM_400000_NS6detail17trampoline_kernelINS0_14default_configENS1_25transform_config_selectorIN6thrust23THRUST_200600_302600_NS5tupleIffNS6_9null_typeES8_S8_S8_S8_S8_S8_S8_EELb0EEEZNS1_14transform_implILb0ES3_SA_NS6_6detail15normal_iteratorINS6_10device_ptrIS9_EEEEPS9_NS0_8identityIS9_EEEE10hipError_tT2_T3_mT4_P12ihipStream_tbEUlT_E_NS1_11comp_targetILNS1_3genE3ELNS1_11target_archE908ELNS1_3gpuE7ELNS1_3repE0EEENS1_30default_config_static_selectorELNS0_4arch9wavefront6targetE0EEEvT1_.has_indirect_call, 0
	.section	.AMDGPU.csdata,"",@progbits
; Kernel info:
; codeLenInByte = 0
; TotalNumSgprs: 0
; NumVgprs: 0
; ScratchSize: 0
; MemoryBound: 0
; FloatMode: 240
; IeeeMode: 1
; LDSByteSize: 0 bytes/workgroup (compile time only)
; SGPRBlocks: 0
; VGPRBlocks: 0
; NumSGPRsForWavesPerEU: 1
; NumVGPRsForWavesPerEU: 1
; NamedBarCnt: 0
; Occupancy: 16
; WaveLimiterHint : 0
; COMPUTE_PGM_RSRC2:SCRATCH_EN: 0
; COMPUTE_PGM_RSRC2:USER_SGPR: 2
; COMPUTE_PGM_RSRC2:TRAP_HANDLER: 0
; COMPUTE_PGM_RSRC2:TGID_X_EN: 1
; COMPUTE_PGM_RSRC2:TGID_Y_EN: 0
; COMPUTE_PGM_RSRC2:TGID_Z_EN: 0
; COMPUTE_PGM_RSRC2:TIDIG_COMP_CNT: 0
	.section	.text._ZN7rocprim17ROCPRIM_400000_NS6detail17trampoline_kernelINS0_14default_configENS1_25transform_config_selectorIN6thrust23THRUST_200600_302600_NS5tupleIffNS6_9null_typeES8_S8_S8_S8_S8_S8_S8_EELb0EEEZNS1_14transform_implILb0ES3_SA_NS6_6detail15normal_iteratorINS6_10device_ptrIS9_EEEEPS9_NS0_8identityIS9_EEEE10hipError_tT2_T3_mT4_P12ihipStream_tbEUlT_E_NS1_11comp_targetILNS1_3genE2ELNS1_11target_archE906ELNS1_3gpuE6ELNS1_3repE0EEENS1_30default_config_static_selectorELNS0_4arch9wavefront6targetE0EEEvT1_,"axG",@progbits,_ZN7rocprim17ROCPRIM_400000_NS6detail17trampoline_kernelINS0_14default_configENS1_25transform_config_selectorIN6thrust23THRUST_200600_302600_NS5tupleIffNS6_9null_typeES8_S8_S8_S8_S8_S8_S8_EELb0EEEZNS1_14transform_implILb0ES3_SA_NS6_6detail15normal_iteratorINS6_10device_ptrIS9_EEEEPS9_NS0_8identityIS9_EEEE10hipError_tT2_T3_mT4_P12ihipStream_tbEUlT_E_NS1_11comp_targetILNS1_3genE2ELNS1_11target_archE906ELNS1_3gpuE6ELNS1_3repE0EEENS1_30default_config_static_selectorELNS0_4arch9wavefront6targetE0EEEvT1_,comdat
	.protected	_ZN7rocprim17ROCPRIM_400000_NS6detail17trampoline_kernelINS0_14default_configENS1_25transform_config_selectorIN6thrust23THRUST_200600_302600_NS5tupleIffNS6_9null_typeES8_S8_S8_S8_S8_S8_S8_EELb0EEEZNS1_14transform_implILb0ES3_SA_NS6_6detail15normal_iteratorINS6_10device_ptrIS9_EEEEPS9_NS0_8identityIS9_EEEE10hipError_tT2_T3_mT4_P12ihipStream_tbEUlT_E_NS1_11comp_targetILNS1_3genE2ELNS1_11target_archE906ELNS1_3gpuE6ELNS1_3repE0EEENS1_30default_config_static_selectorELNS0_4arch9wavefront6targetE0EEEvT1_ ; -- Begin function _ZN7rocprim17ROCPRIM_400000_NS6detail17trampoline_kernelINS0_14default_configENS1_25transform_config_selectorIN6thrust23THRUST_200600_302600_NS5tupleIffNS6_9null_typeES8_S8_S8_S8_S8_S8_S8_EELb0EEEZNS1_14transform_implILb0ES3_SA_NS6_6detail15normal_iteratorINS6_10device_ptrIS9_EEEEPS9_NS0_8identityIS9_EEEE10hipError_tT2_T3_mT4_P12ihipStream_tbEUlT_E_NS1_11comp_targetILNS1_3genE2ELNS1_11target_archE906ELNS1_3gpuE6ELNS1_3repE0EEENS1_30default_config_static_selectorELNS0_4arch9wavefront6targetE0EEEvT1_
	.globl	_ZN7rocprim17ROCPRIM_400000_NS6detail17trampoline_kernelINS0_14default_configENS1_25transform_config_selectorIN6thrust23THRUST_200600_302600_NS5tupleIffNS6_9null_typeES8_S8_S8_S8_S8_S8_S8_EELb0EEEZNS1_14transform_implILb0ES3_SA_NS6_6detail15normal_iteratorINS6_10device_ptrIS9_EEEEPS9_NS0_8identityIS9_EEEE10hipError_tT2_T3_mT4_P12ihipStream_tbEUlT_E_NS1_11comp_targetILNS1_3genE2ELNS1_11target_archE906ELNS1_3gpuE6ELNS1_3repE0EEENS1_30default_config_static_selectorELNS0_4arch9wavefront6targetE0EEEvT1_
	.p2align	8
	.type	_ZN7rocprim17ROCPRIM_400000_NS6detail17trampoline_kernelINS0_14default_configENS1_25transform_config_selectorIN6thrust23THRUST_200600_302600_NS5tupleIffNS6_9null_typeES8_S8_S8_S8_S8_S8_S8_EELb0EEEZNS1_14transform_implILb0ES3_SA_NS6_6detail15normal_iteratorINS6_10device_ptrIS9_EEEEPS9_NS0_8identityIS9_EEEE10hipError_tT2_T3_mT4_P12ihipStream_tbEUlT_E_NS1_11comp_targetILNS1_3genE2ELNS1_11target_archE906ELNS1_3gpuE6ELNS1_3repE0EEENS1_30default_config_static_selectorELNS0_4arch9wavefront6targetE0EEEvT1_,@function
_ZN7rocprim17ROCPRIM_400000_NS6detail17trampoline_kernelINS0_14default_configENS1_25transform_config_selectorIN6thrust23THRUST_200600_302600_NS5tupleIffNS6_9null_typeES8_S8_S8_S8_S8_S8_S8_EELb0EEEZNS1_14transform_implILb0ES3_SA_NS6_6detail15normal_iteratorINS6_10device_ptrIS9_EEEEPS9_NS0_8identityIS9_EEEE10hipError_tT2_T3_mT4_P12ihipStream_tbEUlT_E_NS1_11comp_targetILNS1_3genE2ELNS1_11target_archE906ELNS1_3gpuE6ELNS1_3repE0EEENS1_30default_config_static_selectorELNS0_4arch9wavefront6targetE0EEEvT1_: ; @_ZN7rocprim17ROCPRIM_400000_NS6detail17trampoline_kernelINS0_14default_configENS1_25transform_config_selectorIN6thrust23THRUST_200600_302600_NS5tupleIffNS6_9null_typeES8_S8_S8_S8_S8_S8_S8_EELb0EEEZNS1_14transform_implILb0ES3_SA_NS6_6detail15normal_iteratorINS6_10device_ptrIS9_EEEEPS9_NS0_8identityIS9_EEEE10hipError_tT2_T3_mT4_P12ihipStream_tbEUlT_E_NS1_11comp_targetILNS1_3genE2ELNS1_11target_archE906ELNS1_3gpuE6ELNS1_3repE0EEENS1_30default_config_static_selectorELNS0_4arch9wavefront6targetE0EEEvT1_
; %bb.0:
	.section	.rodata,"a",@progbits
	.p2align	6, 0x0
	.amdhsa_kernel _ZN7rocprim17ROCPRIM_400000_NS6detail17trampoline_kernelINS0_14default_configENS1_25transform_config_selectorIN6thrust23THRUST_200600_302600_NS5tupleIffNS6_9null_typeES8_S8_S8_S8_S8_S8_S8_EELb0EEEZNS1_14transform_implILb0ES3_SA_NS6_6detail15normal_iteratorINS6_10device_ptrIS9_EEEEPS9_NS0_8identityIS9_EEEE10hipError_tT2_T3_mT4_P12ihipStream_tbEUlT_E_NS1_11comp_targetILNS1_3genE2ELNS1_11target_archE906ELNS1_3gpuE6ELNS1_3repE0EEENS1_30default_config_static_selectorELNS0_4arch9wavefront6targetE0EEEvT1_
		.amdhsa_group_segment_fixed_size 0
		.amdhsa_private_segment_fixed_size 0
		.amdhsa_kernarg_size 40
		.amdhsa_user_sgpr_count 2
		.amdhsa_user_sgpr_dispatch_ptr 0
		.amdhsa_user_sgpr_queue_ptr 0
		.amdhsa_user_sgpr_kernarg_segment_ptr 1
		.amdhsa_user_sgpr_dispatch_id 0
		.amdhsa_user_sgpr_kernarg_preload_length 0
		.amdhsa_user_sgpr_kernarg_preload_offset 0
		.amdhsa_user_sgpr_private_segment_size 0
		.amdhsa_wavefront_size32 1
		.amdhsa_uses_dynamic_stack 0
		.amdhsa_enable_private_segment 0
		.amdhsa_system_sgpr_workgroup_id_x 1
		.amdhsa_system_sgpr_workgroup_id_y 0
		.amdhsa_system_sgpr_workgroup_id_z 0
		.amdhsa_system_sgpr_workgroup_info 0
		.amdhsa_system_vgpr_workitem_id 0
		.amdhsa_next_free_vgpr 1
		.amdhsa_next_free_sgpr 1
		.amdhsa_named_barrier_count 0
		.amdhsa_reserve_vcc 0
		.amdhsa_float_round_mode_32 0
		.amdhsa_float_round_mode_16_64 0
		.amdhsa_float_denorm_mode_32 3
		.amdhsa_float_denorm_mode_16_64 3
		.amdhsa_fp16_overflow 0
		.amdhsa_memory_ordered 1
		.amdhsa_forward_progress 1
		.amdhsa_inst_pref_size 0
		.amdhsa_round_robin_scheduling 0
		.amdhsa_exception_fp_ieee_invalid_op 0
		.amdhsa_exception_fp_denorm_src 0
		.amdhsa_exception_fp_ieee_div_zero 0
		.amdhsa_exception_fp_ieee_overflow 0
		.amdhsa_exception_fp_ieee_underflow 0
		.amdhsa_exception_fp_ieee_inexact 0
		.amdhsa_exception_int_div_zero 0
	.end_amdhsa_kernel
	.section	.text._ZN7rocprim17ROCPRIM_400000_NS6detail17trampoline_kernelINS0_14default_configENS1_25transform_config_selectorIN6thrust23THRUST_200600_302600_NS5tupleIffNS6_9null_typeES8_S8_S8_S8_S8_S8_S8_EELb0EEEZNS1_14transform_implILb0ES3_SA_NS6_6detail15normal_iteratorINS6_10device_ptrIS9_EEEEPS9_NS0_8identityIS9_EEEE10hipError_tT2_T3_mT4_P12ihipStream_tbEUlT_E_NS1_11comp_targetILNS1_3genE2ELNS1_11target_archE906ELNS1_3gpuE6ELNS1_3repE0EEENS1_30default_config_static_selectorELNS0_4arch9wavefront6targetE0EEEvT1_,"axG",@progbits,_ZN7rocprim17ROCPRIM_400000_NS6detail17trampoline_kernelINS0_14default_configENS1_25transform_config_selectorIN6thrust23THRUST_200600_302600_NS5tupleIffNS6_9null_typeES8_S8_S8_S8_S8_S8_S8_EELb0EEEZNS1_14transform_implILb0ES3_SA_NS6_6detail15normal_iteratorINS6_10device_ptrIS9_EEEEPS9_NS0_8identityIS9_EEEE10hipError_tT2_T3_mT4_P12ihipStream_tbEUlT_E_NS1_11comp_targetILNS1_3genE2ELNS1_11target_archE906ELNS1_3gpuE6ELNS1_3repE0EEENS1_30default_config_static_selectorELNS0_4arch9wavefront6targetE0EEEvT1_,comdat
.Lfunc_end170:
	.size	_ZN7rocprim17ROCPRIM_400000_NS6detail17trampoline_kernelINS0_14default_configENS1_25transform_config_selectorIN6thrust23THRUST_200600_302600_NS5tupleIffNS6_9null_typeES8_S8_S8_S8_S8_S8_S8_EELb0EEEZNS1_14transform_implILb0ES3_SA_NS6_6detail15normal_iteratorINS6_10device_ptrIS9_EEEEPS9_NS0_8identityIS9_EEEE10hipError_tT2_T3_mT4_P12ihipStream_tbEUlT_E_NS1_11comp_targetILNS1_3genE2ELNS1_11target_archE906ELNS1_3gpuE6ELNS1_3repE0EEENS1_30default_config_static_selectorELNS0_4arch9wavefront6targetE0EEEvT1_, .Lfunc_end170-_ZN7rocprim17ROCPRIM_400000_NS6detail17trampoline_kernelINS0_14default_configENS1_25transform_config_selectorIN6thrust23THRUST_200600_302600_NS5tupleIffNS6_9null_typeES8_S8_S8_S8_S8_S8_S8_EELb0EEEZNS1_14transform_implILb0ES3_SA_NS6_6detail15normal_iteratorINS6_10device_ptrIS9_EEEEPS9_NS0_8identityIS9_EEEE10hipError_tT2_T3_mT4_P12ihipStream_tbEUlT_E_NS1_11comp_targetILNS1_3genE2ELNS1_11target_archE906ELNS1_3gpuE6ELNS1_3repE0EEENS1_30default_config_static_selectorELNS0_4arch9wavefront6targetE0EEEvT1_
                                        ; -- End function
	.set _ZN7rocprim17ROCPRIM_400000_NS6detail17trampoline_kernelINS0_14default_configENS1_25transform_config_selectorIN6thrust23THRUST_200600_302600_NS5tupleIffNS6_9null_typeES8_S8_S8_S8_S8_S8_S8_EELb0EEEZNS1_14transform_implILb0ES3_SA_NS6_6detail15normal_iteratorINS6_10device_ptrIS9_EEEEPS9_NS0_8identityIS9_EEEE10hipError_tT2_T3_mT4_P12ihipStream_tbEUlT_E_NS1_11comp_targetILNS1_3genE2ELNS1_11target_archE906ELNS1_3gpuE6ELNS1_3repE0EEENS1_30default_config_static_selectorELNS0_4arch9wavefront6targetE0EEEvT1_.num_vgpr, 0
	.set _ZN7rocprim17ROCPRIM_400000_NS6detail17trampoline_kernelINS0_14default_configENS1_25transform_config_selectorIN6thrust23THRUST_200600_302600_NS5tupleIffNS6_9null_typeES8_S8_S8_S8_S8_S8_S8_EELb0EEEZNS1_14transform_implILb0ES3_SA_NS6_6detail15normal_iteratorINS6_10device_ptrIS9_EEEEPS9_NS0_8identityIS9_EEEE10hipError_tT2_T3_mT4_P12ihipStream_tbEUlT_E_NS1_11comp_targetILNS1_3genE2ELNS1_11target_archE906ELNS1_3gpuE6ELNS1_3repE0EEENS1_30default_config_static_selectorELNS0_4arch9wavefront6targetE0EEEvT1_.num_agpr, 0
	.set _ZN7rocprim17ROCPRIM_400000_NS6detail17trampoline_kernelINS0_14default_configENS1_25transform_config_selectorIN6thrust23THRUST_200600_302600_NS5tupleIffNS6_9null_typeES8_S8_S8_S8_S8_S8_S8_EELb0EEEZNS1_14transform_implILb0ES3_SA_NS6_6detail15normal_iteratorINS6_10device_ptrIS9_EEEEPS9_NS0_8identityIS9_EEEE10hipError_tT2_T3_mT4_P12ihipStream_tbEUlT_E_NS1_11comp_targetILNS1_3genE2ELNS1_11target_archE906ELNS1_3gpuE6ELNS1_3repE0EEENS1_30default_config_static_selectorELNS0_4arch9wavefront6targetE0EEEvT1_.numbered_sgpr, 0
	.set _ZN7rocprim17ROCPRIM_400000_NS6detail17trampoline_kernelINS0_14default_configENS1_25transform_config_selectorIN6thrust23THRUST_200600_302600_NS5tupleIffNS6_9null_typeES8_S8_S8_S8_S8_S8_S8_EELb0EEEZNS1_14transform_implILb0ES3_SA_NS6_6detail15normal_iteratorINS6_10device_ptrIS9_EEEEPS9_NS0_8identityIS9_EEEE10hipError_tT2_T3_mT4_P12ihipStream_tbEUlT_E_NS1_11comp_targetILNS1_3genE2ELNS1_11target_archE906ELNS1_3gpuE6ELNS1_3repE0EEENS1_30default_config_static_selectorELNS0_4arch9wavefront6targetE0EEEvT1_.num_named_barrier, 0
	.set _ZN7rocprim17ROCPRIM_400000_NS6detail17trampoline_kernelINS0_14default_configENS1_25transform_config_selectorIN6thrust23THRUST_200600_302600_NS5tupleIffNS6_9null_typeES8_S8_S8_S8_S8_S8_S8_EELb0EEEZNS1_14transform_implILb0ES3_SA_NS6_6detail15normal_iteratorINS6_10device_ptrIS9_EEEEPS9_NS0_8identityIS9_EEEE10hipError_tT2_T3_mT4_P12ihipStream_tbEUlT_E_NS1_11comp_targetILNS1_3genE2ELNS1_11target_archE906ELNS1_3gpuE6ELNS1_3repE0EEENS1_30default_config_static_selectorELNS0_4arch9wavefront6targetE0EEEvT1_.private_seg_size, 0
	.set _ZN7rocprim17ROCPRIM_400000_NS6detail17trampoline_kernelINS0_14default_configENS1_25transform_config_selectorIN6thrust23THRUST_200600_302600_NS5tupleIffNS6_9null_typeES8_S8_S8_S8_S8_S8_S8_EELb0EEEZNS1_14transform_implILb0ES3_SA_NS6_6detail15normal_iteratorINS6_10device_ptrIS9_EEEEPS9_NS0_8identityIS9_EEEE10hipError_tT2_T3_mT4_P12ihipStream_tbEUlT_E_NS1_11comp_targetILNS1_3genE2ELNS1_11target_archE906ELNS1_3gpuE6ELNS1_3repE0EEENS1_30default_config_static_selectorELNS0_4arch9wavefront6targetE0EEEvT1_.uses_vcc, 0
	.set _ZN7rocprim17ROCPRIM_400000_NS6detail17trampoline_kernelINS0_14default_configENS1_25transform_config_selectorIN6thrust23THRUST_200600_302600_NS5tupleIffNS6_9null_typeES8_S8_S8_S8_S8_S8_S8_EELb0EEEZNS1_14transform_implILb0ES3_SA_NS6_6detail15normal_iteratorINS6_10device_ptrIS9_EEEEPS9_NS0_8identityIS9_EEEE10hipError_tT2_T3_mT4_P12ihipStream_tbEUlT_E_NS1_11comp_targetILNS1_3genE2ELNS1_11target_archE906ELNS1_3gpuE6ELNS1_3repE0EEENS1_30default_config_static_selectorELNS0_4arch9wavefront6targetE0EEEvT1_.uses_flat_scratch, 0
	.set _ZN7rocprim17ROCPRIM_400000_NS6detail17trampoline_kernelINS0_14default_configENS1_25transform_config_selectorIN6thrust23THRUST_200600_302600_NS5tupleIffNS6_9null_typeES8_S8_S8_S8_S8_S8_S8_EELb0EEEZNS1_14transform_implILb0ES3_SA_NS6_6detail15normal_iteratorINS6_10device_ptrIS9_EEEEPS9_NS0_8identityIS9_EEEE10hipError_tT2_T3_mT4_P12ihipStream_tbEUlT_E_NS1_11comp_targetILNS1_3genE2ELNS1_11target_archE906ELNS1_3gpuE6ELNS1_3repE0EEENS1_30default_config_static_selectorELNS0_4arch9wavefront6targetE0EEEvT1_.has_dyn_sized_stack, 0
	.set _ZN7rocprim17ROCPRIM_400000_NS6detail17trampoline_kernelINS0_14default_configENS1_25transform_config_selectorIN6thrust23THRUST_200600_302600_NS5tupleIffNS6_9null_typeES8_S8_S8_S8_S8_S8_S8_EELb0EEEZNS1_14transform_implILb0ES3_SA_NS6_6detail15normal_iteratorINS6_10device_ptrIS9_EEEEPS9_NS0_8identityIS9_EEEE10hipError_tT2_T3_mT4_P12ihipStream_tbEUlT_E_NS1_11comp_targetILNS1_3genE2ELNS1_11target_archE906ELNS1_3gpuE6ELNS1_3repE0EEENS1_30default_config_static_selectorELNS0_4arch9wavefront6targetE0EEEvT1_.has_recursion, 0
	.set _ZN7rocprim17ROCPRIM_400000_NS6detail17trampoline_kernelINS0_14default_configENS1_25transform_config_selectorIN6thrust23THRUST_200600_302600_NS5tupleIffNS6_9null_typeES8_S8_S8_S8_S8_S8_S8_EELb0EEEZNS1_14transform_implILb0ES3_SA_NS6_6detail15normal_iteratorINS6_10device_ptrIS9_EEEEPS9_NS0_8identityIS9_EEEE10hipError_tT2_T3_mT4_P12ihipStream_tbEUlT_E_NS1_11comp_targetILNS1_3genE2ELNS1_11target_archE906ELNS1_3gpuE6ELNS1_3repE0EEENS1_30default_config_static_selectorELNS0_4arch9wavefront6targetE0EEEvT1_.has_indirect_call, 0
	.section	.AMDGPU.csdata,"",@progbits
; Kernel info:
; codeLenInByte = 0
; TotalNumSgprs: 0
; NumVgprs: 0
; ScratchSize: 0
; MemoryBound: 0
; FloatMode: 240
; IeeeMode: 1
; LDSByteSize: 0 bytes/workgroup (compile time only)
; SGPRBlocks: 0
; VGPRBlocks: 0
; NumSGPRsForWavesPerEU: 1
; NumVGPRsForWavesPerEU: 1
; NamedBarCnt: 0
; Occupancy: 16
; WaveLimiterHint : 0
; COMPUTE_PGM_RSRC2:SCRATCH_EN: 0
; COMPUTE_PGM_RSRC2:USER_SGPR: 2
; COMPUTE_PGM_RSRC2:TRAP_HANDLER: 0
; COMPUTE_PGM_RSRC2:TGID_X_EN: 1
; COMPUTE_PGM_RSRC2:TGID_Y_EN: 0
; COMPUTE_PGM_RSRC2:TGID_Z_EN: 0
; COMPUTE_PGM_RSRC2:TIDIG_COMP_CNT: 0
	.section	.text._ZN7rocprim17ROCPRIM_400000_NS6detail17trampoline_kernelINS0_14default_configENS1_25transform_config_selectorIN6thrust23THRUST_200600_302600_NS5tupleIffNS6_9null_typeES8_S8_S8_S8_S8_S8_S8_EELb0EEEZNS1_14transform_implILb0ES3_SA_NS6_6detail15normal_iteratorINS6_10device_ptrIS9_EEEEPS9_NS0_8identityIS9_EEEE10hipError_tT2_T3_mT4_P12ihipStream_tbEUlT_E_NS1_11comp_targetILNS1_3genE10ELNS1_11target_archE1201ELNS1_3gpuE5ELNS1_3repE0EEENS1_30default_config_static_selectorELNS0_4arch9wavefront6targetE0EEEvT1_,"axG",@progbits,_ZN7rocprim17ROCPRIM_400000_NS6detail17trampoline_kernelINS0_14default_configENS1_25transform_config_selectorIN6thrust23THRUST_200600_302600_NS5tupleIffNS6_9null_typeES8_S8_S8_S8_S8_S8_S8_EELb0EEEZNS1_14transform_implILb0ES3_SA_NS6_6detail15normal_iteratorINS6_10device_ptrIS9_EEEEPS9_NS0_8identityIS9_EEEE10hipError_tT2_T3_mT4_P12ihipStream_tbEUlT_E_NS1_11comp_targetILNS1_3genE10ELNS1_11target_archE1201ELNS1_3gpuE5ELNS1_3repE0EEENS1_30default_config_static_selectorELNS0_4arch9wavefront6targetE0EEEvT1_,comdat
	.protected	_ZN7rocprim17ROCPRIM_400000_NS6detail17trampoline_kernelINS0_14default_configENS1_25transform_config_selectorIN6thrust23THRUST_200600_302600_NS5tupleIffNS6_9null_typeES8_S8_S8_S8_S8_S8_S8_EELb0EEEZNS1_14transform_implILb0ES3_SA_NS6_6detail15normal_iteratorINS6_10device_ptrIS9_EEEEPS9_NS0_8identityIS9_EEEE10hipError_tT2_T3_mT4_P12ihipStream_tbEUlT_E_NS1_11comp_targetILNS1_3genE10ELNS1_11target_archE1201ELNS1_3gpuE5ELNS1_3repE0EEENS1_30default_config_static_selectorELNS0_4arch9wavefront6targetE0EEEvT1_ ; -- Begin function _ZN7rocprim17ROCPRIM_400000_NS6detail17trampoline_kernelINS0_14default_configENS1_25transform_config_selectorIN6thrust23THRUST_200600_302600_NS5tupleIffNS6_9null_typeES8_S8_S8_S8_S8_S8_S8_EELb0EEEZNS1_14transform_implILb0ES3_SA_NS6_6detail15normal_iteratorINS6_10device_ptrIS9_EEEEPS9_NS0_8identityIS9_EEEE10hipError_tT2_T3_mT4_P12ihipStream_tbEUlT_E_NS1_11comp_targetILNS1_3genE10ELNS1_11target_archE1201ELNS1_3gpuE5ELNS1_3repE0EEENS1_30default_config_static_selectorELNS0_4arch9wavefront6targetE0EEEvT1_
	.globl	_ZN7rocprim17ROCPRIM_400000_NS6detail17trampoline_kernelINS0_14default_configENS1_25transform_config_selectorIN6thrust23THRUST_200600_302600_NS5tupleIffNS6_9null_typeES8_S8_S8_S8_S8_S8_S8_EELb0EEEZNS1_14transform_implILb0ES3_SA_NS6_6detail15normal_iteratorINS6_10device_ptrIS9_EEEEPS9_NS0_8identityIS9_EEEE10hipError_tT2_T3_mT4_P12ihipStream_tbEUlT_E_NS1_11comp_targetILNS1_3genE10ELNS1_11target_archE1201ELNS1_3gpuE5ELNS1_3repE0EEENS1_30default_config_static_selectorELNS0_4arch9wavefront6targetE0EEEvT1_
	.p2align	8
	.type	_ZN7rocprim17ROCPRIM_400000_NS6detail17trampoline_kernelINS0_14default_configENS1_25transform_config_selectorIN6thrust23THRUST_200600_302600_NS5tupleIffNS6_9null_typeES8_S8_S8_S8_S8_S8_S8_EELb0EEEZNS1_14transform_implILb0ES3_SA_NS6_6detail15normal_iteratorINS6_10device_ptrIS9_EEEEPS9_NS0_8identityIS9_EEEE10hipError_tT2_T3_mT4_P12ihipStream_tbEUlT_E_NS1_11comp_targetILNS1_3genE10ELNS1_11target_archE1201ELNS1_3gpuE5ELNS1_3repE0EEENS1_30default_config_static_selectorELNS0_4arch9wavefront6targetE0EEEvT1_,@function
_ZN7rocprim17ROCPRIM_400000_NS6detail17trampoline_kernelINS0_14default_configENS1_25transform_config_selectorIN6thrust23THRUST_200600_302600_NS5tupleIffNS6_9null_typeES8_S8_S8_S8_S8_S8_S8_EELb0EEEZNS1_14transform_implILb0ES3_SA_NS6_6detail15normal_iteratorINS6_10device_ptrIS9_EEEEPS9_NS0_8identityIS9_EEEE10hipError_tT2_T3_mT4_P12ihipStream_tbEUlT_E_NS1_11comp_targetILNS1_3genE10ELNS1_11target_archE1201ELNS1_3gpuE5ELNS1_3repE0EEENS1_30default_config_static_selectorELNS0_4arch9wavefront6targetE0EEEvT1_: ; @_ZN7rocprim17ROCPRIM_400000_NS6detail17trampoline_kernelINS0_14default_configENS1_25transform_config_selectorIN6thrust23THRUST_200600_302600_NS5tupleIffNS6_9null_typeES8_S8_S8_S8_S8_S8_S8_EELb0EEEZNS1_14transform_implILb0ES3_SA_NS6_6detail15normal_iteratorINS6_10device_ptrIS9_EEEEPS9_NS0_8identityIS9_EEEE10hipError_tT2_T3_mT4_P12ihipStream_tbEUlT_E_NS1_11comp_targetILNS1_3genE10ELNS1_11target_archE1201ELNS1_3gpuE5ELNS1_3repE0EEENS1_30default_config_static_selectorELNS0_4arch9wavefront6targetE0EEEvT1_
; %bb.0:
	.section	.rodata,"a",@progbits
	.p2align	6, 0x0
	.amdhsa_kernel _ZN7rocprim17ROCPRIM_400000_NS6detail17trampoline_kernelINS0_14default_configENS1_25transform_config_selectorIN6thrust23THRUST_200600_302600_NS5tupleIffNS6_9null_typeES8_S8_S8_S8_S8_S8_S8_EELb0EEEZNS1_14transform_implILb0ES3_SA_NS6_6detail15normal_iteratorINS6_10device_ptrIS9_EEEEPS9_NS0_8identityIS9_EEEE10hipError_tT2_T3_mT4_P12ihipStream_tbEUlT_E_NS1_11comp_targetILNS1_3genE10ELNS1_11target_archE1201ELNS1_3gpuE5ELNS1_3repE0EEENS1_30default_config_static_selectorELNS0_4arch9wavefront6targetE0EEEvT1_
		.amdhsa_group_segment_fixed_size 0
		.amdhsa_private_segment_fixed_size 0
		.amdhsa_kernarg_size 40
		.amdhsa_user_sgpr_count 2
		.amdhsa_user_sgpr_dispatch_ptr 0
		.amdhsa_user_sgpr_queue_ptr 0
		.amdhsa_user_sgpr_kernarg_segment_ptr 1
		.amdhsa_user_sgpr_dispatch_id 0
		.amdhsa_user_sgpr_kernarg_preload_length 0
		.amdhsa_user_sgpr_kernarg_preload_offset 0
		.amdhsa_user_sgpr_private_segment_size 0
		.amdhsa_wavefront_size32 1
		.amdhsa_uses_dynamic_stack 0
		.amdhsa_enable_private_segment 0
		.amdhsa_system_sgpr_workgroup_id_x 1
		.amdhsa_system_sgpr_workgroup_id_y 0
		.amdhsa_system_sgpr_workgroup_id_z 0
		.amdhsa_system_sgpr_workgroup_info 0
		.amdhsa_system_vgpr_workitem_id 0
		.amdhsa_next_free_vgpr 1
		.amdhsa_next_free_sgpr 1
		.amdhsa_named_barrier_count 0
		.amdhsa_reserve_vcc 0
		.amdhsa_float_round_mode_32 0
		.amdhsa_float_round_mode_16_64 0
		.amdhsa_float_denorm_mode_32 3
		.amdhsa_float_denorm_mode_16_64 3
		.amdhsa_fp16_overflow 0
		.amdhsa_memory_ordered 1
		.amdhsa_forward_progress 1
		.amdhsa_inst_pref_size 0
		.amdhsa_round_robin_scheduling 0
		.amdhsa_exception_fp_ieee_invalid_op 0
		.amdhsa_exception_fp_denorm_src 0
		.amdhsa_exception_fp_ieee_div_zero 0
		.amdhsa_exception_fp_ieee_overflow 0
		.amdhsa_exception_fp_ieee_underflow 0
		.amdhsa_exception_fp_ieee_inexact 0
		.amdhsa_exception_int_div_zero 0
	.end_amdhsa_kernel
	.section	.text._ZN7rocprim17ROCPRIM_400000_NS6detail17trampoline_kernelINS0_14default_configENS1_25transform_config_selectorIN6thrust23THRUST_200600_302600_NS5tupleIffNS6_9null_typeES8_S8_S8_S8_S8_S8_S8_EELb0EEEZNS1_14transform_implILb0ES3_SA_NS6_6detail15normal_iteratorINS6_10device_ptrIS9_EEEEPS9_NS0_8identityIS9_EEEE10hipError_tT2_T3_mT4_P12ihipStream_tbEUlT_E_NS1_11comp_targetILNS1_3genE10ELNS1_11target_archE1201ELNS1_3gpuE5ELNS1_3repE0EEENS1_30default_config_static_selectorELNS0_4arch9wavefront6targetE0EEEvT1_,"axG",@progbits,_ZN7rocprim17ROCPRIM_400000_NS6detail17trampoline_kernelINS0_14default_configENS1_25transform_config_selectorIN6thrust23THRUST_200600_302600_NS5tupleIffNS6_9null_typeES8_S8_S8_S8_S8_S8_S8_EELb0EEEZNS1_14transform_implILb0ES3_SA_NS6_6detail15normal_iteratorINS6_10device_ptrIS9_EEEEPS9_NS0_8identityIS9_EEEE10hipError_tT2_T3_mT4_P12ihipStream_tbEUlT_E_NS1_11comp_targetILNS1_3genE10ELNS1_11target_archE1201ELNS1_3gpuE5ELNS1_3repE0EEENS1_30default_config_static_selectorELNS0_4arch9wavefront6targetE0EEEvT1_,comdat
.Lfunc_end171:
	.size	_ZN7rocprim17ROCPRIM_400000_NS6detail17trampoline_kernelINS0_14default_configENS1_25transform_config_selectorIN6thrust23THRUST_200600_302600_NS5tupleIffNS6_9null_typeES8_S8_S8_S8_S8_S8_S8_EELb0EEEZNS1_14transform_implILb0ES3_SA_NS6_6detail15normal_iteratorINS6_10device_ptrIS9_EEEEPS9_NS0_8identityIS9_EEEE10hipError_tT2_T3_mT4_P12ihipStream_tbEUlT_E_NS1_11comp_targetILNS1_3genE10ELNS1_11target_archE1201ELNS1_3gpuE5ELNS1_3repE0EEENS1_30default_config_static_selectorELNS0_4arch9wavefront6targetE0EEEvT1_, .Lfunc_end171-_ZN7rocprim17ROCPRIM_400000_NS6detail17trampoline_kernelINS0_14default_configENS1_25transform_config_selectorIN6thrust23THRUST_200600_302600_NS5tupleIffNS6_9null_typeES8_S8_S8_S8_S8_S8_S8_EELb0EEEZNS1_14transform_implILb0ES3_SA_NS6_6detail15normal_iteratorINS6_10device_ptrIS9_EEEEPS9_NS0_8identityIS9_EEEE10hipError_tT2_T3_mT4_P12ihipStream_tbEUlT_E_NS1_11comp_targetILNS1_3genE10ELNS1_11target_archE1201ELNS1_3gpuE5ELNS1_3repE0EEENS1_30default_config_static_selectorELNS0_4arch9wavefront6targetE0EEEvT1_
                                        ; -- End function
	.set _ZN7rocprim17ROCPRIM_400000_NS6detail17trampoline_kernelINS0_14default_configENS1_25transform_config_selectorIN6thrust23THRUST_200600_302600_NS5tupleIffNS6_9null_typeES8_S8_S8_S8_S8_S8_S8_EELb0EEEZNS1_14transform_implILb0ES3_SA_NS6_6detail15normal_iteratorINS6_10device_ptrIS9_EEEEPS9_NS0_8identityIS9_EEEE10hipError_tT2_T3_mT4_P12ihipStream_tbEUlT_E_NS1_11comp_targetILNS1_3genE10ELNS1_11target_archE1201ELNS1_3gpuE5ELNS1_3repE0EEENS1_30default_config_static_selectorELNS0_4arch9wavefront6targetE0EEEvT1_.num_vgpr, 0
	.set _ZN7rocprim17ROCPRIM_400000_NS6detail17trampoline_kernelINS0_14default_configENS1_25transform_config_selectorIN6thrust23THRUST_200600_302600_NS5tupleIffNS6_9null_typeES8_S8_S8_S8_S8_S8_S8_EELb0EEEZNS1_14transform_implILb0ES3_SA_NS6_6detail15normal_iteratorINS6_10device_ptrIS9_EEEEPS9_NS0_8identityIS9_EEEE10hipError_tT2_T3_mT4_P12ihipStream_tbEUlT_E_NS1_11comp_targetILNS1_3genE10ELNS1_11target_archE1201ELNS1_3gpuE5ELNS1_3repE0EEENS1_30default_config_static_selectorELNS0_4arch9wavefront6targetE0EEEvT1_.num_agpr, 0
	.set _ZN7rocprim17ROCPRIM_400000_NS6detail17trampoline_kernelINS0_14default_configENS1_25transform_config_selectorIN6thrust23THRUST_200600_302600_NS5tupleIffNS6_9null_typeES8_S8_S8_S8_S8_S8_S8_EELb0EEEZNS1_14transform_implILb0ES3_SA_NS6_6detail15normal_iteratorINS6_10device_ptrIS9_EEEEPS9_NS0_8identityIS9_EEEE10hipError_tT2_T3_mT4_P12ihipStream_tbEUlT_E_NS1_11comp_targetILNS1_3genE10ELNS1_11target_archE1201ELNS1_3gpuE5ELNS1_3repE0EEENS1_30default_config_static_selectorELNS0_4arch9wavefront6targetE0EEEvT1_.numbered_sgpr, 0
	.set _ZN7rocprim17ROCPRIM_400000_NS6detail17trampoline_kernelINS0_14default_configENS1_25transform_config_selectorIN6thrust23THRUST_200600_302600_NS5tupleIffNS6_9null_typeES8_S8_S8_S8_S8_S8_S8_EELb0EEEZNS1_14transform_implILb0ES3_SA_NS6_6detail15normal_iteratorINS6_10device_ptrIS9_EEEEPS9_NS0_8identityIS9_EEEE10hipError_tT2_T3_mT4_P12ihipStream_tbEUlT_E_NS1_11comp_targetILNS1_3genE10ELNS1_11target_archE1201ELNS1_3gpuE5ELNS1_3repE0EEENS1_30default_config_static_selectorELNS0_4arch9wavefront6targetE0EEEvT1_.num_named_barrier, 0
	.set _ZN7rocprim17ROCPRIM_400000_NS6detail17trampoline_kernelINS0_14default_configENS1_25transform_config_selectorIN6thrust23THRUST_200600_302600_NS5tupleIffNS6_9null_typeES8_S8_S8_S8_S8_S8_S8_EELb0EEEZNS1_14transform_implILb0ES3_SA_NS6_6detail15normal_iteratorINS6_10device_ptrIS9_EEEEPS9_NS0_8identityIS9_EEEE10hipError_tT2_T3_mT4_P12ihipStream_tbEUlT_E_NS1_11comp_targetILNS1_3genE10ELNS1_11target_archE1201ELNS1_3gpuE5ELNS1_3repE0EEENS1_30default_config_static_selectorELNS0_4arch9wavefront6targetE0EEEvT1_.private_seg_size, 0
	.set _ZN7rocprim17ROCPRIM_400000_NS6detail17trampoline_kernelINS0_14default_configENS1_25transform_config_selectorIN6thrust23THRUST_200600_302600_NS5tupleIffNS6_9null_typeES8_S8_S8_S8_S8_S8_S8_EELb0EEEZNS1_14transform_implILb0ES3_SA_NS6_6detail15normal_iteratorINS6_10device_ptrIS9_EEEEPS9_NS0_8identityIS9_EEEE10hipError_tT2_T3_mT4_P12ihipStream_tbEUlT_E_NS1_11comp_targetILNS1_3genE10ELNS1_11target_archE1201ELNS1_3gpuE5ELNS1_3repE0EEENS1_30default_config_static_selectorELNS0_4arch9wavefront6targetE0EEEvT1_.uses_vcc, 0
	.set _ZN7rocprim17ROCPRIM_400000_NS6detail17trampoline_kernelINS0_14default_configENS1_25transform_config_selectorIN6thrust23THRUST_200600_302600_NS5tupleIffNS6_9null_typeES8_S8_S8_S8_S8_S8_S8_EELb0EEEZNS1_14transform_implILb0ES3_SA_NS6_6detail15normal_iteratorINS6_10device_ptrIS9_EEEEPS9_NS0_8identityIS9_EEEE10hipError_tT2_T3_mT4_P12ihipStream_tbEUlT_E_NS1_11comp_targetILNS1_3genE10ELNS1_11target_archE1201ELNS1_3gpuE5ELNS1_3repE0EEENS1_30default_config_static_selectorELNS0_4arch9wavefront6targetE0EEEvT1_.uses_flat_scratch, 0
	.set _ZN7rocprim17ROCPRIM_400000_NS6detail17trampoline_kernelINS0_14default_configENS1_25transform_config_selectorIN6thrust23THRUST_200600_302600_NS5tupleIffNS6_9null_typeES8_S8_S8_S8_S8_S8_S8_EELb0EEEZNS1_14transform_implILb0ES3_SA_NS6_6detail15normal_iteratorINS6_10device_ptrIS9_EEEEPS9_NS0_8identityIS9_EEEE10hipError_tT2_T3_mT4_P12ihipStream_tbEUlT_E_NS1_11comp_targetILNS1_3genE10ELNS1_11target_archE1201ELNS1_3gpuE5ELNS1_3repE0EEENS1_30default_config_static_selectorELNS0_4arch9wavefront6targetE0EEEvT1_.has_dyn_sized_stack, 0
	.set _ZN7rocprim17ROCPRIM_400000_NS6detail17trampoline_kernelINS0_14default_configENS1_25transform_config_selectorIN6thrust23THRUST_200600_302600_NS5tupleIffNS6_9null_typeES8_S8_S8_S8_S8_S8_S8_EELb0EEEZNS1_14transform_implILb0ES3_SA_NS6_6detail15normal_iteratorINS6_10device_ptrIS9_EEEEPS9_NS0_8identityIS9_EEEE10hipError_tT2_T3_mT4_P12ihipStream_tbEUlT_E_NS1_11comp_targetILNS1_3genE10ELNS1_11target_archE1201ELNS1_3gpuE5ELNS1_3repE0EEENS1_30default_config_static_selectorELNS0_4arch9wavefront6targetE0EEEvT1_.has_recursion, 0
	.set _ZN7rocprim17ROCPRIM_400000_NS6detail17trampoline_kernelINS0_14default_configENS1_25transform_config_selectorIN6thrust23THRUST_200600_302600_NS5tupleIffNS6_9null_typeES8_S8_S8_S8_S8_S8_S8_EELb0EEEZNS1_14transform_implILb0ES3_SA_NS6_6detail15normal_iteratorINS6_10device_ptrIS9_EEEEPS9_NS0_8identityIS9_EEEE10hipError_tT2_T3_mT4_P12ihipStream_tbEUlT_E_NS1_11comp_targetILNS1_3genE10ELNS1_11target_archE1201ELNS1_3gpuE5ELNS1_3repE0EEENS1_30default_config_static_selectorELNS0_4arch9wavefront6targetE0EEEvT1_.has_indirect_call, 0
	.section	.AMDGPU.csdata,"",@progbits
; Kernel info:
; codeLenInByte = 0
; TotalNumSgprs: 0
; NumVgprs: 0
; ScratchSize: 0
; MemoryBound: 0
; FloatMode: 240
; IeeeMode: 1
; LDSByteSize: 0 bytes/workgroup (compile time only)
; SGPRBlocks: 0
; VGPRBlocks: 0
; NumSGPRsForWavesPerEU: 1
; NumVGPRsForWavesPerEU: 1
; NamedBarCnt: 0
; Occupancy: 16
; WaveLimiterHint : 0
; COMPUTE_PGM_RSRC2:SCRATCH_EN: 0
; COMPUTE_PGM_RSRC2:USER_SGPR: 2
; COMPUTE_PGM_RSRC2:TRAP_HANDLER: 0
; COMPUTE_PGM_RSRC2:TGID_X_EN: 1
; COMPUTE_PGM_RSRC2:TGID_Y_EN: 0
; COMPUTE_PGM_RSRC2:TGID_Z_EN: 0
; COMPUTE_PGM_RSRC2:TIDIG_COMP_CNT: 0
	.section	.text._ZN7rocprim17ROCPRIM_400000_NS6detail17trampoline_kernelINS0_14default_configENS1_25transform_config_selectorIN6thrust23THRUST_200600_302600_NS5tupleIffNS6_9null_typeES8_S8_S8_S8_S8_S8_S8_EELb0EEEZNS1_14transform_implILb0ES3_SA_NS6_6detail15normal_iteratorINS6_10device_ptrIS9_EEEEPS9_NS0_8identityIS9_EEEE10hipError_tT2_T3_mT4_P12ihipStream_tbEUlT_E_NS1_11comp_targetILNS1_3genE10ELNS1_11target_archE1200ELNS1_3gpuE4ELNS1_3repE0EEENS1_30default_config_static_selectorELNS0_4arch9wavefront6targetE0EEEvT1_,"axG",@progbits,_ZN7rocprim17ROCPRIM_400000_NS6detail17trampoline_kernelINS0_14default_configENS1_25transform_config_selectorIN6thrust23THRUST_200600_302600_NS5tupleIffNS6_9null_typeES8_S8_S8_S8_S8_S8_S8_EELb0EEEZNS1_14transform_implILb0ES3_SA_NS6_6detail15normal_iteratorINS6_10device_ptrIS9_EEEEPS9_NS0_8identityIS9_EEEE10hipError_tT2_T3_mT4_P12ihipStream_tbEUlT_E_NS1_11comp_targetILNS1_3genE10ELNS1_11target_archE1200ELNS1_3gpuE4ELNS1_3repE0EEENS1_30default_config_static_selectorELNS0_4arch9wavefront6targetE0EEEvT1_,comdat
	.protected	_ZN7rocprim17ROCPRIM_400000_NS6detail17trampoline_kernelINS0_14default_configENS1_25transform_config_selectorIN6thrust23THRUST_200600_302600_NS5tupleIffNS6_9null_typeES8_S8_S8_S8_S8_S8_S8_EELb0EEEZNS1_14transform_implILb0ES3_SA_NS6_6detail15normal_iteratorINS6_10device_ptrIS9_EEEEPS9_NS0_8identityIS9_EEEE10hipError_tT2_T3_mT4_P12ihipStream_tbEUlT_E_NS1_11comp_targetILNS1_3genE10ELNS1_11target_archE1200ELNS1_3gpuE4ELNS1_3repE0EEENS1_30default_config_static_selectorELNS0_4arch9wavefront6targetE0EEEvT1_ ; -- Begin function _ZN7rocprim17ROCPRIM_400000_NS6detail17trampoline_kernelINS0_14default_configENS1_25transform_config_selectorIN6thrust23THRUST_200600_302600_NS5tupleIffNS6_9null_typeES8_S8_S8_S8_S8_S8_S8_EELb0EEEZNS1_14transform_implILb0ES3_SA_NS6_6detail15normal_iteratorINS6_10device_ptrIS9_EEEEPS9_NS0_8identityIS9_EEEE10hipError_tT2_T3_mT4_P12ihipStream_tbEUlT_E_NS1_11comp_targetILNS1_3genE10ELNS1_11target_archE1200ELNS1_3gpuE4ELNS1_3repE0EEENS1_30default_config_static_selectorELNS0_4arch9wavefront6targetE0EEEvT1_
	.globl	_ZN7rocprim17ROCPRIM_400000_NS6detail17trampoline_kernelINS0_14default_configENS1_25transform_config_selectorIN6thrust23THRUST_200600_302600_NS5tupleIffNS6_9null_typeES8_S8_S8_S8_S8_S8_S8_EELb0EEEZNS1_14transform_implILb0ES3_SA_NS6_6detail15normal_iteratorINS6_10device_ptrIS9_EEEEPS9_NS0_8identityIS9_EEEE10hipError_tT2_T3_mT4_P12ihipStream_tbEUlT_E_NS1_11comp_targetILNS1_3genE10ELNS1_11target_archE1200ELNS1_3gpuE4ELNS1_3repE0EEENS1_30default_config_static_selectorELNS0_4arch9wavefront6targetE0EEEvT1_
	.p2align	8
	.type	_ZN7rocprim17ROCPRIM_400000_NS6detail17trampoline_kernelINS0_14default_configENS1_25transform_config_selectorIN6thrust23THRUST_200600_302600_NS5tupleIffNS6_9null_typeES8_S8_S8_S8_S8_S8_S8_EELb0EEEZNS1_14transform_implILb0ES3_SA_NS6_6detail15normal_iteratorINS6_10device_ptrIS9_EEEEPS9_NS0_8identityIS9_EEEE10hipError_tT2_T3_mT4_P12ihipStream_tbEUlT_E_NS1_11comp_targetILNS1_3genE10ELNS1_11target_archE1200ELNS1_3gpuE4ELNS1_3repE0EEENS1_30default_config_static_selectorELNS0_4arch9wavefront6targetE0EEEvT1_,@function
_ZN7rocprim17ROCPRIM_400000_NS6detail17trampoline_kernelINS0_14default_configENS1_25transform_config_selectorIN6thrust23THRUST_200600_302600_NS5tupleIffNS6_9null_typeES8_S8_S8_S8_S8_S8_S8_EELb0EEEZNS1_14transform_implILb0ES3_SA_NS6_6detail15normal_iteratorINS6_10device_ptrIS9_EEEEPS9_NS0_8identityIS9_EEEE10hipError_tT2_T3_mT4_P12ihipStream_tbEUlT_E_NS1_11comp_targetILNS1_3genE10ELNS1_11target_archE1200ELNS1_3gpuE4ELNS1_3repE0EEENS1_30default_config_static_selectorELNS0_4arch9wavefront6targetE0EEEvT1_: ; @_ZN7rocprim17ROCPRIM_400000_NS6detail17trampoline_kernelINS0_14default_configENS1_25transform_config_selectorIN6thrust23THRUST_200600_302600_NS5tupleIffNS6_9null_typeES8_S8_S8_S8_S8_S8_S8_EELb0EEEZNS1_14transform_implILb0ES3_SA_NS6_6detail15normal_iteratorINS6_10device_ptrIS9_EEEEPS9_NS0_8identityIS9_EEEE10hipError_tT2_T3_mT4_P12ihipStream_tbEUlT_E_NS1_11comp_targetILNS1_3genE10ELNS1_11target_archE1200ELNS1_3gpuE4ELNS1_3repE0EEENS1_30default_config_static_selectorELNS0_4arch9wavefront6targetE0EEEvT1_
; %bb.0:
	.section	.rodata,"a",@progbits
	.p2align	6, 0x0
	.amdhsa_kernel _ZN7rocprim17ROCPRIM_400000_NS6detail17trampoline_kernelINS0_14default_configENS1_25transform_config_selectorIN6thrust23THRUST_200600_302600_NS5tupleIffNS6_9null_typeES8_S8_S8_S8_S8_S8_S8_EELb0EEEZNS1_14transform_implILb0ES3_SA_NS6_6detail15normal_iteratorINS6_10device_ptrIS9_EEEEPS9_NS0_8identityIS9_EEEE10hipError_tT2_T3_mT4_P12ihipStream_tbEUlT_E_NS1_11comp_targetILNS1_3genE10ELNS1_11target_archE1200ELNS1_3gpuE4ELNS1_3repE0EEENS1_30default_config_static_selectorELNS0_4arch9wavefront6targetE0EEEvT1_
		.amdhsa_group_segment_fixed_size 0
		.amdhsa_private_segment_fixed_size 0
		.amdhsa_kernarg_size 40
		.amdhsa_user_sgpr_count 2
		.amdhsa_user_sgpr_dispatch_ptr 0
		.amdhsa_user_sgpr_queue_ptr 0
		.amdhsa_user_sgpr_kernarg_segment_ptr 1
		.amdhsa_user_sgpr_dispatch_id 0
		.amdhsa_user_sgpr_kernarg_preload_length 0
		.amdhsa_user_sgpr_kernarg_preload_offset 0
		.amdhsa_user_sgpr_private_segment_size 0
		.amdhsa_wavefront_size32 1
		.amdhsa_uses_dynamic_stack 0
		.amdhsa_enable_private_segment 0
		.amdhsa_system_sgpr_workgroup_id_x 1
		.amdhsa_system_sgpr_workgroup_id_y 0
		.amdhsa_system_sgpr_workgroup_id_z 0
		.amdhsa_system_sgpr_workgroup_info 0
		.amdhsa_system_vgpr_workitem_id 0
		.amdhsa_next_free_vgpr 1
		.amdhsa_next_free_sgpr 1
		.amdhsa_named_barrier_count 0
		.amdhsa_reserve_vcc 0
		.amdhsa_float_round_mode_32 0
		.amdhsa_float_round_mode_16_64 0
		.amdhsa_float_denorm_mode_32 3
		.amdhsa_float_denorm_mode_16_64 3
		.amdhsa_fp16_overflow 0
		.amdhsa_memory_ordered 1
		.amdhsa_forward_progress 1
		.amdhsa_inst_pref_size 0
		.amdhsa_round_robin_scheduling 0
		.amdhsa_exception_fp_ieee_invalid_op 0
		.amdhsa_exception_fp_denorm_src 0
		.amdhsa_exception_fp_ieee_div_zero 0
		.amdhsa_exception_fp_ieee_overflow 0
		.amdhsa_exception_fp_ieee_underflow 0
		.amdhsa_exception_fp_ieee_inexact 0
		.amdhsa_exception_int_div_zero 0
	.end_amdhsa_kernel
	.section	.text._ZN7rocprim17ROCPRIM_400000_NS6detail17trampoline_kernelINS0_14default_configENS1_25transform_config_selectorIN6thrust23THRUST_200600_302600_NS5tupleIffNS6_9null_typeES8_S8_S8_S8_S8_S8_S8_EELb0EEEZNS1_14transform_implILb0ES3_SA_NS6_6detail15normal_iteratorINS6_10device_ptrIS9_EEEEPS9_NS0_8identityIS9_EEEE10hipError_tT2_T3_mT4_P12ihipStream_tbEUlT_E_NS1_11comp_targetILNS1_3genE10ELNS1_11target_archE1200ELNS1_3gpuE4ELNS1_3repE0EEENS1_30default_config_static_selectorELNS0_4arch9wavefront6targetE0EEEvT1_,"axG",@progbits,_ZN7rocprim17ROCPRIM_400000_NS6detail17trampoline_kernelINS0_14default_configENS1_25transform_config_selectorIN6thrust23THRUST_200600_302600_NS5tupleIffNS6_9null_typeES8_S8_S8_S8_S8_S8_S8_EELb0EEEZNS1_14transform_implILb0ES3_SA_NS6_6detail15normal_iteratorINS6_10device_ptrIS9_EEEEPS9_NS0_8identityIS9_EEEE10hipError_tT2_T3_mT4_P12ihipStream_tbEUlT_E_NS1_11comp_targetILNS1_3genE10ELNS1_11target_archE1200ELNS1_3gpuE4ELNS1_3repE0EEENS1_30default_config_static_selectorELNS0_4arch9wavefront6targetE0EEEvT1_,comdat
.Lfunc_end172:
	.size	_ZN7rocprim17ROCPRIM_400000_NS6detail17trampoline_kernelINS0_14default_configENS1_25transform_config_selectorIN6thrust23THRUST_200600_302600_NS5tupleIffNS6_9null_typeES8_S8_S8_S8_S8_S8_S8_EELb0EEEZNS1_14transform_implILb0ES3_SA_NS6_6detail15normal_iteratorINS6_10device_ptrIS9_EEEEPS9_NS0_8identityIS9_EEEE10hipError_tT2_T3_mT4_P12ihipStream_tbEUlT_E_NS1_11comp_targetILNS1_3genE10ELNS1_11target_archE1200ELNS1_3gpuE4ELNS1_3repE0EEENS1_30default_config_static_selectorELNS0_4arch9wavefront6targetE0EEEvT1_, .Lfunc_end172-_ZN7rocprim17ROCPRIM_400000_NS6detail17trampoline_kernelINS0_14default_configENS1_25transform_config_selectorIN6thrust23THRUST_200600_302600_NS5tupleIffNS6_9null_typeES8_S8_S8_S8_S8_S8_S8_EELb0EEEZNS1_14transform_implILb0ES3_SA_NS6_6detail15normal_iteratorINS6_10device_ptrIS9_EEEEPS9_NS0_8identityIS9_EEEE10hipError_tT2_T3_mT4_P12ihipStream_tbEUlT_E_NS1_11comp_targetILNS1_3genE10ELNS1_11target_archE1200ELNS1_3gpuE4ELNS1_3repE0EEENS1_30default_config_static_selectorELNS0_4arch9wavefront6targetE0EEEvT1_
                                        ; -- End function
	.set _ZN7rocprim17ROCPRIM_400000_NS6detail17trampoline_kernelINS0_14default_configENS1_25transform_config_selectorIN6thrust23THRUST_200600_302600_NS5tupleIffNS6_9null_typeES8_S8_S8_S8_S8_S8_S8_EELb0EEEZNS1_14transform_implILb0ES3_SA_NS6_6detail15normal_iteratorINS6_10device_ptrIS9_EEEEPS9_NS0_8identityIS9_EEEE10hipError_tT2_T3_mT4_P12ihipStream_tbEUlT_E_NS1_11comp_targetILNS1_3genE10ELNS1_11target_archE1200ELNS1_3gpuE4ELNS1_3repE0EEENS1_30default_config_static_selectorELNS0_4arch9wavefront6targetE0EEEvT1_.num_vgpr, 0
	.set _ZN7rocprim17ROCPRIM_400000_NS6detail17trampoline_kernelINS0_14default_configENS1_25transform_config_selectorIN6thrust23THRUST_200600_302600_NS5tupleIffNS6_9null_typeES8_S8_S8_S8_S8_S8_S8_EELb0EEEZNS1_14transform_implILb0ES3_SA_NS6_6detail15normal_iteratorINS6_10device_ptrIS9_EEEEPS9_NS0_8identityIS9_EEEE10hipError_tT2_T3_mT4_P12ihipStream_tbEUlT_E_NS1_11comp_targetILNS1_3genE10ELNS1_11target_archE1200ELNS1_3gpuE4ELNS1_3repE0EEENS1_30default_config_static_selectorELNS0_4arch9wavefront6targetE0EEEvT1_.num_agpr, 0
	.set _ZN7rocprim17ROCPRIM_400000_NS6detail17trampoline_kernelINS0_14default_configENS1_25transform_config_selectorIN6thrust23THRUST_200600_302600_NS5tupleIffNS6_9null_typeES8_S8_S8_S8_S8_S8_S8_EELb0EEEZNS1_14transform_implILb0ES3_SA_NS6_6detail15normal_iteratorINS6_10device_ptrIS9_EEEEPS9_NS0_8identityIS9_EEEE10hipError_tT2_T3_mT4_P12ihipStream_tbEUlT_E_NS1_11comp_targetILNS1_3genE10ELNS1_11target_archE1200ELNS1_3gpuE4ELNS1_3repE0EEENS1_30default_config_static_selectorELNS0_4arch9wavefront6targetE0EEEvT1_.numbered_sgpr, 0
	.set _ZN7rocprim17ROCPRIM_400000_NS6detail17trampoline_kernelINS0_14default_configENS1_25transform_config_selectorIN6thrust23THRUST_200600_302600_NS5tupleIffNS6_9null_typeES8_S8_S8_S8_S8_S8_S8_EELb0EEEZNS1_14transform_implILb0ES3_SA_NS6_6detail15normal_iteratorINS6_10device_ptrIS9_EEEEPS9_NS0_8identityIS9_EEEE10hipError_tT2_T3_mT4_P12ihipStream_tbEUlT_E_NS1_11comp_targetILNS1_3genE10ELNS1_11target_archE1200ELNS1_3gpuE4ELNS1_3repE0EEENS1_30default_config_static_selectorELNS0_4arch9wavefront6targetE0EEEvT1_.num_named_barrier, 0
	.set _ZN7rocprim17ROCPRIM_400000_NS6detail17trampoline_kernelINS0_14default_configENS1_25transform_config_selectorIN6thrust23THRUST_200600_302600_NS5tupleIffNS6_9null_typeES8_S8_S8_S8_S8_S8_S8_EELb0EEEZNS1_14transform_implILb0ES3_SA_NS6_6detail15normal_iteratorINS6_10device_ptrIS9_EEEEPS9_NS0_8identityIS9_EEEE10hipError_tT2_T3_mT4_P12ihipStream_tbEUlT_E_NS1_11comp_targetILNS1_3genE10ELNS1_11target_archE1200ELNS1_3gpuE4ELNS1_3repE0EEENS1_30default_config_static_selectorELNS0_4arch9wavefront6targetE0EEEvT1_.private_seg_size, 0
	.set _ZN7rocprim17ROCPRIM_400000_NS6detail17trampoline_kernelINS0_14default_configENS1_25transform_config_selectorIN6thrust23THRUST_200600_302600_NS5tupleIffNS6_9null_typeES8_S8_S8_S8_S8_S8_S8_EELb0EEEZNS1_14transform_implILb0ES3_SA_NS6_6detail15normal_iteratorINS6_10device_ptrIS9_EEEEPS9_NS0_8identityIS9_EEEE10hipError_tT2_T3_mT4_P12ihipStream_tbEUlT_E_NS1_11comp_targetILNS1_3genE10ELNS1_11target_archE1200ELNS1_3gpuE4ELNS1_3repE0EEENS1_30default_config_static_selectorELNS0_4arch9wavefront6targetE0EEEvT1_.uses_vcc, 0
	.set _ZN7rocprim17ROCPRIM_400000_NS6detail17trampoline_kernelINS0_14default_configENS1_25transform_config_selectorIN6thrust23THRUST_200600_302600_NS5tupleIffNS6_9null_typeES8_S8_S8_S8_S8_S8_S8_EELb0EEEZNS1_14transform_implILb0ES3_SA_NS6_6detail15normal_iteratorINS6_10device_ptrIS9_EEEEPS9_NS0_8identityIS9_EEEE10hipError_tT2_T3_mT4_P12ihipStream_tbEUlT_E_NS1_11comp_targetILNS1_3genE10ELNS1_11target_archE1200ELNS1_3gpuE4ELNS1_3repE0EEENS1_30default_config_static_selectorELNS0_4arch9wavefront6targetE0EEEvT1_.uses_flat_scratch, 0
	.set _ZN7rocprim17ROCPRIM_400000_NS6detail17trampoline_kernelINS0_14default_configENS1_25transform_config_selectorIN6thrust23THRUST_200600_302600_NS5tupleIffNS6_9null_typeES8_S8_S8_S8_S8_S8_S8_EELb0EEEZNS1_14transform_implILb0ES3_SA_NS6_6detail15normal_iteratorINS6_10device_ptrIS9_EEEEPS9_NS0_8identityIS9_EEEE10hipError_tT2_T3_mT4_P12ihipStream_tbEUlT_E_NS1_11comp_targetILNS1_3genE10ELNS1_11target_archE1200ELNS1_3gpuE4ELNS1_3repE0EEENS1_30default_config_static_selectorELNS0_4arch9wavefront6targetE0EEEvT1_.has_dyn_sized_stack, 0
	.set _ZN7rocprim17ROCPRIM_400000_NS6detail17trampoline_kernelINS0_14default_configENS1_25transform_config_selectorIN6thrust23THRUST_200600_302600_NS5tupleIffNS6_9null_typeES8_S8_S8_S8_S8_S8_S8_EELb0EEEZNS1_14transform_implILb0ES3_SA_NS6_6detail15normal_iteratorINS6_10device_ptrIS9_EEEEPS9_NS0_8identityIS9_EEEE10hipError_tT2_T3_mT4_P12ihipStream_tbEUlT_E_NS1_11comp_targetILNS1_3genE10ELNS1_11target_archE1200ELNS1_3gpuE4ELNS1_3repE0EEENS1_30default_config_static_selectorELNS0_4arch9wavefront6targetE0EEEvT1_.has_recursion, 0
	.set _ZN7rocprim17ROCPRIM_400000_NS6detail17trampoline_kernelINS0_14default_configENS1_25transform_config_selectorIN6thrust23THRUST_200600_302600_NS5tupleIffNS6_9null_typeES8_S8_S8_S8_S8_S8_S8_EELb0EEEZNS1_14transform_implILb0ES3_SA_NS6_6detail15normal_iteratorINS6_10device_ptrIS9_EEEEPS9_NS0_8identityIS9_EEEE10hipError_tT2_T3_mT4_P12ihipStream_tbEUlT_E_NS1_11comp_targetILNS1_3genE10ELNS1_11target_archE1200ELNS1_3gpuE4ELNS1_3repE0EEENS1_30default_config_static_selectorELNS0_4arch9wavefront6targetE0EEEvT1_.has_indirect_call, 0
	.section	.AMDGPU.csdata,"",@progbits
; Kernel info:
; codeLenInByte = 0
; TotalNumSgprs: 0
; NumVgprs: 0
; ScratchSize: 0
; MemoryBound: 0
; FloatMode: 240
; IeeeMode: 1
; LDSByteSize: 0 bytes/workgroup (compile time only)
; SGPRBlocks: 0
; VGPRBlocks: 0
; NumSGPRsForWavesPerEU: 1
; NumVGPRsForWavesPerEU: 1
; NamedBarCnt: 0
; Occupancy: 16
; WaveLimiterHint : 0
; COMPUTE_PGM_RSRC2:SCRATCH_EN: 0
; COMPUTE_PGM_RSRC2:USER_SGPR: 2
; COMPUTE_PGM_RSRC2:TRAP_HANDLER: 0
; COMPUTE_PGM_RSRC2:TGID_X_EN: 1
; COMPUTE_PGM_RSRC2:TGID_Y_EN: 0
; COMPUTE_PGM_RSRC2:TGID_Z_EN: 0
; COMPUTE_PGM_RSRC2:TIDIG_COMP_CNT: 0
	.section	.text._ZN7rocprim17ROCPRIM_400000_NS6detail17trampoline_kernelINS0_14default_configENS1_25transform_config_selectorIN6thrust23THRUST_200600_302600_NS5tupleIffNS6_9null_typeES8_S8_S8_S8_S8_S8_S8_EELb0EEEZNS1_14transform_implILb0ES3_SA_NS6_6detail15normal_iteratorINS6_10device_ptrIS9_EEEEPS9_NS0_8identityIS9_EEEE10hipError_tT2_T3_mT4_P12ihipStream_tbEUlT_E_NS1_11comp_targetILNS1_3genE9ELNS1_11target_archE1100ELNS1_3gpuE3ELNS1_3repE0EEENS1_30default_config_static_selectorELNS0_4arch9wavefront6targetE0EEEvT1_,"axG",@progbits,_ZN7rocprim17ROCPRIM_400000_NS6detail17trampoline_kernelINS0_14default_configENS1_25transform_config_selectorIN6thrust23THRUST_200600_302600_NS5tupleIffNS6_9null_typeES8_S8_S8_S8_S8_S8_S8_EELb0EEEZNS1_14transform_implILb0ES3_SA_NS6_6detail15normal_iteratorINS6_10device_ptrIS9_EEEEPS9_NS0_8identityIS9_EEEE10hipError_tT2_T3_mT4_P12ihipStream_tbEUlT_E_NS1_11comp_targetILNS1_3genE9ELNS1_11target_archE1100ELNS1_3gpuE3ELNS1_3repE0EEENS1_30default_config_static_selectorELNS0_4arch9wavefront6targetE0EEEvT1_,comdat
	.protected	_ZN7rocprim17ROCPRIM_400000_NS6detail17trampoline_kernelINS0_14default_configENS1_25transform_config_selectorIN6thrust23THRUST_200600_302600_NS5tupleIffNS6_9null_typeES8_S8_S8_S8_S8_S8_S8_EELb0EEEZNS1_14transform_implILb0ES3_SA_NS6_6detail15normal_iteratorINS6_10device_ptrIS9_EEEEPS9_NS0_8identityIS9_EEEE10hipError_tT2_T3_mT4_P12ihipStream_tbEUlT_E_NS1_11comp_targetILNS1_3genE9ELNS1_11target_archE1100ELNS1_3gpuE3ELNS1_3repE0EEENS1_30default_config_static_selectorELNS0_4arch9wavefront6targetE0EEEvT1_ ; -- Begin function _ZN7rocprim17ROCPRIM_400000_NS6detail17trampoline_kernelINS0_14default_configENS1_25transform_config_selectorIN6thrust23THRUST_200600_302600_NS5tupleIffNS6_9null_typeES8_S8_S8_S8_S8_S8_S8_EELb0EEEZNS1_14transform_implILb0ES3_SA_NS6_6detail15normal_iteratorINS6_10device_ptrIS9_EEEEPS9_NS0_8identityIS9_EEEE10hipError_tT2_T3_mT4_P12ihipStream_tbEUlT_E_NS1_11comp_targetILNS1_3genE9ELNS1_11target_archE1100ELNS1_3gpuE3ELNS1_3repE0EEENS1_30default_config_static_selectorELNS0_4arch9wavefront6targetE0EEEvT1_
	.globl	_ZN7rocprim17ROCPRIM_400000_NS6detail17trampoline_kernelINS0_14default_configENS1_25transform_config_selectorIN6thrust23THRUST_200600_302600_NS5tupleIffNS6_9null_typeES8_S8_S8_S8_S8_S8_S8_EELb0EEEZNS1_14transform_implILb0ES3_SA_NS6_6detail15normal_iteratorINS6_10device_ptrIS9_EEEEPS9_NS0_8identityIS9_EEEE10hipError_tT2_T3_mT4_P12ihipStream_tbEUlT_E_NS1_11comp_targetILNS1_3genE9ELNS1_11target_archE1100ELNS1_3gpuE3ELNS1_3repE0EEENS1_30default_config_static_selectorELNS0_4arch9wavefront6targetE0EEEvT1_
	.p2align	8
	.type	_ZN7rocprim17ROCPRIM_400000_NS6detail17trampoline_kernelINS0_14default_configENS1_25transform_config_selectorIN6thrust23THRUST_200600_302600_NS5tupleIffNS6_9null_typeES8_S8_S8_S8_S8_S8_S8_EELb0EEEZNS1_14transform_implILb0ES3_SA_NS6_6detail15normal_iteratorINS6_10device_ptrIS9_EEEEPS9_NS0_8identityIS9_EEEE10hipError_tT2_T3_mT4_P12ihipStream_tbEUlT_E_NS1_11comp_targetILNS1_3genE9ELNS1_11target_archE1100ELNS1_3gpuE3ELNS1_3repE0EEENS1_30default_config_static_selectorELNS0_4arch9wavefront6targetE0EEEvT1_,@function
_ZN7rocprim17ROCPRIM_400000_NS6detail17trampoline_kernelINS0_14default_configENS1_25transform_config_selectorIN6thrust23THRUST_200600_302600_NS5tupleIffNS6_9null_typeES8_S8_S8_S8_S8_S8_S8_EELb0EEEZNS1_14transform_implILb0ES3_SA_NS6_6detail15normal_iteratorINS6_10device_ptrIS9_EEEEPS9_NS0_8identityIS9_EEEE10hipError_tT2_T3_mT4_P12ihipStream_tbEUlT_E_NS1_11comp_targetILNS1_3genE9ELNS1_11target_archE1100ELNS1_3gpuE3ELNS1_3repE0EEENS1_30default_config_static_selectorELNS0_4arch9wavefront6targetE0EEEvT1_: ; @_ZN7rocprim17ROCPRIM_400000_NS6detail17trampoline_kernelINS0_14default_configENS1_25transform_config_selectorIN6thrust23THRUST_200600_302600_NS5tupleIffNS6_9null_typeES8_S8_S8_S8_S8_S8_S8_EELb0EEEZNS1_14transform_implILb0ES3_SA_NS6_6detail15normal_iteratorINS6_10device_ptrIS9_EEEEPS9_NS0_8identityIS9_EEEE10hipError_tT2_T3_mT4_P12ihipStream_tbEUlT_E_NS1_11comp_targetILNS1_3genE9ELNS1_11target_archE1100ELNS1_3gpuE3ELNS1_3repE0EEENS1_30default_config_static_selectorELNS0_4arch9wavefront6targetE0EEEvT1_
; %bb.0:
	.section	.rodata,"a",@progbits
	.p2align	6, 0x0
	.amdhsa_kernel _ZN7rocprim17ROCPRIM_400000_NS6detail17trampoline_kernelINS0_14default_configENS1_25transform_config_selectorIN6thrust23THRUST_200600_302600_NS5tupleIffNS6_9null_typeES8_S8_S8_S8_S8_S8_S8_EELb0EEEZNS1_14transform_implILb0ES3_SA_NS6_6detail15normal_iteratorINS6_10device_ptrIS9_EEEEPS9_NS0_8identityIS9_EEEE10hipError_tT2_T3_mT4_P12ihipStream_tbEUlT_E_NS1_11comp_targetILNS1_3genE9ELNS1_11target_archE1100ELNS1_3gpuE3ELNS1_3repE0EEENS1_30default_config_static_selectorELNS0_4arch9wavefront6targetE0EEEvT1_
		.amdhsa_group_segment_fixed_size 0
		.amdhsa_private_segment_fixed_size 0
		.amdhsa_kernarg_size 40
		.amdhsa_user_sgpr_count 2
		.amdhsa_user_sgpr_dispatch_ptr 0
		.amdhsa_user_sgpr_queue_ptr 0
		.amdhsa_user_sgpr_kernarg_segment_ptr 1
		.amdhsa_user_sgpr_dispatch_id 0
		.amdhsa_user_sgpr_kernarg_preload_length 0
		.amdhsa_user_sgpr_kernarg_preload_offset 0
		.amdhsa_user_sgpr_private_segment_size 0
		.amdhsa_wavefront_size32 1
		.amdhsa_uses_dynamic_stack 0
		.amdhsa_enable_private_segment 0
		.amdhsa_system_sgpr_workgroup_id_x 1
		.amdhsa_system_sgpr_workgroup_id_y 0
		.amdhsa_system_sgpr_workgroup_id_z 0
		.amdhsa_system_sgpr_workgroup_info 0
		.amdhsa_system_vgpr_workitem_id 0
		.amdhsa_next_free_vgpr 1
		.amdhsa_next_free_sgpr 1
		.amdhsa_named_barrier_count 0
		.amdhsa_reserve_vcc 0
		.amdhsa_float_round_mode_32 0
		.amdhsa_float_round_mode_16_64 0
		.amdhsa_float_denorm_mode_32 3
		.amdhsa_float_denorm_mode_16_64 3
		.amdhsa_fp16_overflow 0
		.amdhsa_memory_ordered 1
		.amdhsa_forward_progress 1
		.amdhsa_inst_pref_size 0
		.amdhsa_round_robin_scheduling 0
		.amdhsa_exception_fp_ieee_invalid_op 0
		.amdhsa_exception_fp_denorm_src 0
		.amdhsa_exception_fp_ieee_div_zero 0
		.amdhsa_exception_fp_ieee_overflow 0
		.amdhsa_exception_fp_ieee_underflow 0
		.amdhsa_exception_fp_ieee_inexact 0
		.amdhsa_exception_int_div_zero 0
	.end_amdhsa_kernel
	.section	.text._ZN7rocprim17ROCPRIM_400000_NS6detail17trampoline_kernelINS0_14default_configENS1_25transform_config_selectorIN6thrust23THRUST_200600_302600_NS5tupleIffNS6_9null_typeES8_S8_S8_S8_S8_S8_S8_EELb0EEEZNS1_14transform_implILb0ES3_SA_NS6_6detail15normal_iteratorINS6_10device_ptrIS9_EEEEPS9_NS0_8identityIS9_EEEE10hipError_tT2_T3_mT4_P12ihipStream_tbEUlT_E_NS1_11comp_targetILNS1_3genE9ELNS1_11target_archE1100ELNS1_3gpuE3ELNS1_3repE0EEENS1_30default_config_static_selectorELNS0_4arch9wavefront6targetE0EEEvT1_,"axG",@progbits,_ZN7rocprim17ROCPRIM_400000_NS6detail17trampoline_kernelINS0_14default_configENS1_25transform_config_selectorIN6thrust23THRUST_200600_302600_NS5tupleIffNS6_9null_typeES8_S8_S8_S8_S8_S8_S8_EELb0EEEZNS1_14transform_implILb0ES3_SA_NS6_6detail15normal_iteratorINS6_10device_ptrIS9_EEEEPS9_NS0_8identityIS9_EEEE10hipError_tT2_T3_mT4_P12ihipStream_tbEUlT_E_NS1_11comp_targetILNS1_3genE9ELNS1_11target_archE1100ELNS1_3gpuE3ELNS1_3repE0EEENS1_30default_config_static_selectorELNS0_4arch9wavefront6targetE0EEEvT1_,comdat
.Lfunc_end173:
	.size	_ZN7rocprim17ROCPRIM_400000_NS6detail17trampoline_kernelINS0_14default_configENS1_25transform_config_selectorIN6thrust23THRUST_200600_302600_NS5tupleIffNS6_9null_typeES8_S8_S8_S8_S8_S8_S8_EELb0EEEZNS1_14transform_implILb0ES3_SA_NS6_6detail15normal_iteratorINS6_10device_ptrIS9_EEEEPS9_NS0_8identityIS9_EEEE10hipError_tT2_T3_mT4_P12ihipStream_tbEUlT_E_NS1_11comp_targetILNS1_3genE9ELNS1_11target_archE1100ELNS1_3gpuE3ELNS1_3repE0EEENS1_30default_config_static_selectorELNS0_4arch9wavefront6targetE0EEEvT1_, .Lfunc_end173-_ZN7rocprim17ROCPRIM_400000_NS6detail17trampoline_kernelINS0_14default_configENS1_25transform_config_selectorIN6thrust23THRUST_200600_302600_NS5tupleIffNS6_9null_typeES8_S8_S8_S8_S8_S8_S8_EELb0EEEZNS1_14transform_implILb0ES3_SA_NS6_6detail15normal_iteratorINS6_10device_ptrIS9_EEEEPS9_NS0_8identityIS9_EEEE10hipError_tT2_T3_mT4_P12ihipStream_tbEUlT_E_NS1_11comp_targetILNS1_3genE9ELNS1_11target_archE1100ELNS1_3gpuE3ELNS1_3repE0EEENS1_30default_config_static_selectorELNS0_4arch9wavefront6targetE0EEEvT1_
                                        ; -- End function
	.set _ZN7rocprim17ROCPRIM_400000_NS6detail17trampoline_kernelINS0_14default_configENS1_25transform_config_selectorIN6thrust23THRUST_200600_302600_NS5tupleIffNS6_9null_typeES8_S8_S8_S8_S8_S8_S8_EELb0EEEZNS1_14transform_implILb0ES3_SA_NS6_6detail15normal_iteratorINS6_10device_ptrIS9_EEEEPS9_NS0_8identityIS9_EEEE10hipError_tT2_T3_mT4_P12ihipStream_tbEUlT_E_NS1_11comp_targetILNS1_3genE9ELNS1_11target_archE1100ELNS1_3gpuE3ELNS1_3repE0EEENS1_30default_config_static_selectorELNS0_4arch9wavefront6targetE0EEEvT1_.num_vgpr, 0
	.set _ZN7rocprim17ROCPRIM_400000_NS6detail17trampoline_kernelINS0_14default_configENS1_25transform_config_selectorIN6thrust23THRUST_200600_302600_NS5tupleIffNS6_9null_typeES8_S8_S8_S8_S8_S8_S8_EELb0EEEZNS1_14transform_implILb0ES3_SA_NS6_6detail15normal_iteratorINS6_10device_ptrIS9_EEEEPS9_NS0_8identityIS9_EEEE10hipError_tT2_T3_mT4_P12ihipStream_tbEUlT_E_NS1_11comp_targetILNS1_3genE9ELNS1_11target_archE1100ELNS1_3gpuE3ELNS1_3repE0EEENS1_30default_config_static_selectorELNS0_4arch9wavefront6targetE0EEEvT1_.num_agpr, 0
	.set _ZN7rocprim17ROCPRIM_400000_NS6detail17trampoline_kernelINS0_14default_configENS1_25transform_config_selectorIN6thrust23THRUST_200600_302600_NS5tupleIffNS6_9null_typeES8_S8_S8_S8_S8_S8_S8_EELb0EEEZNS1_14transform_implILb0ES3_SA_NS6_6detail15normal_iteratorINS6_10device_ptrIS9_EEEEPS9_NS0_8identityIS9_EEEE10hipError_tT2_T3_mT4_P12ihipStream_tbEUlT_E_NS1_11comp_targetILNS1_3genE9ELNS1_11target_archE1100ELNS1_3gpuE3ELNS1_3repE0EEENS1_30default_config_static_selectorELNS0_4arch9wavefront6targetE0EEEvT1_.numbered_sgpr, 0
	.set _ZN7rocprim17ROCPRIM_400000_NS6detail17trampoline_kernelINS0_14default_configENS1_25transform_config_selectorIN6thrust23THRUST_200600_302600_NS5tupleIffNS6_9null_typeES8_S8_S8_S8_S8_S8_S8_EELb0EEEZNS1_14transform_implILb0ES3_SA_NS6_6detail15normal_iteratorINS6_10device_ptrIS9_EEEEPS9_NS0_8identityIS9_EEEE10hipError_tT2_T3_mT4_P12ihipStream_tbEUlT_E_NS1_11comp_targetILNS1_3genE9ELNS1_11target_archE1100ELNS1_3gpuE3ELNS1_3repE0EEENS1_30default_config_static_selectorELNS0_4arch9wavefront6targetE0EEEvT1_.num_named_barrier, 0
	.set _ZN7rocprim17ROCPRIM_400000_NS6detail17trampoline_kernelINS0_14default_configENS1_25transform_config_selectorIN6thrust23THRUST_200600_302600_NS5tupleIffNS6_9null_typeES8_S8_S8_S8_S8_S8_S8_EELb0EEEZNS1_14transform_implILb0ES3_SA_NS6_6detail15normal_iteratorINS6_10device_ptrIS9_EEEEPS9_NS0_8identityIS9_EEEE10hipError_tT2_T3_mT4_P12ihipStream_tbEUlT_E_NS1_11comp_targetILNS1_3genE9ELNS1_11target_archE1100ELNS1_3gpuE3ELNS1_3repE0EEENS1_30default_config_static_selectorELNS0_4arch9wavefront6targetE0EEEvT1_.private_seg_size, 0
	.set _ZN7rocprim17ROCPRIM_400000_NS6detail17trampoline_kernelINS0_14default_configENS1_25transform_config_selectorIN6thrust23THRUST_200600_302600_NS5tupleIffNS6_9null_typeES8_S8_S8_S8_S8_S8_S8_EELb0EEEZNS1_14transform_implILb0ES3_SA_NS6_6detail15normal_iteratorINS6_10device_ptrIS9_EEEEPS9_NS0_8identityIS9_EEEE10hipError_tT2_T3_mT4_P12ihipStream_tbEUlT_E_NS1_11comp_targetILNS1_3genE9ELNS1_11target_archE1100ELNS1_3gpuE3ELNS1_3repE0EEENS1_30default_config_static_selectorELNS0_4arch9wavefront6targetE0EEEvT1_.uses_vcc, 0
	.set _ZN7rocprim17ROCPRIM_400000_NS6detail17trampoline_kernelINS0_14default_configENS1_25transform_config_selectorIN6thrust23THRUST_200600_302600_NS5tupleIffNS6_9null_typeES8_S8_S8_S8_S8_S8_S8_EELb0EEEZNS1_14transform_implILb0ES3_SA_NS6_6detail15normal_iteratorINS6_10device_ptrIS9_EEEEPS9_NS0_8identityIS9_EEEE10hipError_tT2_T3_mT4_P12ihipStream_tbEUlT_E_NS1_11comp_targetILNS1_3genE9ELNS1_11target_archE1100ELNS1_3gpuE3ELNS1_3repE0EEENS1_30default_config_static_selectorELNS0_4arch9wavefront6targetE0EEEvT1_.uses_flat_scratch, 0
	.set _ZN7rocprim17ROCPRIM_400000_NS6detail17trampoline_kernelINS0_14default_configENS1_25transform_config_selectorIN6thrust23THRUST_200600_302600_NS5tupleIffNS6_9null_typeES8_S8_S8_S8_S8_S8_S8_EELb0EEEZNS1_14transform_implILb0ES3_SA_NS6_6detail15normal_iteratorINS6_10device_ptrIS9_EEEEPS9_NS0_8identityIS9_EEEE10hipError_tT2_T3_mT4_P12ihipStream_tbEUlT_E_NS1_11comp_targetILNS1_3genE9ELNS1_11target_archE1100ELNS1_3gpuE3ELNS1_3repE0EEENS1_30default_config_static_selectorELNS0_4arch9wavefront6targetE0EEEvT1_.has_dyn_sized_stack, 0
	.set _ZN7rocprim17ROCPRIM_400000_NS6detail17trampoline_kernelINS0_14default_configENS1_25transform_config_selectorIN6thrust23THRUST_200600_302600_NS5tupleIffNS6_9null_typeES8_S8_S8_S8_S8_S8_S8_EELb0EEEZNS1_14transform_implILb0ES3_SA_NS6_6detail15normal_iteratorINS6_10device_ptrIS9_EEEEPS9_NS0_8identityIS9_EEEE10hipError_tT2_T3_mT4_P12ihipStream_tbEUlT_E_NS1_11comp_targetILNS1_3genE9ELNS1_11target_archE1100ELNS1_3gpuE3ELNS1_3repE0EEENS1_30default_config_static_selectorELNS0_4arch9wavefront6targetE0EEEvT1_.has_recursion, 0
	.set _ZN7rocprim17ROCPRIM_400000_NS6detail17trampoline_kernelINS0_14default_configENS1_25transform_config_selectorIN6thrust23THRUST_200600_302600_NS5tupleIffNS6_9null_typeES8_S8_S8_S8_S8_S8_S8_EELb0EEEZNS1_14transform_implILb0ES3_SA_NS6_6detail15normal_iteratorINS6_10device_ptrIS9_EEEEPS9_NS0_8identityIS9_EEEE10hipError_tT2_T3_mT4_P12ihipStream_tbEUlT_E_NS1_11comp_targetILNS1_3genE9ELNS1_11target_archE1100ELNS1_3gpuE3ELNS1_3repE0EEENS1_30default_config_static_selectorELNS0_4arch9wavefront6targetE0EEEvT1_.has_indirect_call, 0
	.section	.AMDGPU.csdata,"",@progbits
; Kernel info:
; codeLenInByte = 0
; TotalNumSgprs: 0
; NumVgprs: 0
; ScratchSize: 0
; MemoryBound: 0
; FloatMode: 240
; IeeeMode: 1
; LDSByteSize: 0 bytes/workgroup (compile time only)
; SGPRBlocks: 0
; VGPRBlocks: 0
; NumSGPRsForWavesPerEU: 1
; NumVGPRsForWavesPerEU: 1
; NamedBarCnt: 0
; Occupancy: 16
; WaveLimiterHint : 0
; COMPUTE_PGM_RSRC2:SCRATCH_EN: 0
; COMPUTE_PGM_RSRC2:USER_SGPR: 2
; COMPUTE_PGM_RSRC2:TRAP_HANDLER: 0
; COMPUTE_PGM_RSRC2:TGID_X_EN: 1
; COMPUTE_PGM_RSRC2:TGID_Y_EN: 0
; COMPUTE_PGM_RSRC2:TGID_Z_EN: 0
; COMPUTE_PGM_RSRC2:TIDIG_COMP_CNT: 0
	.section	.text._ZN7rocprim17ROCPRIM_400000_NS6detail17trampoline_kernelINS0_14default_configENS1_25transform_config_selectorIN6thrust23THRUST_200600_302600_NS5tupleIffNS6_9null_typeES8_S8_S8_S8_S8_S8_S8_EELb0EEEZNS1_14transform_implILb0ES3_SA_NS6_6detail15normal_iteratorINS6_10device_ptrIS9_EEEEPS9_NS0_8identityIS9_EEEE10hipError_tT2_T3_mT4_P12ihipStream_tbEUlT_E_NS1_11comp_targetILNS1_3genE8ELNS1_11target_archE1030ELNS1_3gpuE2ELNS1_3repE0EEENS1_30default_config_static_selectorELNS0_4arch9wavefront6targetE0EEEvT1_,"axG",@progbits,_ZN7rocprim17ROCPRIM_400000_NS6detail17trampoline_kernelINS0_14default_configENS1_25transform_config_selectorIN6thrust23THRUST_200600_302600_NS5tupleIffNS6_9null_typeES8_S8_S8_S8_S8_S8_S8_EELb0EEEZNS1_14transform_implILb0ES3_SA_NS6_6detail15normal_iteratorINS6_10device_ptrIS9_EEEEPS9_NS0_8identityIS9_EEEE10hipError_tT2_T3_mT4_P12ihipStream_tbEUlT_E_NS1_11comp_targetILNS1_3genE8ELNS1_11target_archE1030ELNS1_3gpuE2ELNS1_3repE0EEENS1_30default_config_static_selectorELNS0_4arch9wavefront6targetE0EEEvT1_,comdat
	.protected	_ZN7rocprim17ROCPRIM_400000_NS6detail17trampoline_kernelINS0_14default_configENS1_25transform_config_selectorIN6thrust23THRUST_200600_302600_NS5tupleIffNS6_9null_typeES8_S8_S8_S8_S8_S8_S8_EELb0EEEZNS1_14transform_implILb0ES3_SA_NS6_6detail15normal_iteratorINS6_10device_ptrIS9_EEEEPS9_NS0_8identityIS9_EEEE10hipError_tT2_T3_mT4_P12ihipStream_tbEUlT_E_NS1_11comp_targetILNS1_3genE8ELNS1_11target_archE1030ELNS1_3gpuE2ELNS1_3repE0EEENS1_30default_config_static_selectorELNS0_4arch9wavefront6targetE0EEEvT1_ ; -- Begin function _ZN7rocprim17ROCPRIM_400000_NS6detail17trampoline_kernelINS0_14default_configENS1_25transform_config_selectorIN6thrust23THRUST_200600_302600_NS5tupleIffNS6_9null_typeES8_S8_S8_S8_S8_S8_S8_EELb0EEEZNS1_14transform_implILb0ES3_SA_NS6_6detail15normal_iteratorINS6_10device_ptrIS9_EEEEPS9_NS0_8identityIS9_EEEE10hipError_tT2_T3_mT4_P12ihipStream_tbEUlT_E_NS1_11comp_targetILNS1_3genE8ELNS1_11target_archE1030ELNS1_3gpuE2ELNS1_3repE0EEENS1_30default_config_static_selectorELNS0_4arch9wavefront6targetE0EEEvT1_
	.globl	_ZN7rocprim17ROCPRIM_400000_NS6detail17trampoline_kernelINS0_14default_configENS1_25transform_config_selectorIN6thrust23THRUST_200600_302600_NS5tupleIffNS6_9null_typeES8_S8_S8_S8_S8_S8_S8_EELb0EEEZNS1_14transform_implILb0ES3_SA_NS6_6detail15normal_iteratorINS6_10device_ptrIS9_EEEEPS9_NS0_8identityIS9_EEEE10hipError_tT2_T3_mT4_P12ihipStream_tbEUlT_E_NS1_11comp_targetILNS1_3genE8ELNS1_11target_archE1030ELNS1_3gpuE2ELNS1_3repE0EEENS1_30default_config_static_selectorELNS0_4arch9wavefront6targetE0EEEvT1_
	.p2align	8
	.type	_ZN7rocprim17ROCPRIM_400000_NS6detail17trampoline_kernelINS0_14default_configENS1_25transform_config_selectorIN6thrust23THRUST_200600_302600_NS5tupleIffNS6_9null_typeES8_S8_S8_S8_S8_S8_S8_EELb0EEEZNS1_14transform_implILb0ES3_SA_NS6_6detail15normal_iteratorINS6_10device_ptrIS9_EEEEPS9_NS0_8identityIS9_EEEE10hipError_tT2_T3_mT4_P12ihipStream_tbEUlT_E_NS1_11comp_targetILNS1_3genE8ELNS1_11target_archE1030ELNS1_3gpuE2ELNS1_3repE0EEENS1_30default_config_static_selectorELNS0_4arch9wavefront6targetE0EEEvT1_,@function
_ZN7rocprim17ROCPRIM_400000_NS6detail17trampoline_kernelINS0_14default_configENS1_25transform_config_selectorIN6thrust23THRUST_200600_302600_NS5tupleIffNS6_9null_typeES8_S8_S8_S8_S8_S8_S8_EELb0EEEZNS1_14transform_implILb0ES3_SA_NS6_6detail15normal_iteratorINS6_10device_ptrIS9_EEEEPS9_NS0_8identityIS9_EEEE10hipError_tT2_T3_mT4_P12ihipStream_tbEUlT_E_NS1_11comp_targetILNS1_3genE8ELNS1_11target_archE1030ELNS1_3gpuE2ELNS1_3repE0EEENS1_30default_config_static_selectorELNS0_4arch9wavefront6targetE0EEEvT1_: ; @_ZN7rocprim17ROCPRIM_400000_NS6detail17trampoline_kernelINS0_14default_configENS1_25transform_config_selectorIN6thrust23THRUST_200600_302600_NS5tupleIffNS6_9null_typeES8_S8_S8_S8_S8_S8_S8_EELb0EEEZNS1_14transform_implILb0ES3_SA_NS6_6detail15normal_iteratorINS6_10device_ptrIS9_EEEEPS9_NS0_8identityIS9_EEEE10hipError_tT2_T3_mT4_P12ihipStream_tbEUlT_E_NS1_11comp_targetILNS1_3genE8ELNS1_11target_archE1030ELNS1_3gpuE2ELNS1_3repE0EEENS1_30default_config_static_selectorELNS0_4arch9wavefront6targetE0EEEvT1_
; %bb.0:
	.section	.rodata,"a",@progbits
	.p2align	6, 0x0
	.amdhsa_kernel _ZN7rocprim17ROCPRIM_400000_NS6detail17trampoline_kernelINS0_14default_configENS1_25transform_config_selectorIN6thrust23THRUST_200600_302600_NS5tupleIffNS6_9null_typeES8_S8_S8_S8_S8_S8_S8_EELb0EEEZNS1_14transform_implILb0ES3_SA_NS6_6detail15normal_iteratorINS6_10device_ptrIS9_EEEEPS9_NS0_8identityIS9_EEEE10hipError_tT2_T3_mT4_P12ihipStream_tbEUlT_E_NS1_11comp_targetILNS1_3genE8ELNS1_11target_archE1030ELNS1_3gpuE2ELNS1_3repE0EEENS1_30default_config_static_selectorELNS0_4arch9wavefront6targetE0EEEvT1_
		.amdhsa_group_segment_fixed_size 0
		.amdhsa_private_segment_fixed_size 0
		.amdhsa_kernarg_size 40
		.amdhsa_user_sgpr_count 2
		.amdhsa_user_sgpr_dispatch_ptr 0
		.amdhsa_user_sgpr_queue_ptr 0
		.amdhsa_user_sgpr_kernarg_segment_ptr 1
		.amdhsa_user_sgpr_dispatch_id 0
		.amdhsa_user_sgpr_kernarg_preload_length 0
		.amdhsa_user_sgpr_kernarg_preload_offset 0
		.amdhsa_user_sgpr_private_segment_size 0
		.amdhsa_wavefront_size32 1
		.amdhsa_uses_dynamic_stack 0
		.amdhsa_enable_private_segment 0
		.amdhsa_system_sgpr_workgroup_id_x 1
		.amdhsa_system_sgpr_workgroup_id_y 0
		.amdhsa_system_sgpr_workgroup_id_z 0
		.amdhsa_system_sgpr_workgroup_info 0
		.amdhsa_system_vgpr_workitem_id 0
		.amdhsa_next_free_vgpr 1
		.amdhsa_next_free_sgpr 1
		.amdhsa_named_barrier_count 0
		.amdhsa_reserve_vcc 0
		.amdhsa_float_round_mode_32 0
		.amdhsa_float_round_mode_16_64 0
		.amdhsa_float_denorm_mode_32 3
		.amdhsa_float_denorm_mode_16_64 3
		.amdhsa_fp16_overflow 0
		.amdhsa_memory_ordered 1
		.amdhsa_forward_progress 1
		.amdhsa_inst_pref_size 0
		.amdhsa_round_robin_scheduling 0
		.amdhsa_exception_fp_ieee_invalid_op 0
		.amdhsa_exception_fp_denorm_src 0
		.amdhsa_exception_fp_ieee_div_zero 0
		.amdhsa_exception_fp_ieee_overflow 0
		.amdhsa_exception_fp_ieee_underflow 0
		.amdhsa_exception_fp_ieee_inexact 0
		.amdhsa_exception_int_div_zero 0
	.end_amdhsa_kernel
	.section	.text._ZN7rocprim17ROCPRIM_400000_NS6detail17trampoline_kernelINS0_14default_configENS1_25transform_config_selectorIN6thrust23THRUST_200600_302600_NS5tupleIffNS6_9null_typeES8_S8_S8_S8_S8_S8_S8_EELb0EEEZNS1_14transform_implILb0ES3_SA_NS6_6detail15normal_iteratorINS6_10device_ptrIS9_EEEEPS9_NS0_8identityIS9_EEEE10hipError_tT2_T3_mT4_P12ihipStream_tbEUlT_E_NS1_11comp_targetILNS1_3genE8ELNS1_11target_archE1030ELNS1_3gpuE2ELNS1_3repE0EEENS1_30default_config_static_selectorELNS0_4arch9wavefront6targetE0EEEvT1_,"axG",@progbits,_ZN7rocprim17ROCPRIM_400000_NS6detail17trampoline_kernelINS0_14default_configENS1_25transform_config_selectorIN6thrust23THRUST_200600_302600_NS5tupleIffNS6_9null_typeES8_S8_S8_S8_S8_S8_S8_EELb0EEEZNS1_14transform_implILb0ES3_SA_NS6_6detail15normal_iteratorINS6_10device_ptrIS9_EEEEPS9_NS0_8identityIS9_EEEE10hipError_tT2_T3_mT4_P12ihipStream_tbEUlT_E_NS1_11comp_targetILNS1_3genE8ELNS1_11target_archE1030ELNS1_3gpuE2ELNS1_3repE0EEENS1_30default_config_static_selectorELNS0_4arch9wavefront6targetE0EEEvT1_,comdat
.Lfunc_end174:
	.size	_ZN7rocprim17ROCPRIM_400000_NS6detail17trampoline_kernelINS0_14default_configENS1_25transform_config_selectorIN6thrust23THRUST_200600_302600_NS5tupleIffNS6_9null_typeES8_S8_S8_S8_S8_S8_S8_EELb0EEEZNS1_14transform_implILb0ES3_SA_NS6_6detail15normal_iteratorINS6_10device_ptrIS9_EEEEPS9_NS0_8identityIS9_EEEE10hipError_tT2_T3_mT4_P12ihipStream_tbEUlT_E_NS1_11comp_targetILNS1_3genE8ELNS1_11target_archE1030ELNS1_3gpuE2ELNS1_3repE0EEENS1_30default_config_static_selectorELNS0_4arch9wavefront6targetE0EEEvT1_, .Lfunc_end174-_ZN7rocprim17ROCPRIM_400000_NS6detail17trampoline_kernelINS0_14default_configENS1_25transform_config_selectorIN6thrust23THRUST_200600_302600_NS5tupleIffNS6_9null_typeES8_S8_S8_S8_S8_S8_S8_EELb0EEEZNS1_14transform_implILb0ES3_SA_NS6_6detail15normal_iteratorINS6_10device_ptrIS9_EEEEPS9_NS0_8identityIS9_EEEE10hipError_tT2_T3_mT4_P12ihipStream_tbEUlT_E_NS1_11comp_targetILNS1_3genE8ELNS1_11target_archE1030ELNS1_3gpuE2ELNS1_3repE0EEENS1_30default_config_static_selectorELNS0_4arch9wavefront6targetE0EEEvT1_
                                        ; -- End function
	.set _ZN7rocprim17ROCPRIM_400000_NS6detail17trampoline_kernelINS0_14default_configENS1_25transform_config_selectorIN6thrust23THRUST_200600_302600_NS5tupleIffNS6_9null_typeES8_S8_S8_S8_S8_S8_S8_EELb0EEEZNS1_14transform_implILb0ES3_SA_NS6_6detail15normal_iteratorINS6_10device_ptrIS9_EEEEPS9_NS0_8identityIS9_EEEE10hipError_tT2_T3_mT4_P12ihipStream_tbEUlT_E_NS1_11comp_targetILNS1_3genE8ELNS1_11target_archE1030ELNS1_3gpuE2ELNS1_3repE0EEENS1_30default_config_static_selectorELNS0_4arch9wavefront6targetE0EEEvT1_.num_vgpr, 0
	.set _ZN7rocprim17ROCPRIM_400000_NS6detail17trampoline_kernelINS0_14default_configENS1_25transform_config_selectorIN6thrust23THRUST_200600_302600_NS5tupleIffNS6_9null_typeES8_S8_S8_S8_S8_S8_S8_EELb0EEEZNS1_14transform_implILb0ES3_SA_NS6_6detail15normal_iteratorINS6_10device_ptrIS9_EEEEPS9_NS0_8identityIS9_EEEE10hipError_tT2_T3_mT4_P12ihipStream_tbEUlT_E_NS1_11comp_targetILNS1_3genE8ELNS1_11target_archE1030ELNS1_3gpuE2ELNS1_3repE0EEENS1_30default_config_static_selectorELNS0_4arch9wavefront6targetE0EEEvT1_.num_agpr, 0
	.set _ZN7rocprim17ROCPRIM_400000_NS6detail17trampoline_kernelINS0_14default_configENS1_25transform_config_selectorIN6thrust23THRUST_200600_302600_NS5tupleIffNS6_9null_typeES8_S8_S8_S8_S8_S8_S8_EELb0EEEZNS1_14transform_implILb0ES3_SA_NS6_6detail15normal_iteratorINS6_10device_ptrIS9_EEEEPS9_NS0_8identityIS9_EEEE10hipError_tT2_T3_mT4_P12ihipStream_tbEUlT_E_NS1_11comp_targetILNS1_3genE8ELNS1_11target_archE1030ELNS1_3gpuE2ELNS1_3repE0EEENS1_30default_config_static_selectorELNS0_4arch9wavefront6targetE0EEEvT1_.numbered_sgpr, 0
	.set _ZN7rocprim17ROCPRIM_400000_NS6detail17trampoline_kernelINS0_14default_configENS1_25transform_config_selectorIN6thrust23THRUST_200600_302600_NS5tupleIffNS6_9null_typeES8_S8_S8_S8_S8_S8_S8_EELb0EEEZNS1_14transform_implILb0ES3_SA_NS6_6detail15normal_iteratorINS6_10device_ptrIS9_EEEEPS9_NS0_8identityIS9_EEEE10hipError_tT2_T3_mT4_P12ihipStream_tbEUlT_E_NS1_11comp_targetILNS1_3genE8ELNS1_11target_archE1030ELNS1_3gpuE2ELNS1_3repE0EEENS1_30default_config_static_selectorELNS0_4arch9wavefront6targetE0EEEvT1_.num_named_barrier, 0
	.set _ZN7rocprim17ROCPRIM_400000_NS6detail17trampoline_kernelINS0_14default_configENS1_25transform_config_selectorIN6thrust23THRUST_200600_302600_NS5tupleIffNS6_9null_typeES8_S8_S8_S8_S8_S8_S8_EELb0EEEZNS1_14transform_implILb0ES3_SA_NS6_6detail15normal_iteratorINS6_10device_ptrIS9_EEEEPS9_NS0_8identityIS9_EEEE10hipError_tT2_T3_mT4_P12ihipStream_tbEUlT_E_NS1_11comp_targetILNS1_3genE8ELNS1_11target_archE1030ELNS1_3gpuE2ELNS1_3repE0EEENS1_30default_config_static_selectorELNS0_4arch9wavefront6targetE0EEEvT1_.private_seg_size, 0
	.set _ZN7rocprim17ROCPRIM_400000_NS6detail17trampoline_kernelINS0_14default_configENS1_25transform_config_selectorIN6thrust23THRUST_200600_302600_NS5tupleIffNS6_9null_typeES8_S8_S8_S8_S8_S8_S8_EELb0EEEZNS1_14transform_implILb0ES3_SA_NS6_6detail15normal_iteratorINS6_10device_ptrIS9_EEEEPS9_NS0_8identityIS9_EEEE10hipError_tT2_T3_mT4_P12ihipStream_tbEUlT_E_NS1_11comp_targetILNS1_3genE8ELNS1_11target_archE1030ELNS1_3gpuE2ELNS1_3repE0EEENS1_30default_config_static_selectorELNS0_4arch9wavefront6targetE0EEEvT1_.uses_vcc, 0
	.set _ZN7rocprim17ROCPRIM_400000_NS6detail17trampoline_kernelINS0_14default_configENS1_25transform_config_selectorIN6thrust23THRUST_200600_302600_NS5tupleIffNS6_9null_typeES8_S8_S8_S8_S8_S8_S8_EELb0EEEZNS1_14transform_implILb0ES3_SA_NS6_6detail15normal_iteratorINS6_10device_ptrIS9_EEEEPS9_NS0_8identityIS9_EEEE10hipError_tT2_T3_mT4_P12ihipStream_tbEUlT_E_NS1_11comp_targetILNS1_3genE8ELNS1_11target_archE1030ELNS1_3gpuE2ELNS1_3repE0EEENS1_30default_config_static_selectorELNS0_4arch9wavefront6targetE0EEEvT1_.uses_flat_scratch, 0
	.set _ZN7rocprim17ROCPRIM_400000_NS6detail17trampoline_kernelINS0_14default_configENS1_25transform_config_selectorIN6thrust23THRUST_200600_302600_NS5tupleIffNS6_9null_typeES8_S8_S8_S8_S8_S8_S8_EELb0EEEZNS1_14transform_implILb0ES3_SA_NS6_6detail15normal_iteratorINS6_10device_ptrIS9_EEEEPS9_NS0_8identityIS9_EEEE10hipError_tT2_T3_mT4_P12ihipStream_tbEUlT_E_NS1_11comp_targetILNS1_3genE8ELNS1_11target_archE1030ELNS1_3gpuE2ELNS1_3repE0EEENS1_30default_config_static_selectorELNS0_4arch9wavefront6targetE0EEEvT1_.has_dyn_sized_stack, 0
	.set _ZN7rocprim17ROCPRIM_400000_NS6detail17trampoline_kernelINS0_14default_configENS1_25transform_config_selectorIN6thrust23THRUST_200600_302600_NS5tupleIffNS6_9null_typeES8_S8_S8_S8_S8_S8_S8_EELb0EEEZNS1_14transform_implILb0ES3_SA_NS6_6detail15normal_iteratorINS6_10device_ptrIS9_EEEEPS9_NS0_8identityIS9_EEEE10hipError_tT2_T3_mT4_P12ihipStream_tbEUlT_E_NS1_11comp_targetILNS1_3genE8ELNS1_11target_archE1030ELNS1_3gpuE2ELNS1_3repE0EEENS1_30default_config_static_selectorELNS0_4arch9wavefront6targetE0EEEvT1_.has_recursion, 0
	.set _ZN7rocprim17ROCPRIM_400000_NS6detail17trampoline_kernelINS0_14default_configENS1_25transform_config_selectorIN6thrust23THRUST_200600_302600_NS5tupleIffNS6_9null_typeES8_S8_S8_S8_S8_S8_S8_EELb0EEEZNS1_14transform_implILb0ES3_SA_NS6_6detail15normal_iteratorINS6_10device_ptrIS9_EEEEPS9_NS0_8identityIS9_EEEE10hipError_tT2_T3_mT4_P12ihipStream_tbEUlT_E_NS1_11comp_targetILNS1_3genE8ELNS1_11target_archE1030ELNS1_3gpuE2ELNS1_3repE0EEENS1_30default_config_static_selectorELNS0_4arch9wavefront6targetE0EEEvT1_.has_indirect_call, 0
	.section	.AMDGPU.csdata,"",@progbits
; Kernel info:
; codeLenInByte = 0
; TotalNumSgprs: 0
; NumVgprs: 0
; ScratchSize: 0
; MemoryBound: 0
; FloatMode: 240
; IeeeMode: 1
; LDSByteSize: 0 bytes/workgroup (compile time only)
; SGPRBlocks: 0
; VGPRBlocks: 0
; NumSGPRsForWavesPerEU: 1
; NumVGPRsForWavesPerEU: 1
; NamedBarCnt: 0
; Occupancy: 16
; WaveLimiterHint : 0
; COMPUTE_PGM_RSRC2:SCRATCH_EN: 0
; COMPUTE_PGM_RSRC2:USER_SGPR: 2
; COMPUTE_PGM_RSRC2:TRAP_HANDLER: 0
; COMPUTE_PGM_RSRC2:TGID_X_EN: 1
; COMPUTE_PGM_RSRC2:TGID_Y_EN: 0
; COMPUTE_PGM_RSRC2:TGID_Z_EN: 0
; COMPUTE_PGM_RSRC2:TIDIG_COMP_CNT: 0
	.section	.text._ZN7rocprim17ROCPRIM_400000_NS6detail17trampoline_kernelINS0_14default_configENS1_35radix_sort_onesweep_config_selectorIjN6thrust23THRUST_200600_302600_NS5tupleIffNS6_9null_typeES8_S8_S8_S8_S8_S8_S8_EEEEZZNS1_29radix_sort_onesweep_iterationIS3_Lb0ENS6_6detail15normal_iteratorINS6_10device_ptrIjEEEESG_NSD_INSE_IS9_EEEESI_jNS0_19identity_decomposerENS1_16block_id_wrapperIjLb1EEEEE10hipError_tT1_PNSt15iterator_traitsISN_E10value_typeET2_T3_PNSO_IST_E10value_typeET4_T5_PSY_SZ_PNS1_23onesweep_lookback_stateEbbT6_jjT7_P12ihipStream_tbENKUlT_T0_SN_SS_E_clISG_SG_SI_SI_EEDaS16_S17_SN_SS_EUlS16_E_NS1_11comp_targetILNS1_3genE0ELNS1_11target_archE4294967295ELNS1_3gpuE0ELNS1_3repE0EEENS1_47radix_sort_onesweep_sort_config_static_selectorELNS0_4arch9wavefront6targetE0EEEvSN_,"axG",@progbits,_ZN7rocprim17ROCPRIM_400000_NS6detail17trampoline_kernelINS0_14default_configENS1_35radix_sort_onesweep_config_selectorIjN6thrust23THRUST_200600_302600_NS5tupleIffNS6_9null_typeES8_S8_S8_S8_S8_S8_S8_EEEEZZNS1_29radix_sort_onesweep_iterationIS3_Lb0ENS6_6detail15normal_iteratorINS6_10device_ptrIjEEEESG_NSD_INSE_IS9_EEEESI_jNS0_19identity_decomposerENS1_16block_id_wrapperIjLb1EEEEE10hipError_tT1_PNSt15iterator_traitsISN_E10value_typeET2_T3_PNSO_IST_E10value_typeET4_T5_PSY_SZ_PNS1_23onesweep_lookback_stateEbbT6_jjT7_P12ihipStream_tbENKUlT_T0_SN_SS_E_clISG_SG_SI_SI_EEDaS16_S17_SN_SS_EUlS16_E_NS1_11comp_targetILNS1_3genE0ELNS1_11target_archE4294967295ELNS1_3gpuE0ELNS1_3repE0EEENS1_47radix_sort_onesweep_sort_config_static_selectorELNS0_4arch9wavefront6targetE0EEEvSN_,comdat
	.protected	_ZN7rocprim17ROCPRIM_400000_NS6detail17trampoline_kernelINS0_14default_configENS1_35radix_sort_onesweep_config_selectorIjN6thrust23THRUST_200600_302600_NS5tupleIffNS6_9null_typeES8_S8_S8_S8_S8_S8_S8_EEEEZZNS1_29radix_sort_onesweep_iterationIS3_Lb0ENS6_6detail15normal_iteratorINS6_10device_ptrIjEEEESG_NSD_INSE_IS9_EEEESI_jNS0_19identity_decomposerENS1_16block_id_wrapperIjLb1EEEEE10hipError_tT1_PNSt15iterator_traitsISN_E10value_typeET2_T3_PNSO_IST_E10value_typeET4_T5_PSY_SZ_PNS1_23onesweep_lookback_stateEbbT6_jjT7_P12ihipStream_tbENKUlT_T0_SN_SS_E_clISG_SG_SI_SI_EEDaS16_S17_SN_SS_EUlS16_E_NS1_11comp_targetILNS1_3genE0ELNS1_11target_archE4294967295ELNS1_3gpuE0ELNS1_3repE0EEENS1_47radix_sort_onesweep_sort_config_static_selectorELNS0_4arch9wavefront6targetE0EEEvSN_ ; -- Begin function _ZN7rocprim17ROCPRIM_400000_NS6detail17trampoline_kernelINS0_14default_configENS1_35radix_sort_onesweep_config_selectorIjN6thrust23THRUST_200600_302600_NS5tupleIffNS6_9null_typeES8_S8_S8_S8_S8_S8_S8_EEEEZZNS1_29radix_sort_onesweep_iterationIS3_Lb0ENS6_6detail15normal_iteratorINS6_10device_ptrIjEEEESG_NSD_INSE_IS9_EEEESI_jNS0_19identity_decomposerENS1_16block_id_wrapperIjLb1EEEEE10hipError_tT1_PNSt15iterator_traitsISN_E10value_typeET2_T3_PNSO_IST_E10value_typeET4_T5_PSY_SZ_PNS1_23onesweep_lookback_stateEbbT6_jjT7_P12ihipStream_tbENKUlT_T0_SN_SS_E_clISG_SG_SI_SI_EEDaS16_S17_SN_SS_EUlS16_E_NS1_11comp_targetILNS1_3genE0ELNS1_11target_archE4294967295ELNS1_3gpuE0ELNS1_3repE0EEENS1_47radix_sort_onesweep_sort_config_static_selectorELNS0_4arch9wavefront6targetE0EEEvSN_
	.globl	_ZN7rocprim17ROCPRIM_400000_NS6detail17trampoline_kernelINS0_14default_configENS1_35radix_sort_onesweep_config_selectorIjN6thrust23THRUST_200600_302600_NS5tupleIffNS6_9null_typeES8_S8_S8_S8_S8_S8_S8_EEEEZZNS1_29radix_sort_onesweep_iterationIS3_Lb0ENS6_6detail15normal_iteratorINS6_10device_ptrIjEEEESG_NSD_INSE_IS9_EEEESI_jNS0_19identity_decomposerENS1_16block_id_wrapperIjLb1EEEEE10hipError_tT1_PNSt15iterator_traitsISN_E10value_typeET2_T3_PNSO_IST_E10value_typeET4_T5_PSY_SZ_PNS1_23onesweep_lookback_stateEbbT6_jjT7_P12ihipStream_tbENKUlT_T0_SN_SS_E_clISG_SG_SI_SI_EEDaS16_S17_SN_SS_EUlS16_E_NS1_11comp_targetILNS1_3genE0ELNS1_11target_archE4294967295ELNS1_3gpuE0ELNS1_3repE0EEENS1_47radix_sort_onesweep_sort_config_static_selectorELNS0_4arch9wavefront6targetE0EEEvSN_
	.p2align	8
	.type	_ZN7rocprim17ROCPRIM_400000_NS6detail17trampoline_kernelINS0_14default_configENS1_35radix_sort_onesweep_config_selectorIjN6thrust23THRUST_200600_302600_NS5tupleIffNS6_9null_typeES8_S8_S8_S8_S8_S8_S8_EEEEZZNS1_29radix_sort_onesweep_iterationIS3_Lb0ENS6_6detail15normal_iteratorINS6_10device_ptrIjEEEESG_NSD_INSE_IS9_EEEESI_jNS0_19identity_decomposerENS1_16block_id_wrapperIjLb1EEEEE10hipError_tT1_PNSt15iterator_traitsISN_E10value_typeET2_T3_PNSO_IST_E10value_typeET4_T5_PSY_SZ_PNS1_23onesweep_lookback_stateEbbT6_jjT7_P12ihipStream_tbENKUlT_T0_SN_SS_E_clISG_SG_SI_SI_EEDaS16_S17_SN_SS_EUlS16_E_NS1_11comp_targetILNS1_3genE0ELNS1_11target_archE4294967295ELNS1_3gpuE0ELNS1_3repE0EEENS1_47radix_sort_onesweep_sort_config_static_selectorELNS0_4arch9wavefront6targetE0EEEvSN_,@function
_ZN7rocprim17ROCPRIM_400000_NS6detail17trampoline_kernelINS0_14default_configENS1_35radix_sort_onesweep_config_selectorIjN6thrust23THRUST_200600_302600_NS5tupleIffNS6_9null_typeES8_S8_S8_S8_S8_S8_S8_EEEEZZNS1_29radix_sort_onesweep_iterationIS3_Lb0ENS6_6detail15normal_iteratorINS6_10device_ptrIjEEEESG_NSD_INSE_IS9_EEEESI_jNS0_19identity_decomposerENS1_16block_id_wrapperIjLb1EEEEE10hipError_tT1_PNSt15iterator_traitsISN_E10value_typeET2_T3_PNSO_IST_E10value_typeET4_T5_PSY_SZ_PNS1_23onesweep_lookback_stateEbbT6_jjT7_P12ihipStream_tbENKUlT_T0_SN_SS_E_clISG_SG_SI_SI_EEDaS16_S17_SN_SS_EUlS16_E_NS1_11comp_targetILNS1_3genE0ELNS1_11target_archE4294967295ELNS1_3gpuE0ELNS1_3repE0EEENS1_47radix_sort_onesweep_sort_config_static_selectorELNS0_4arch9wavefront6targetE0EEEvSN_: ; @_ZN7rocprim17ROCPRIM_400000_NS6detail17trampoline_kernelINS0_14default_configENS1_35radix_sort_onesweep_config_selectorIjN6thrust23THRUST_200600_302600_NS5tupleIffNS6_9null_typeES8_S8_S8_S8_S8_S8_S8_EEEEZZNS1_29radix_sort_onesweep_iterationIS3_Lb0ENS6_6detail15normal_iteratorINS6_10device_ptrIjEEEESG_NSD_INSE_IS9_EEEESI_jNS0_19identity_decomposerENS1_16block_id_wrapperIjLb1EEEEE10hipError_tT1_PNSt15iterator_traitsISN_E10value_typeET2_T3_PNSO_IST_E10value_typeET4_T5_PSY_SZ_PNS1_23onesweep_lookback_stateEbbT6_jjT7_P12ihipStream_tbENKUlT_T0_SN_SS_E_clISG_SG_SI_SI_EEDaS16_S17_SN_SS_EUlS16_E_NS1_11comp_targetILNS1_3genE0ELNS1_11target_archE4294967295ELNS1_3gpuE0ELNS1_3repE0EEENS1_47radix_sort_onesweep_sort_config_static_selectorELNS0_4arch9wavefront6targetE0EEEvSN_
; %bb.0:
	s_clause 0x1
	s_load_b128 s[24:27], s[2:3], 0x28
	s_load_b64 s[34:35], s[2:3], 0x38
	v_and_b32_e32 v18, 0x3ff, v0
	s_delay_alu instid0(VALU_DEP_1)
	v_cmp_eq_u32_e64 s4, 0, v18
	s_and_saveexec_b32 s5, s4
	s_cbranch_execz .LBB175_4
; %bb.1:
	s_mov_b32 s7, exec_lo
	s_mov_b32 s6, exec_lo
	v_mbcnt_lo_u32_b32 v1, s7, 0
                                        ; implicit-def: $vgpr2
	s_delay_alu instid0(VALU_DEP_1)
	v_cmpx_eq_u32_e32 0, v1
	s_cbranch_execz .LBB175_3
; %bb.2:
	s_load_b64 s[8:9], s[2:3], 0x50
	s_bcnt1_i32_b32 s7, s7
	s_delay_alu instid0(SALU_CYCLE_1)
	v_dual_mov_b32 v2, 0 :: v_dual_mov_b32 v3, s7
	s_wait_xcnt 0x0
	s_wait_kmcnt 0x0
	global_atomic_add_u32 v2, v2, v3, s[8:9] th:TH_ATOMIC_RETURN scope:SCOPE_DEV
.LBB175_3:
	s_wait_xcnt 0x0
	s_or_b32 exec_lo, exec_lo, s6
	s_wait_loadcnt 0x0
	v_readfirstlane_b32 s6, v2
	s_delay_alu instid0(VALU_DEP_1)
	v_dual_mov_b32 v2, 0 :: v_dual_add_nc_u32 v1, s6, v1
	ds_store_b32 v2, v1 offset:18496
.LBB175_4:
	s_or_b32 exec_lo, exec_lo, s5
	s_clause 0x2
	s_load_b256 s[16:23], s[2:3], 0x0
	s_load_b32 s5, s[2:3], 0x20
	s_load_b96 s[28:30], s[2:3], 0x44
	s_load_b64 s[6:7], s[0:1], 0x4
	v_dual_mov_b32 v1, 0 :: v_dual_lshlrev_b32 v23, 3, v18
	s_wait_dscnt 0x0
	s_barrier_signal -1
	s_barrier_wait -1
	ds_load_b32 v2, v1 offset:18496
	v_bfe_u32 v21, v0, 10, 10
	v_bfe_u32 v22, v0, 20, 10
	v_mbcnt_lo_u32_b32 v20, -1, 0
	s_add_nc_u64 s[36:37], s[2:3], 0x58
	s_getreg_b32 s33, hwreg(HW_REG_IB_STS2, 6, 4)
	s_wait_dscnt 0x0
	s_barrier_signal -1
	s_barrier_wait -1
	s_wait_kmcnt 0x0
	s_lshr_b32 s0, s6, 16
	v_mul_u32_u24_e32 v0, s7, v21
	s_mul_i32 s0, s0, s7
	s_delay_alu instid0(SALU_CYCLE_1) | instskip(SKIP_3) | instid1(VALU_DEP_3)
	v_mul_lo_u32 v3, s0, v18
	s_mov_b32 s0, -1
	v_cmp_le_u32_e32 vcc_lo, s30, v2
	v_readfirstlane_b32 s31, v2
	v_add3_u32 v19, v3, v0, v22
	s_cbranch_vccz .LBB175_102
; %bb.5:
	s_lshl_b32 s38, s31, 12
	s_mov_b32 s39, 0
	v_dual_mov_b32 v9, -1 :: v_dual_lshlrev_b32 v0, 2, v20
	s_lshl_b64 s[0:1], s[38:39], 2
	v_and_b32_e32 v8, 0x1f00, v23
	s_add_nc_u64 s[0:1], s[16:17], s[0:1]
	v_mov_b32_e32 v10, -1
	v_add_nc_u64_e32 v[4:5], s[0:1], v[0:1]
	s_lshl_b32 s0, s30, 12
	v_dual_lshlrev_b32 v0, 2, v8 :: v_dual_bitop2_b32 v2, v20, v8 bitop3:0x54
	s_sub_co_i32 s30, s5, s0
	s_delay_alu instid0(VALU_DEP_1) | instskip(NEXT) | instid1(VALU_DEP_2)
	v_add_nc_u64_e32 v[0:1], v[4:5], v[0:1]
	v_cmp_gt_u32_e64 s9, s30, v2
	s_and_saveexec_b32 s0, s9
	s_cbranch_execz .LBB175_7
; %bb.6:
	global_load_b32 v10, v[0:1], off
.LBB175_7:
	s_wait_xcnt 0x0
	s_or_b32 exec_lo, exec_lo, s0
	v_or_b32_e32 v3, 32, v2
	s_delay_alu instid0(VALU_DEP_1)
	v_cmp_gt_u32_e64 s8, s30, v3
	s_and_saveexec_b32 s0, s8
	s_cbranch_execz .LBB175_9
; %bb.8:
	global_load_b32 v9, v[0:1], off offset:128
.LBB175_9:
	s_wait_xcnt 0x0
	s_or_b32 exec_lo, exec_lo, s0
	v_dual_mov_b32 v11, -1 :: v_dual_bitop2_b32 v3, 64, v2 bitop3:0x54
	v_mov_b32_e32 v12, -1
	s_delay_alu instid0(VALU_DEP_2)
	v_cmp_gt_u32_e64 s7, s30, v3
	s_and_saveexec_b32 s0, s7
	s_cbranch_execz .LBB175_11
; %bb.10:
	global_load_b32 v12, v[0:1], off offset:256
.LBB175_11:
	s_wait_xcnt 0x0
	s_or_b32 exec_lo, exec_lo, s0
	v_or_b32_e32 v3, 0x60, v2
	s_delay_alu instid0(VALU_DEP_1)
	v_cmp_gt_u32_e64 s6, s30, v3
	s_and_saveexec_b32 s0, s6
	s_cbranch_execz .LBB175_13
; %bb.12:
	global_load_b32 v11, v[0:1], off offset:384
.LBB175_13:
	s_wait_xcnt 0x0
	s_or_b32 exec_lo, exec_lo, s0
	v_or_b32_e32 v3, 0x80, v2
	v_dual_mov_b32 v13, -1 :: v_dual_mov_b32 v14, -1
	s_delay_alu instid0(VALU_DEP_2)
	v_cmp_gt_u32_e64 s5, s30, v3
	s_and_saveexec_b32 s0, s5
	s_cbranch_execz .LBB175_15
; %bb.14:
	global_load_b32 v14, v[0:1], off offset:512
.LBB175_15:
	s_wait_xcnt 0x0
	s_or_b32 exec_lo, exec_lo, s0
	v_or_b32_e32 v3, 0xa0, v2
	s_delay_alu instid0(VALU_DEP_1)
	v_cmp_gt_u32_e64 s1, s30, v3
	s_and_saveexec_b32 s0, s1
	s_cbranch_execz .LBB175_17
; %bb.16:
	global_load_b32 v13, v[0:1], off offset:640
.LBB175_17:
	s_wait_xcnt 0x0
	s_or_b32 exec_lo, exec_lo, s0
	v_or_b32_e32 v3, 0xc0, v2
	v_dual_mov_b32 v15, -1 :: v_dual_mov_b32 v16, -1
	s_delay_alu instid0(VALU_DEP_2)
	v_cmp_gt_u32_e64 s0, s30, v3
	s_and_saveexec_b32 s10, s0
	s_cbranch_execz .LBB175_19
; %bb.18:
	global_load_b32 v16, v[0:1], off offset:768
.LBB175_19:
	s_wait_xcnt 0x0
	s_or_b32 exec_lo, exec_lo, s10
	v_or_b32_e32 v2, 0xe0, v2
	s_delay_alu instid0(VALU_DEP_1)
	v_cmp_gt_u32_e32 vcc_lo, s30, v2
	s_and_saveexec_b32 s10, vcc_lo
	s_cbranch_execz .LBB175_21
; %bb.20:
	global_load_b32 v15, v[0:1], off offset:896
.LBB175_21:
	s_wait_xcnt 0x0
	s_or_b32 exec_lo, exec_lo, s10
	s_clause 0x1
	s_load_b32 s40, s[2:3], 0x58
	s_load_u16 s12, s[2:3], 0x66
	s_bfe_u32 s10, ttmp6, 0x4000c
	s_and_b32 s11, ttmp6, 15
	s_add_co_i32 s10, s10, 1
	s_wait_loadcnt 0x0
	v_lshrrev_b32_e32 v0, s28, v10
	s_mul_i32 s10, ttmp9, s10
	s_delay_alu instid0(SALU_CYCLE_1)
	s_add_co_i32 s11, s11, s10
	s_cmp_eq_u32 s33, 0
	s_cselect_b32 s10, ttmp9, s11
	s_mov_b32 s11, 0
	s_wait_kmcnt 0x0
	s_cmp_lt_u32 s10, s40
	v_mad_u32_u24 v1, v22, s12, v21
	s_cselect_b32 s10, 12, 18
	s_lshl_b32 s41, -1, s29
	s_add_nc_u64 s[10:11], s[36:37], s[10:11]
	v_bitop3_b32 v2, v0, 1, s41 bitop3:0x40
	v_bitop3_b32 v0, v0, s41, v0 bitop3:0x30
	s_load_u16 s42, s[10:11], 0x0
	s_wait_xcnt 0x0
	s_delay_alu instid0(VALU_DEP_2) | instskip(NEXT) | instid1(VALU_DEP_1)
	v_add_co_u32 v2, s10, v2, -1
	v_cndmask_b32_e64 v3, 0, 1, s10
	v_dual_lshlrev_b32 v4, 30, v0 :: v_dual_lshlrev_b32 v5, 29, v0
	v_dual_lshlrev_b32 v6, 28, v0 :: v_dual_lshlrev_b32 v7, 27, v0
	s_delay_alu instid0(VALU_DEP_3) | instskip(NEXT) | instid1(VALU_DEP_3)
	v_cmp_ne_u32_e64 s10, 0, v3
	v_not_b32_e32 v3, v4
	v_dual_lshlrev_b32 v17, 26, v0 :: v_dual_lshlrev_b32 v24, 25, v0
	v_cmp_gt_i32_e64 s11, 0, v4
	v_cmp_gt_i32_e64 s12, 0, v5
	v_not_b32_e32 v4, v5
	v_not_b32_e32 v5, v6
	v_dual_ashrrev_i32 v3, 31, v3 :: v_dual_lshlrev_b32 v25, 24, v0
	v_xor_b32_e32 v2, s10, v2
	v_cmp_gt_i32_e64 s13, 0, v6
	v_cmp_gt_i32_e64 s14, 0, v7
	v_not_b32_e32 v6, v7
	v_not_b32_e32 v7, v17
	v_dual_ashrrev_i32 v4, 31, v4 :: v_dual_ashrrev_i32 v5, 31, v5
	s_delay_alu instid0(VALU_DEP_3) | instskip(SKIP_1) | instid1(VALU_DEP_3)
	v_dual_ashrrev_i32 v6, 31, v6 :: v_dual_bitop2_b32 v3, s11, v3 bitop3:0x14
	v_cmp_gt_i32_e64 s15, 0, v17
	v_dual_ashrrev_i32 v7, 31, v7 :: v_dual_bitop2_b32 v4, s12, v4 bitop3:0x14
	s_delay_alu instid0(VALU_DEP_3)
	v_bitop3_b32 v2, v2, v3, exec_lo bitop3:0x80
	v_not_b32_e32 v3, v24
	v_xor_b32_e32 v5, s13, v5
	v_not_b32_e32 v17, v25
	v_xor_b32_e32 v6, s14, v6
	v_xor_b32_e32 v7, s15, v7
	v_cmp_gt_i32_e64 s10, 0, v24
	v_ashrrev_i32_e32 v3, 31, v3
	v_bitop3_b32 v2, v2, v5, v4 bitop3:0x80
	v_cmp_gt_i32_e64 s11, 0, v25
	v_ashrrev_i32_e32 v4, 31, v17
	s_wait_kmcnt 0x0
	v_mad_u32 v5, v1, s42, v18
	v_mul_u32_u24_e32 v24, 36, v18
	v_bitop3_b32 v1, v2, v7, v6 bitop3:0x80
	v_xor_b32_e32 v2, s10, v3
	v_dual_mov_b32 v4, 0 :: v_dual_bitop2_b32 v3, s11, v4 bitop3:0x14
	s_not_b32 s15, s41
	ds_store_2addr_b32 v24, v4, v4 offset0:16 offset1:17
	ds_store_2addr_b32 v24, v4, v4 offset0:18 offset1:19
	;; [unrolled: 1-line block ×4, first 2 shown]
	v_bitop3_b32 v1, v1, v3, v2 bitop3:0x80
	v_mul_lo_u32 v2, 0x44, v0
	v_lshrrev_b32_e32 v0, 3, v5
	ds_store_b32 v24, v4 offset:96
	s_wait_dscnt 0x0
	v_mbcnt_lo_u32_b32 v17, v1, 0
	v_cmp_ne_u32_e64 s11, 0, v1
	v_and_b32_e32 v0, 0x1ffffffc, v0
	s_barrier_signal -1
	s_barrier_wait -1
	v_cmp_eq_u32_e64 s10, 0, v17
	s_delay_alu instid0(VALU_DEP_2) | instskip(SKIP_1) | instid1(SALU_CYCLE_1)
	v_add_nc_u32_e32 v25, v0, v2
	; wave barrier
	s_and_b32 s11, s11, s10
	s_and_saveexec_b32 s10, s11
; %bb.22:
	v_bcnt_u32_b32 v1, v1, 0
	ds_store_b32 v25, v1 offset:64
; %bb.23:
	s_or_b32 exec_lo, exec_lo, s10
	v_lshrrev_b32_e32 v1, s28, v9
	; wave barrier
	s_delay_alu instid0(VALU_DEP_1) | instskip(NEXT) | instid1(VALU_DEP_1)
	v_and_b32_e32 v2, s15, v1
	v_lshlrev_b32_e32 v5, 30, v2
	v_bitop3_b32 v1, v1, 1, s15 bitop3:0x80
	s_delay_alu instid0(VALU_DEP_2) | instskip(NEXT) | instid1(VALU_DEP_2)
	v_cmp_gt_i32_e64 s11, 0, v5
	v_add_co_u32 v1, s10, v1, -1
	s_delay_alu instid0(VALU_DEP_1) | instskip(NEXT) | instid1(VALU_DEP_1)
	v_cndmask_b32_e64 v4, 0, 1, s10
	v_cmp_ne_u32_e64 s10, 0, v4
	v_not_b32_e32 v4, v5
	s_delay_alu instid0(VALU_DEP_1) | instskip(SKIP_3) | instid1(VALU_DEP_4)
	v_dual_ashrrev_i32 v4, 31, v4 :: v_dual_lshlrev_b32 v6, 29, v2
	v_dual_lshlrev_b32 v7, 28, v2 :: v_dual_lshlrev_b32 v26, 27, v2
	v_lshlrev_b32_e32 v27, 26, v2
	v_mul_lo_u32 v3, 0x44, v2
	v_cmp_gt_i32_e64 s12, 0, v6
	v_not_b32_e32 v5, v6
	v_not_b32_e32 v6, v7
	v_cmp_gt_i32_e64 s13, 0, v7
	v_xor_b32_e32 v1, s10, v1
	s_delay_alu instid0(VALU_DEP_4) | instskip(NEXT) | instid1(VALU_DEP_4)
	v_dual_ashrrev_i32 v5, 31, v5 :: v_dual_bitop2_b32 v4, s11, v4 bitop3:0x14
	v_ashrrev_i32_e32 v6, 31, v6
	v_dual_lshlrev_b32 v28, 25, v2 :: v_dual_lshlrev_b32 v2, 24, v2
	v_not_b32_e32 v7, v26
	v_not_b32_e32 v29, v27
	v_xor_b32_e32 v5, s12, v5
	v_xor_b32_e32 v6, s13, v6
	v_bitop3_b32 v1, v1, v4, exec_lo bitop3:0x80
	v_cmp_gt_i32_e64 s10, 0, v26
	v_ashrrev_i32_e32 v4, 31, v7
	v_cmp_gt_i32_e64 s11, 0, v27
	v_ashrrev_i32_e32 v7, 31, v29
	v_bitop3_b32 v1, v1, v6, v5 bitop3:0x80
	v_not_b32_e32 v5, v28
	v_not_b32_e32 v6, v2
	v_xor_b32_e32 v4, s10, v4
	v_xor_b32_e32 v7, s11, v7
	v_cmp_gt_i32_e64 s10, 0, v28
	v_ashrrev_i32_e32 v5, 31, v5
	v_cmp_gt_i32_e64 s11, 0, v2
	v_dual_ashrrev_i32 v2, 31, v6 :: v_dual_add_nc_u32 v28, v0, v3
	v_bitop3_b32 v1, v1, v7, v4 bitop3:0x80
	s_delay_alu instid0(VALU_DEP_4) | instskip(NEXT) | instid1(VALU_DEP_3)
	v_xor_b32_e32 v3, s10, v5
	v_xor_b32_e32 v2, s11, v2
	ds_load_b32 v26, v28 offset:64
	; wave barrier
	v_bitop3_b32 v1, v1, v2, v3 bitop3:0x80
	s_delay_alu instid0(VALU_DEP_1) | instskip(SKIP_1) | instid1(VALU_DEP_2)
	v_mbcnt_lo_u32_b32 v27, v1, 0
	v_cmp_ne_u32_e64 s11, 0, v1
	v_cmp_eq_u32_e64 s10, 0, v27
	s_and_b32 s11, s11, s10
	s_delay_alu instid0(SALU_CYCLE_1)
	s_and_saveexec_b32 s10, s11
	s_cbranch_execz .LBB175_25
; %bb.24:
	s_wait_dscnt 0x0
	v_bcnt_u32_b32 v1, v1, v26
	ds_store_b32 v28, v1 offset:64
.LBB175_25:
	s_or_b32 exec_lo, exec_lo, s10
	v_lshrrev_b32_e32 v1, s28, v12
	; wave barrier
	s_delay_alu instid0(VALU_DEP_1) | instskip(NEXT) | instid1(VALU_DEP_1)
	v_and_b32_e32 v2, s15, v1
	v_lshlrev_b32_e32 v5, 30, v2
	v_bitop3_b32 v1, v1, 1, s15 bitop3:0x80
	s_delay_alu instid0(VALU_DEP_2) | instskip(NEXT) | instid1(VALU_DEP_2)
	v_cmp_gt_i32_e64 s11, 0, v5
	v_add_co_u32 v1, s10, v1, -1
	s_delay_alu instid0(VALU_DEP_1) | instskip(NEXT) | instid1(VALU_DEP_1)
	v_cndmask_b32_e64 v4, 0, 1, s10
	v_cmp_ne_u32_e64 s10, 0, v4
	v_not_b32_e32 v4, v5
	s_delay_alu instid0(VALU_DEP_1) | instskip(SKIP_3) | instid1(VALU_DEP_4)
	v_dual_ashrrev_i32 v4, 31, v4 :: v_dual_lshlrev_b32 v6, 29, v2
	v_dual_lshlrev_b32 v7, 28, v2 :: v_dual_lshlrev_b32 v29, 27, v2
	v_lshlrev_b32_e32 v30, 26, v2
	v_mul_lo_u32 v3, 0x44, v2
	v_cmp_gt_i32_e64 s12, 0, v6
	v_not_b32_e32 v5, v6
	v_not_b32_e32 v6, v7
	v_cmp_gt_i32_e64 s13, 0, v7
	v_xor_b32_e32 v1, s10, v1
	s_delay_alu instid0(VALU_DEP_4) | instskip(NEXT) | instid1(VALU_DEP_4)
	v_dual_ashrrev_i32 v5, 31, v5 :: v_dual_bitop2_b32 v4, s11, v4 bitop3:0x14
	v_ashrrev_i32_e32 v6, 31, v6
	v_dual_lshlrev_b32 v31, 25, v2 :: v_dual_lshlrev_b32 v2, 24, v2
	v_not_b32_e32 v7, v29
	v_not_b32_e32 v32, v30
	v_xor_b32_e32 v5, s12, v5
	v_xor_b32_e32 v6, s13, v6
	v_bitop3_b32 v1, v1, v4, exec_lo bitop3:0x80
	v_cmp_gt_i32_e64 s10, 0, v29
	v_ashrrev_i32_e32 v4, 31, v7
	v_cmp_gt_i32_e64 s11, 0, v30
	v_ashrrev_i32_e32 v7, 31, v32
	v_bitop3_b32 v1, v1, v6, v5 bitop3:0x80
	v_not_b32_e32 v5, v31
	v_not_b32_e32 v6, v2
	v_xor_b32_e32 v4, s10, v4
	v_xor_b32_e32 v7, s11, v7
	v_cmp_gt_i32_e64 s10, 0, v31
	v_ashrrev_i32_e32 v5, 31, v5
	v_cmp_gt_i32_e64 s11, 0, v2
	v_dual_ashrrev_i32 v2, 31, v6 :: v_dual_add_nc_u32 v31, v0, v3
	v_bitop3_b32 v1, v1, v7, v4 bitop3:0x80
	s_delay_alu instid0(VALU_DEP_4) | instskip(NEXT) | instid1(VALU_DEP_3)
	v_xor_b32_e32 v3, s10, v5
	v_xor_b32_e32 v2, s11, v2
	ds_load_b32 v29, v31 offset:64
	; wave barrier
	v_bitop3_b32 v1, v1, v2, v3 bitop3:0x80
	s_delay_alu instid0(VALU_DEP_1) | instskip(SKIP_1) | instid1(VALU_DEP_2)
	v_mbcnt_lo_u32_b32 v30, v1, 0
	v_cmp_ne_u32_e64 s11, 0, v1
	v_cmp_eq_u32_e64 s10, 0, v30
	s_and_b32 s11, s11, s10
	s_delay_alu instid0(SALU_CYCLE_1)
	s_and_saveexec_b32 s10, s11
	s_cbranch_execz .LBB175_27
; %bb.26:
	s_wait_dscnt 0x0
	v_bcnt_u32_b32 v1, v1, v29
	ds_store_b32 v31, v1 offset:64
.LBB175_27:
	s_or_b32 exec_lo, exec_lo, s10
	v_lshrrev_b32_e32 v1, s28, v11
	; wave barrier
	s_delay_alu instid0(VALU_DEP_1) | instskip(NEXT) | instid1(VALU_DEP_1)
	v_and_b32_e32 v2, s15, v1
	v_lshlrev_b32_e32 v5, 30, v2
	v_bitop3_b32 v1, v1, 1, s15 bitop3:0x80
	s_delay_alu instid0(VALU_DEP_2) | instskip(NEXT) | instid1(VALU_DEP_2)
	v_cmp_gt_i32_e64 s11, 0, v5
	v_add_co_u32 v1, s10, v1, -1
	s_delay_alu instid0(VALU_DEP_1) | instskip(NEXT) | instid1(VALU_DEP_1)
	v_cndmask_b32_e64 v4, 0, 1, s10
	v_cmp_ne_u32_e64 s10, 0, v4
	v_not_b32_e32 v4, v5
	s_delay_alu instid0(VALU_DEP_1) | instskip(SKIP_3) | instid1(VALU_DEP_4)
	v_dual_ashrrev_i32 v4, 31, v4 :: v_dual_lshlrev_b32 v6, 29, v2
	v_dual_lshlrev_b32 v7, 28, v2 :: v_dual_lshlrev_b32 v32, 27, v2
	v_lshlrev_b32_e32 v33, 26, v2
	v_mul_lo_u32 v3, 0x44, v2
	v_cmp_gt_i32_e64 s12, 0, v6
	v_not_b32_e32 v5, v6
	v_not_b32_e32 v6, v7
	v_cmp_gt_i32_e64 s13, 0, v7
	v_xor_b32_e32 v1, s10, v1
	s_delay_alu instid0(VALU_DEP_4) | instskip(NEXT) | instid1(VALU_DEP_4)
	v_dual_ashrrev_i32 v5, 31, v5 :: v_dual_bitop2_b32 v4, s11, v4 bitop3:0x14
	v_ashrrev_i32_e32 v6, 31, v6
	v_dual_lshlrev_b32 v34, 25, v2 :: v_dual_lshlrev_b32 v2, 24, v2
	v_not_b32_e32 v7, v32
	v_not_b32_e32 v35, v33
	v_xor_b32_e32 v5, s12, v5
	v_xor_b32_e32 v6, s13, v6
	v_bitop3_b32 v1, v1, v4, exec_lo bitop3:0x80
	v_cmp_gt_i32_e64 s10, 0, v32
	v_ashrrev_i32_e32 v4, 31, v7
	v_cmp_gt_i32_e64 s11, 0, v33
	v_ashrrev_i32_e32 v7, 31, v35
	v_bitop3_b32 v1, v1, v6, v5 bitop3:0x80
	v_not_b32_e32 v5, v34
	v_not_b32_e32 v6, v2
	v_xor_b32_e32 v4, s10, v4
	v_xor_b32_e32 v7, s11, v7
	v_cmp_gt_i32_e64 s10, 0, v34
	v_ashrrev_i32_e32 v5, 31, v5
	v_cmp_gt_i32_e64 s11, 0, v2
	v_dual_ashrrev_i32 v2, 31, v6 :: v_dual_add_nc_u32 v34, v0, v3
	v_bitop3_b32 v1, v1, v7, v4 bitop3:0x80
	s_delay_alu instid0(VALU_DEP_4) | instskip(NEXT) | instid1(VALU_DEP_3)
	v_xor_b32_e32 v3, s10, v5
	v_xor_b32_e32 v2, s11, v2
	ds_load_b32 v32, v34 offset:64
	; wave barrier
	v_bitop3_b32 v1, v1, v2, v3 bitop3:0x80
	s_delay_alu instid0(VALU_DEP_1) | instskip(SKIP_1) | instid1(VALU_DEP_2)
	v_mbcnt_lo_u32_b32 v33, v1, 0
	v_cmp_ne_u32_e64 s11, 0, v1
	v_cmp_eq_u32_e64 s10, 0, v33
	s_and_b32 s11, s11, s10
	s_delay_alu instid0(SALU_CYCLE_1)
	s_and_saveexec_b32 s10, s11
	s_cbranch_execz .LBB175_29
; %bb.28:
	s_wait_dscnt 0x0
	v_bcnt_u32_b32 v1, v1, v32
	ds_store_b32 v34, v1 offset:64
.LBB175_29:
	s_or_b32 exec_lo, exec_lo, s10
	v_lshrrev_b32_e32 v1, s28, v14
	; wave barrier
	s_delay_alu instid0(VALU_DEP_1) | instskip(SKIP_1) | instid1(VALU_DEP_2)
	v_and_b32_e32 v2, s15, v1
	v_bitop3_b32 v1, v1, 1, s15 bitop3:0x80
	v_dual_lshlrev_b32 v5, 30, v2 :: v_dual_lshlrev_b32 v6, 29, v2
	s_delay_alu instid0(VALU_DEP_2) | instskip(NEXT) | instid1(VALU_DEP_1)
	v_add_co_u32 v1, s10, v1, -1
	v_cndmask_b32_e64 v4, 0, 1, s10
	v_lshlrev_b32_e32 v7, 28, v2
	s_delay_alu instid0(VALU_DEP_4) | instskip(SKIP_1) | instid1(VALU_DEP_4)
	v_cmp_gt_i32_e64 s11, 0, v5
	v_cmp_gt_i32_e64 s12, 0, v6
	v_cmp_ne_u32_e64 s10, 0, v4
	v_not_b32_e32 v4, v5
	v_not_b32_e32 v5, v6
	;; [unrolled: 1-line block ×3, first 2 shown]
	s_delay_alu instid0(VALU_DEP_3) | instskip(NEXT) | instid1(VALU_DEP_2)
	v_dual_ashrrev_i32 v4, 31, v4 :: v_dual_bitop2_b32 v1, s10, v1 bitop3:0x14
	v_dual_ashrrev_i32 v5, 31, v5 :: v_dual_ashrrev_i32 v6, 31, v6
	v_mul_lo_u32 v3, 0x44, v2
	v_dual_lshlrev_b32 v35, 27, v2 :: v_dual_lshlrev_b32 v36, 26, v2
	v_dual_lshlrev_b32 v37, 25, v2 :: v_dual_lshlrev_b32 v2, 24, v2
	v_cmp_gt_i32_e64 s13, 0, v7
	v_xor_b32_e32 v4, s11, v4
	s_delay_alu instid0(VALU_DEP_4)
	v_not_b32_e32 v7, v35
	v_not_b32_e32 v38, v36
	v_xor_b32_e32 v5, s12, v5
	v_xor_b32_e32 v6, s13, v6
	v_bitop3_b32 v1, v1, v4, exec_lo bitop3:0x80
	v_cmp_gt_i32_e64 s10, 0, v35
	v_ashrrev_i32_e32 v4, 31, v7
	v_cmp_gt_i32_e64 s11, 0, v36
	v_ashrrev_i32_e32 v7, 31, v38
	v_bitop3_b32 v1, v1, v6, v5 bitop3:0x80
	v_not_b32_e32 v5, v37
	v_not_b32_e32 v6, v2
	v_xor_b32_e32 v4, s10, v4
	v_xor_b32_e32 v7, s11, v7
	v_cmp_gt_i32_e64 s10, 0, v37
	v_ashrrev_i32_e32 v5, 31, v5
	v_cmp_gt_i32_e64 s11, 0, v2
	v_dual_ashrrev_i32 v2, 31, v6 :: v_dual_add_nc_u32 v37, v0, v3
	v_bitop3_b32 v1, v1, v7, v4 bitop3:0x80
	s_delay_alu instid0(VALU_DEP_4) | instskip(NEXT) | instid1(VALU_DEP_3)
	v_xor_b32_e32 v3, s10, v5
	v_xor_b32_e32 v2, s11, v2
	ds_load_b32 v35, v37 offset:64
	; wave barrier
	v_bitop3_b32 v1, v1, v2, v3 bitop3:0x80
	s_delay_alu instid0(VALU_DEP_1) | instskip(SKIP_1) | instid1(VALU_DEP_2)
	v_mbcnt_lo_u32_b32 v36, v1, 0
	v_cmp_ne_u32_e64 s11, 0, v1
	v_cmp_eq_u32_e64 s10, 0, v36
	s_and_b32 s11, s11, s10
	s_delay_alu instid0(SALU_CYCLE_1)
	s_and_saveexec_b32 s10, s11
	s_cbranch_execz .LBB175_31
; %bb.30:
	s_wait_dscnt 0x0
	v_bcnt_u32_b32 v1, v1, v35
	ds_store_b32 v37, v1 offset:64
.LBB175_31:
	s_or_b32 exec_lo, exec_lo, s10
	v_lshrrev_b32_e32 v1, s28, v13
	; wave barrier
	s_delay_alu instid0(VALU_DEP_1) | instskip(NEXT) | instid1(VALU_DEP_1)
	v_and_b32_e32 v2, s15, v1
	v_lshlrev_b32_e32 v5, 30, v2
	v_bitop3_b32 v1, v1, 1, s15 bitop3:0x80
	s_delay_alu instid0(VALU_DEP_2) | instskip(NEXT) | instid1(VALU_DEP_2)
	v_cmp_gt_i32_e64 s11, 0, v5
	v_add_co_u32 v1, s10, v1, -1
	s_delay_alu instid0(VALU_DEP_1) | instskip(NEXT) | instid1(VALU_DEP_1)
	v_cndmask_b32_e64 v4, 0, 1, s10
	v_cmp_ne_u32_e64 s10, 0, v4
	v_not_b32_e32 v4, v5
	s_delay_alu instid0(VALU_DEP_1) | instskip(SKIP_3) | instid1(VALU_DEP_4)
	v_dual_ashrrev_i32 v4, 31, v4 :: v_dual_lshlrev_b32 v6, 29, v2
	v_dual_lshlrev_b32 v7, 28, v2 :: v_dual_lshlrev_b32 v38, 27, v2
	v_lshlrev_b32_e32 v39, 26, v2
	v_mul_lo_u32 v3, 0x44, v2
	v_cmp_gt_i32_e64 s12, 0, v6
	v_not_b32_e32 v5, v6
	v_not_b32_e32 v6, v7
	v_cmp_gt_i32_e64 s13, 0, v7
	v_xor_b32_e32 v1, s10, v1
	s_delay_alu instid0(VALU_DEP_4) | instskip(NEXT) | instid1(VALU_DEP_4)
	v_dual_ashrrev_i32 v5, 31, v5 :: v_dual_bitop2_b32 v4, s11, v4 bitop3:0x14
	v_ashrrev_i32_e32 v6, 31, v6
	v_dual_lshlrev_b32 v40, 25, v2 :: v_dual_lshlrev_b32 v2, 24, v2
	v_not_b32_e32 v7, v38
	v_not_b32_e32 v41, v39
	v_xor_b32_e32 v5, s12, v5
	v_xor_b32_e32 v6, s13, v6
	v_bitop3_b32 v1, v1, v4, exec_lo bitop3:0x80
	v_cmp_gt_i32_e64 s10, 0, v38
	v_ashrrev_i32_e32 v4, 31, v7
	v_cmp_gt_i32_e64 s11, 0, v39
	v_ashrrev_i32_e32 v7, 31, v41
	v_bitop3_b32 v1, v1, v6, v5 bitop3:0x80
	v_not_b32_e32 v5, v40
	v_not_b32_e32 v6, v2
	v_xor_b32_e32 v4, s10, v4
	v_xor_b32_e32 v7, s11, v7
	v_cmp_gt_i32_e64 s10, 0, v40
	v_ashrrev_i32_e32 v5, 31, v5
	v_cmp_gt_i32_e64 s11, 0, v2
	v_dual_ashrrev_i32 v2, 31, v6 :: v_dual_add_nc_u32 v40, v0, v3
	v_bitop3_b32 v1, v1, v7, v4 bitop3:0x80
	s_delay_alu instid0(VALU_DEP_4) | instskip(NEXT) | instid1(VALU_DEP_3)
	v_xor_b32_e32 v3, s10, v5
	v_xor_b32_e32 v2, s11, v2
	ds_load_b32 v38, v40 offset:64
	; wave barrier
	v_bitop3_b32 v1, v1, v2, v3 bitop3:0x80
	s_delay_alu instid0(VALU_DEP_1) | instskip(SKIP_1) | instid1(VALU_DEP_2)
	v_mbcnt_lo_u32_b32 v39, v1, 0
	v_cmp_ne_u32_e64 s11, 0, v1
	v_cmp_eq_u32_e64 s10, 0, v39
	s_and_b32 s11, s11, s10
	s_delay_alu instid0(SALU_CYCLE_1)
	s_and_saveexec_b32 s10, s11
	s_cbranch_execz .LBB175_33
; %bb.32:
	s_wait_dscnt 0x0
	v_bcnt_u32_b32 v1, v1, v38
	ds_store_b32 v40, v1 offset:64
.LBB175_33:
	s_or_b32 exec_lo, exec_lo, s10
	v_lshrrev_b32_e32 v1, s28, v16
	; wave barrier
	s_delay_alu instid0(VALU_DEP_1) | instskip(NEXT) | instid1(VALU_DEP_1)
	v_and_b32_e32 v2, s15, v1
	v_lshlrev_b32_e32 v5, 30, v2
	v_bitop3_b32 v1, v1, 1, s15 bitop3:0x80
	s_delay_alu instid0(VALU_DEP_2) | instskip(NEXT) | instid1(VALU_DEP_2)
	v_cmp_gt_i32_e64 s11, 0, v5
	v_add_co_u32 v1, s10, v1, -1
	s_delay_alu instid0(VALU_DEP_1) | instskip(NEXT) | instid1(VALU_DEP_1)
	v_cndmask_b32_e64 v4, 0, 1, s10
	v_cmp_ne_u32_e64 s10, 0, v4
	v_not_b32_e32 v4, v5
	s_delay_alu instid0(VALU_DEP_1) | instskip(SKIP_3) | instid1(VALU_DEP_4)
	v_dual_ashrrev_i32 v4, 31, v4 :: v_dual_lshlrev_b32 v6, 29, v2
	v_dual_lshlrev_b32 v7, 28, v2 :: v_dual_lshlrev_b32 v41, 27, v2
	v_lshlrev_b32_e32 v42, 26, v2
	v_mul_lo_u32 v3, 0x44, v2
	v_cmp_gt_i32_e64 s12, 0, v6
	v_not_b32_e32 v5, v6
	v_not_b32_e32 v6, v7
	v_cmp_gt_i32_e64 s13, 0, v7
	v_xor_b32_e32 v1, s10, v1
	s_delay_alu instid0(VALU_DEP_4) | instskip(NEXT) | instid1(VALU_DEP_4)
	v_dual_ashrrev_i32 v5, 31, v5 :: v_dual_bitop2_b32 v4, s11, v4 bitop3:0x14
	v_ashrrev_i32_e32 v6, 31, v6
	v_dual_lshlrev_b32 v43, 25, v2 :: v_dual_lshlrev_b32 v2, 24, v2
	v_not_b32_e32 v7, v41
	v_not_b32_e32 v44, v42
	v_xor_b32_e32 v5, s12, v5
	v_xor_b32_e32 v6, s13, v6
	v_bitop3_b32 v1, v1, v4, exec_lo bitop3:0x80
	v_cmp_gt_i32_e64 s10, 0, v41
	v_ashrrev_i32_e32 v4, 31, v7
	v_cmp_gt_i32_e64 s11, 0, v42
	v_ashrrev_i32_e32 v7, 31, v44
	v_bitop3_b32 v1, v1, v6, v5 bitop3:0x80
	v_not_b32_e32 v5, v43
	v_not_b32_e32 v6, v2
	v_xor_b32_e32 v4, s10, v4
	v_xor_b32_e32 v7, s11, v7
	v_cmp_gt_i32_e64 s10, 0, v43
	v_ashrrev_i32_e32 v5, 31, v5
	v_cmp_gt_i32_e64 s11, 0, v2
	v_dual_ashrrev_i32 v2, 31, v6 :: v_dual_add_nc_u32 v43, v0, v3
	v_bitop3_b32 v1, v1, v7, v4 bitop3:0x80
	s_delay_alu instid0(VALU_DEP_4) | instskip(NEXT) | instid1(VALU_DEP_3)
	v_xor_b32_e32 v3, s10, v5
	v_xor_b32_e32 v2, s11, v2
	ds_load_b32 v41, v43 offset:64
	; wave barrier
	v_bitop3_b32 v1, v1, v2, v3 bitop3:0x80
	s_delay_alu instid0(VALU_DEP_1) | instskip(SKIP_1) | instid1(VALU_DEP_2)
	v_mbcnt_lo_u32_b32 v42, v1, 0
	v_cmp_ne_u32_e64 s11, 0, v1
	v_cmp_eq_u32_e64 s10, 0, v42
	s_and_b32 s11, s11, s10
	s_delay_alu instid0(SALU_CYCLE_1)
	s_and_saveexec_b32 s10, s11
	s_cbranch_execz .LBB175_35
; %bb.34:
	s_wait_dscnt 0x0
	v_bcnt_u32_b32 v1, v1, v41
	ds_store_b32 v43, v1 offset:64
.LBB175_35:
	s_or_b32 exec_lo, exec_lo, s10
	v_lshrrev_b32_e32 v1, s28, v15
	; wave barrier
	s_delay_alu instid0(VALU_DEP_1) | instskip(NEXT) | instid1(VALU_DEP_1)
	v_and_b32_e32 v2, s15, v1
	v_lshlrev_b32_e32 v5, 30, v2
	v_bitop3_b32 v1, v1, 1, s15 bitop3:0x80
	s_delay_alu instid0(VALU_DEP_2) | instskip(NEXT) | instid1(VALU_DEP_2)
	v_cmp_gt_i32_e64 s11, 0, v5
	v_add_co_u32 v1, s10, v1, -1
	s_delay_alu instid0(VALU_DEP_1) | instskip(NEXT) | instid1(VALU_DEP_1)
	v_cndmask_b32_e64 v4, 0, 1, s10
	v_cmp_ne_u32_e64 s10, 0, v4
	v_not_b32_e32 v4, v5
	s_delay_alu instid0(VALU_DEP_1) | instskip(SKIP_3) | instid1(VALU_DEP_4)
	v_dual_ashrrev_i32 v4, 31, v4 :: v_dual_lshlrev_b32 v6, 29, v2
	v_dual_lshlrev_b32 v7, 28, v2 :: v_dual_lshlrev_b32 v44, 27, v2
	v_lshlrev_b32_e32 v45, 26, v2
	v_mul_lo_u32 v3, 0x44, v2
	v_cmp_gt_i32_e64 s12, 0, v6
	v_not_b32_e32 v5, v6
	v_not_b32_e32 v6, v7
	v_cmp_gt_i32_e64 s13, 0, v7
	v_xor_b32_e32 v1, s10, v1
	s_delay_alu instid0(VALU_DEP_4) | instskip(NEXT) | instid1(VALU_DEP_4)
	v_dual_ashrrev_i32 v5, 31, v5 :: v_dual_bitop2_b32 v4, s11, v4 bitop3:0x14
	v_ashrrev_i32_e32 v6, 31, v6
	v_dual_lshlrev_b32 v46, 25, v2 :: v_dual_lshlrev_b32 v2, 24, v2
	v_not_b32_e32 v7, v44
	v_not_b32_e32 v47, v45
	v_xor_b32_e32 v5, s12, v5
	v_xor_b32_e32 v6, s13, v6
	v_bitop3_b32 v1, v1, v4, exec_lo bitop3:0x80
	v_cmp_gt_i32_e64 s10, 0, v44
	v_ashrrev_i32_e32 v4, 31, v7
	v_cmp_gt_i32_e64 s11, 0, v45
	v_ashrrev_i32_e32 v7, 31, v47
	v_bitop3_b32 v1, v1, v6, v5 bitop3:0x80
	v_not_b32_e32 v5, v46
	v_not_b32_e32 v6, v2
	v_xor_b32_e32 v4, s10, v4
	v_xor_b32_e32 v7, s11, v7
	v_cmp_gt_i32_e64 s10, 0, v46
	v_ashrrev_i32_e32 v5, 31, v5
	v_cmp_gt_i32_e64 s11, 0, v2
	v_dual_ashrrev_i32 v2, 31, v6 :: v_dual_add_nc_u32 v46, v0, v3
	v_bitop3_b32 v0, v1, v7, v4 bitop3:0x80
	s_delay_alu instid0(VALU_DEP_4) | instskip(NEXT) | instid1(VALU_DEP_3)
	v_xor_b32_e32 v1, s10, v5
	v_xor_b32_e32 v2, s11, v2
	ds_load_b32 v44, v46 offset:64
	; wave barrier
	v_bitop3_b32 v0, v0, v2, v1 bitop3:0x80
	s_delay_alu instid0(VALU_DEP_1) | instskip(SKIP_1) | instid1(VALU_DEP_2)
	v_mbcnt_lo_u32_b32 v45, v0, 0
	v_cmp_ne_u32_e64 s11, 0, v0
	v_cmp_eq_u32_e64 s10, 0, v45
	s_and_b32 s11, s11, s10
	s_delay_alu instid0(SALU_CYCLE_1)
	s_and_saveexec_b32 s10, s11
	s_cbranch_execz .LBB175_37
; %bb.36:
	s_wait_dscnt 0x0
	v_bcnt_u32_b32 v0, v0, v44
	ds_store_b32 v46, v0 offset:64
.LBB175_37:
	s_or_b32 exec_lo, exec_lo, s10
	; wave barrier
	s_wait_dscnt 0x0
	s_barrier_signal -1
	s_barrier_wait -1
	ds_load_2addr_b32 v[6:7], v24 offset0:16 offset1:17
	ds_load_2addr_b32 v[4:5], v24 offset0:18 offset1:19
	;; [unrolled: 1-line block ×4, first 2 shown]
	ds_load_b32 v47, v24 offset:96
	v_bfe_i32 v50, v20, 4, 1
	s_mov_b32 s41, exec_lo
	s_wait_dscnt 0x3
	v_add3_u32 v48, v7, v6, v4
	s_wait_dscnt 0x2
	s_delay_alu instid0(VALU_DEP_1) | instskip(SKIP_1) | instid1(VALU_DEP_1)
	v_add3_u32 v48, v48, v5, v2
	s_wait_dscnt 0x1
	v_add3_u32 v48, v48, v3, v0
	s_wait_dscnt 0x0
	s_delay_alu instid0(VALU_DEP_1) | instskip(SKIP_1) | instid1(VALU_DEP_2)
	v_add3_u32 v47, v48, v1, v47
	v_and_b32_e32 v48, 15, v20
	v_mov_b32_dpp v49, v47 row_shr:1 row_mask:0xf bank_mask:0xf
	s_delay_alu instid0(VALU_DEP_2) | instskip(NEXT) | instid1(VALU_DEP_1)
	v_cmp_eq_u32_e64 s10, 0, v48
	v_cndmask_b32_e64 v49, v49, 0, s10
	s_delay_alu instid0(VALU_DEP_1) | instskip(SKIP_3) | instid1(VALU_DEP_4)
	v_add_nc_u32_e32 v47, v49, v47
	v_cmp_lt_u32_e64 s11, 1, v48
	v_cmp_lt_u32_e64 s12, 3, v48
	;; [unrolled: 1-line block ×3, first 2 shown]
	v_mov_b32_dpp v49, v47 row_shr:2 row_mask:0xf bank_mask:0xf
	s_delay_alu instid0(VALU_DEP_1) | instskip(NEXT) | instid1(VALU_DEP_1)
	v_cndmask_b32_e64 v49, 0, v49, s11
	v_add_nc_u32_e32 v47, v47, v49
	s_delay_alu instid0(VALU_DEP_1) | instskip(NEXT) | instid1(VALU_DEP_1)
	v_mov_b32_dpp v49, v47 row_shr:4 row_mask:0xf bank_mask:0xf
	v_cndmask_b32_e64 v49, 0, v49, s12
	s_delay_alu instid0(VALU_DEP_1) | instskip(NEXT) | instid1(VALU_DEP_1)
	v_add_nc_u32_e32 v47, v47, v49
	v_mov_b32_dpp v49, v47 row_shr:8 row_mask:0xf bank_mask:0xf
	s_delay_alu instid0(VALU_DEP_1) | instskip(SKIP_1) | instid1(VALU_DEP_2)
	v_cndmask_b32_e64 v48, 0, v49, s13
	v_and_b32_e32 v49, 0x3e0, v18
	v_add_nc_u32_e32 v47, v47, v48
	s_delay_alu instid0(VALU_DEP_2) | instskip(SKIP_3) | instid1(VALU_DEP_1)
	v_min_u32_e32 v49, 0x1e0, v49
	ds_swizzle_b32 v48, v47 offset:swizzle(BROADCAST,32,15)
	s_wait_dscnt 0x0
	v_dual_lshrrev_b32 v48, 5, v18 :: v_dual_bitop2_b32 v50, v50, v48 bitop3:0x40
	v_dual_add_nc_u32 v47, v47, v50 :: v_dual_bitop2_b32 v49, 31, v49 bitop3:0x54
	s_delay_alu instid0(VALU_DEP_1)
	v_cmpx_eq_u32_e64 v18, v49
; %bb.38:
	s_delay_alu instid0(VALU_DEP_3)
	v_lshlrev_b32_e32 v49, 2, v48
	ds_store_b32 v49, v47
; %bb.39:
	s_or_b32 exec_lo, exec_lo, s41
	s_delay_alu instid0(SALU_CYCLE_1)
	s_mov_b32 s41, exec_lo
	s_wait_dscnt 0x0
	s_barrier_signal -1
	s_barrier_wait -1
	v_cmpx_gt_u32_e32 16, v18
	s_cbranch_execz .LBB175_41
; %bb.40:
	v_lshlrev_b32_e32 v49, 2, v18
	ds_load_b32 v50, v49
	s_wait_dscnt 0x0
	v_mov_b32_dpp v51, v50 row_shr:1 row_mask:0xf bank_mask:0xf
	s_delay_alu instid0(VALU_DEP_1) | instskip(NEXT) | instid1(VALU_DEP_1)
	v_cndmask_b32_e64 v51, v51, 0, s10
	v_add_nc_u32_e32 v50, v51, v50
	s_delay_alu instid0(VALU_DEP_1) | instskip(NEXT) | instid1(VALU_DEP_1)
	v_mov_b32_dpp v51, v50 row_shr:2 row_mask:0xf bank_mask:0xf
	v_cndmask_b32_e64 v51, 0, v51, s11
	s_delay_alu instid0(VALU_DEP_1) | instskip(NEXT) | instid1(VALU_DEP_1)
	v_add_nc_u32_e32 v50, v50, v51
	v_mov_b32_dpp v51, v50 row_shr:4 row_mask:0xf bank_mask:0xf
	s_delay_alu instid0(VALU_DEP_1) | instskip(NEXT) | instid1(VALU_DEP_1)
	v_cndmask_b32_e64 v51, 0, v51, s12
	v_add_nc_u32_e32 v50, v50, v51
	s_delay_alu instid0(VALU_DEP_1) | instskip(NEXT) | instid1(VALU_DEP_1)
	v_mov_b32_dpp v51, v50 row_shr:8 row_mask:0xf bank_mask:0xf
	v_cndmask_b32_e64 v51, 0, v51, s13
	s_delay_alu instid0(VALU_DEP_1)
	v_add_nc_u32_e32 v50, v50, v51
	ds_store_b32 v49, v50
.LBB175_41:
	s_or_b32 exec_lo, exec_lo, s41
	v_mov_b32_e32 v49, 0
	s_mov_b32 s11, exec_lo
	s_wait_dscnt 0x0
	s_barrier_signal -1
	s_barrier_wait -1
	v_cmpx_lt_u32_e32 31, v18
; %bb.42:
	v_lshl_add_u32 v48, v48, 2, -4
	ds_load_b32 v49, v48
; %bb.43:
	s_or_b32 exec_lo, exec_lo, s11
	v_sub_co_u32 v48, s10, v20, 1
	s_wait_dscnt 0x0
	v_add_nc_u32_e32 v47, v49, v47
	s_delay_alu instid0(VALU_DEP_2) | instskip(NEXT) | instid1(VALU_DEP_1)
	v_cmp_gt_i32_e64 s11, 0, v48
	v_cndmask_b32_e64 v48, v48, v20, s11
	v_cmp_gt_u32_e64 s11, 0x100, v18
	s_delay_alu instid0(VALU_DEP_2) | instskip(SKIP_4) | instid1(VALU_DEP_2)
	v_lshlrev_b32_e32 v48, 2, v48
	ds_bpermute_b32 v47, v48, v47
	s_wait_dscnt 0x0
	v_cndmask_b32_e64 v47, v47, v49, s10
	v_cmp_lt_u32_e64 s10, 0xff, v18
	v_cndmask_b32_e64 v47, v47, 0, s4
	s_delay_alu instid0(VALU_DEP_1) | instskip(NEXT) | instid1(VALU_DEP_1)
	v_add_nc_u32_e32 v6, v47, v6
	v_add_nc_u32_e32 v7, v6, v7
	s_delay_alu instid0(VALU_DEP_1) | instskip(NEXT) | instid1(VALU_DEP_1)
	v_add_nc_u32_e32 v4, v7, v4
	v_add_nc_u32_e32 v5, v4, v5
	;; [unrolled: 3-line block ×4, first 2 shown]
	ds_store_2addr_b32 v24, v47, v6 offset0:16 offset1:17
	ds_store_2addr_b32 v24, v7, v4 offset0:18 offset1:19
	;; [unrolled: 1-line block ×4, first 2 shown]
	ds_store_b32 v24, v1 offset:96
	s_wait_dscnt 0x0
	s_barrier_signal -1
	s_barrier_wait -1
	ds_load_b32 v0, v25 offset:64
	ds_load_b32 v1, v28 offset:64
	;; [unrolled: 1-line block ×8, first 2 shown]
                                        ; implicit-def: $vgpr24
                                        ; implicit-def: $vgpr25
	s_and_saveexec_b32 s13, s11
	s_cbranch_execz .LBB175_47
; %bb.44:
	v_mul_u32_u24_e32 v24, 0x44, v18
	v_dual_mov_b32 v25, 0x1000 :: v_dual_add_nc_u32 v28, 1, v18
	s_mov_b32 s14, exec_lo
	ds_load_b32 v24, v24 offset:64
	v_cmpx_ne_u32_e32 0x100, v28
; %bb.45:
	v_mul_u32_u24_e32 v25, 0x44, v28
	ds_load_b32 v25, v25 offset:64
; %bb.46:
	s_or_b32 exec_lo, exec_lo, s14
	s_wait_dscnt 0x0
	v_sub_nc_u32_e32 v25, v25, v24
.LBB175_47:
	s_or_b32 exec_lo, exec_lo, s13
	s_wait_dscnt 0x6
	v_add3_u32 v26, v27, v26, v1
	v_add_nc_u32_e32 v28, v0, v17
	s_wait_dscnt 0x5
	v_add3_u32 v27, v30, v29, v2
	s_wait_dscnt 0x4
	v_add3_u32 v29, v33, v32, v3
	;; [unrolled: 2-line block ×4, first 2 shown]
	v_dual_lshlrev_b32 v1, 2, v26 :: v_dual_lshlrev_b32 v0, 2, v28
	v_lshlrev_b32_e32 v2, 2, v27
	v_add3_u32 v31, v39, v38, v5
	v_add3_u32 v32, v42, v41, v6
	v_lshlrev_b32_e32 v3, 2, v29
	s_barrier_signal -1
	s_barrier_wait -1
	ds_store_b32 v0, v10 offset:1024
	ds_store_b32 v1, v9 offset:1024
	;; [unrolled: 1-line block ×4, first 2 shown]
	v_dual_lshlrev_b32 v0, 2, v30 :: v_dual_lshlrev_b32 v4, 2, v33
	v_dual_mov_b32 v1, 0 :: v_dual_lshlrev_b32 v34, 2, v18
	v_dual_lshlrev_b32 v2, 2, v31 :: v_dual_lshlrev_b32 v3, 2, v32
	ds_store_b32 v0, v14 offset:1024
	ds_store_b32 v2, v13 offset:1024
	;; [unrolled: 1-line block ×4, first 2 shown]
	s_and_saveexec_b32 s12, s11
	s_cbranch_execz .LBB175_57
; %bb.48:
	v_lshl_add_u32 v0, s31, 8, v18
	v_dual_mov_b32 v6, 0 :: v_dual_bitop2_b32 v4, 2.0, v25 bitop3:0x54
	s_mov_b32 s13, 0
	s_mov_b32 s14, s31
	s_delay_alu instid0(VALU_DEP_2)
	v_lshl_add_u64 v[2:3], v[0:1], 2, s[34:35]
	global_store_b32 v0, v4, s[34:35] scale_offset scope:SCOPE_DEV
                                        ; implicit-def: $sgpr11
	s_branch .LBB175_51
.LBB175_49:                             ;   in Loop: Header=BB175_51 Depth=1
	s_or_b32 exec_lo, exec_lo, s42
.LBB175_50:                             ;   in Loop: Header=BB175_51 Depth=1
	s_delay_alu instid0(SALU_CYCLE_1) | instskip(SKIP_2) | instid1(VALU_DEP_2)
	s_or_b32 exec_lo, exec_lo, s41
	v_and_b32_e32 v0, 0x3fffffff, v7
	v_cmp_gt_i32_e64 s11, -2.0, v7
	v_add_nc_u32_e32 v6, v0, v6
	s_and_b32 s41, exec_lo, s11
	s_delay_alu instid0(SALU_CYCLE_1) | instskip(NEXT) | instid1(SALU_CYCLE_1)
	s_or_b32 s13, s41, s13
	s_and_not1_b32 exec_lo, exec_lo, s13
	s_cbranch_execz .LBB175_56
.LBB175_51:                             ; =>This Loop Header: Depth=1
                                        ;     Child Loop BB175_54 Depth 2
	s_or_b32 s11, s11, exec_lo
	s_cmp_eq_u32 s14, 0
	s_cbranch_scc1 .LBB175_55
; %bb.52:                               ;   in Loop: Header=BB175_51 Depth=1
	s_add_co_i32 s14, s14, -1
	s_mov_b32 s41, exec_lo
	s_wait_xcnt 0x0
	v_lshl_or_b32 v0, s14, 8, v18
	global_load_b32 v7, v0, s[34:35] scale_offset scope:SCOPE_DEV
	s_wait_loadcnt 0x0
	v_cmpx_gt_u32_e32 2.0, v7
	s_cbranch_execz .LBB175_50
; %bb.53:                               ;   in Loop: Header=BB175_51 Depth=1
	v_lshl_add_u64 v[4:5], v[0:1], 2, s[34:35]
	s_mov_b32 s42, 0
.LBB175_54:                             ;   Parent Loop BB175_51 Depth=1
                                        ; =>  This Inner Loop Header: Depth=2
	global_load_b32 v7, v[4:5], off scope:SCOPE_DEV
	s_wait_loadcnt 0x0
	v_cmp_lt_u32_e64 s11, 0x3fffffff, v7
	s_or_b32 s42, s11, s42
	s_wait_xcnt 0x0
	s_and_not1_b32 exec_lo, exec_lo, s42
	s_cbranch_execnz .LBB175_54
	s_branch .LBB175_49
.LBB175_55:                             ;   in Loop: Header=BB175_51 Depth=1
                                        ; implicit-def: $sgpr14
	s_and_b32 s41, exec_lo, s11
	s_delay_alu instid0(SALU_CYCLE_1)
	s_or_b32 s13, s41, s13
	s_wait_xcnt 0x0
	s_and_not1_b32 exec_lo, exec_lo, s13
	s_cbranch_execnz .LBB175_51
.LBB175_56:
	s_or_b32 exec_lo, exec_lo, s13
	v_dual_add_nc_u32 v0, v6, v25 :: v_dual_sub_nc_u32 v1, v6, v24
	s_delay_alu instid0(VALU_DEP_1)
	v_or_b32_e32 v0, 0x80000000, v0
	global_store_b32 v[2:3], v0, off scope:SCOPE_DEV
	global_load_b32 v0, v18, s[24:25] scale_offset
	s_wait_loadcnt 0x0
	v_add_nc_u32_e32 v0, v1, v0
	ds_store_b32 v34, v0
.LBB175_57:
	s_wait_xcnt 0x0
	s_or_b32 exec_lo, exec_lo, s12
	v_lshl_add_u32 v35, v19, 5, 0x4850
	s_mov_b32 s12, exec_lo
	s_wait_storecnt_dscnt 0x0
	s_barrier_signal -1
	s_barrier_wait -1
	v_cmpx_gt_u32_e64 s30, v18
	s_cbranch_execz .LBB175_59
; %bb.58:
	ds_load_b32 v0, v34 offset:1024
	s_wait_dscnt 0x0
	v_lshrrev_b32_e32 v1, s28, v0
	s_delay_alu instid0(VALU_DEP_1) | instskip(NEXT) | instid1(VALU_DEP_1)
	v_and_b32_e32 v1, s15, v1
	v_lshlrev_b32_e32 v2, 2, v1
	ds_store_b32 v35, v1
	ds_load_b32 v2, v2
	s_wait_dscnt 0x0
	v_add_nc_u32_e32 v2, v2, v18
	global_store_b32 v2, v0, s[18:19] scale_offset
.LBB175_59:
	s_wait_xcnt 0x0
	s_or_b32 exec_lo, exec_lo, s12
	v_add_nc_u32_e32 v0, 0x200, v18
	s_mov_b32 s12, exec_lo
	s_delay_alu instid0(VALU_DEP_1)
	v_cmpx_gt_u32_e64 s30, v0
	s_cbranch_execz .LBB175_61
; %bb.60:
	ds_load_b32 v1, v34 offset:3072
	s_wait_dscnt 0x0
	v_lshrrev_b32_e32 v2, s28, v1
	s_delay_alu instid0(VALU_DEP_1) | instskip(NEXT) | instid1(VALU_DEP_1)
	v_and_b32_e32 v2, s15, v2
	v_lshlrev_b32_e32 v3, 2, v2
	ds_store_b32 v35, v2 offset:4
	ds_load_b32 v3, v3
	s_wait_dscnt 0x0
	v_add_nc_u32_e32 v0, v3, v0
	global_store_b32 v0, v1, s[18:19] scale_offset
.LBB175_61:
	s_wait_xcnt 0x0
	s_or_b32 exec_lo, exec_lo, s12
	v_or_b32_e32 v0, 0x400, v18
	s_mov_b32 s12, exec_lo
	s_delay_alu instid0(VALU_DEP_1)
	v_cmpx_gt_u32_e64 s30, v0
	s_cbranch_execz .LBB175_63
; %bb.62:
	ds_load_b32 v1, v34 offset:5120
	s_wait_dscnt 0x0
	v_lshrrev_b32_e32 v2, s28, v1
	s_delay_alu instid0(VALU_DEP_1) | instskip(NEXT) | instid1(VALU_DEP_1)
	v_and_b32_e32 v2, s15, v2
	v_lshlrev_b32_e32 v3, 2, v2
	ds_store_b32 v35, v2 offset:8
	ds_load_b32 v3, v3
	s_wait_dscnt 0x0
	v_add_nc_u32_e32 v0, v3, v0
	global_store_b32 v0, v1, s[18:19] scale_offset
.LBB175_63:
	s_wait_xcnt 0x0
	s_or_b32 exec_lo, exec_lo, s12
	v_add_nc_u32_e32 v0, 0x600, v18
	s_mov_b32 s12, exec_lo
	s_delay_alu instid0(VALU_DEP_1)
	v_cmpx_gt_u32_e64 s30, v0
	s_cbranch_execz .LBB175_65
; %bb.64:
	ds_load_b32 v1, v34 offset:7168
	s_wait_dscnt 0x0
	v_lshrrev_b32_e32 v2, s28, v1
	s_delay_alu instid0(VALU_DEP_1) | instskip(NEXT) | instid1(VALU_DEP_1)
	v_and_b32_e32 v2, s15, v2
	v_lshlrev_b32_e32 v3, 2, v2
	ds_store_b32 v35, v2 offset:12
	ds_load_b32 v3, v3
	s_wait_dscnt 0x0
	v_add_nc_u32_e32 v0, v3, v0
	global_store_b32 v0, v1, s[18:19] scale_offset
.LBB175_65:
	s_wait_xcnt 0x0
	s_or_b32 exec_lo, exec_lo, s12
	v_or_b32_e32 v0, 0x800, v18
	v_add_nc_u32_e32 v36, 16, v35
	s_mov_b32 s12, exec_lo
	s_delay_alu instid0(VALU_DEP_2)
	v_cmpx_gt_u32_e64 s30, v0
	s_cbranch_execz .LBB175_67
; %bb.66:
	ds_load_b32 v1, v34 offset:9216
	s_wait_dscnt 0x0
	v_lshrrev_b32_e32 v2, s28, v1
	s_delay_alu instid0(VALU_DEP_1) | instskip(NEXT) | instid1(VALU_DEP_1)
	v_and_b32_e32 v2, s15, v2
	v_lshlrev_b32_e32 v3, 2, v2
	ds_store_b32 v36, v2
	ds_load_b32 v3, v3
	s_wait_dscnt 0x0
	v_add_nc_u32_e32 v0, v3, v0
	global_store_b32 v0, v1, s[18:19] scale_offset
.LBB175_67:
	s_wait_xcnt 0x0
	s_or_b32 exec_lo, exec_lo, s12
	v_add_nc_u32_e32 v0, 0xa00, v18
	s_mov_b32 s12, exec_lo
	s_delay_alu instid0(VALU_DEP_1)
	v_cmpx_gt_u32_e64 s30, v0
	s_cbranch_execz .LBB175_69
; %bb.68:
	ds_load_b32 v1, v34 offset:11264
	s_wait_dscnt 0x0
	v_lshrrev_b32_e32 v2, s28, v1
	s_delay_alu instid0(VALU_DEP_1) | instskip(NEXT) | instid1(VALU_DEP_1)
	v_and_b32_e32 v2, s15, v2
	v_lshlrev_b32_e32 v3, 2, v2
	ds_store_b32 v35, v2 offset:20
	ds_load_b32 v3, v3
	s_wait_dscnt 0x0
	v_add_nc_u32_e32 v0, v3, v0
	global_store_b32 v0, v1, s[18:19] scale_offset
.LBB175_69:
	s_wait_xcnt 0x0
	s_or_b32 exec_lo, exec_lo, s12
	v_or_b32_e32 v0, 0xc00, v18
	s_mov_b32 s12, exec_lo
	s_delay_alu instid0(VALU_DEP_1)
	v_cmpx_gt_u32_e64 s30, v0
	s_cbranch_execz .LBB175_71
; %bb.70:
	ds_load_b32 v1, v34 offset:13312
	s_wait_dscnt 0x0
	v_lshrrev_b32_e32 v2, s28, v1
	s_delay_alu instid0(VALU_DEP_1) | instskip(NEXT) | instid1(VALU_DEP_1)
	v_and_b32_e32 v2, s15, v2
	v_lshlrev_b32_e32 v3, 2, v2
	ds_store_b32 v35, v2 offset:24
	ds_load_b32 v3, v3
	s_wait_dscnt 0x0
	v_add_nc_u32_e32 v0, v3, v0
	global_store_b32 v0, v1, s[18:19] scale_offset
.LBB175_71:
	s_wait_xcnt 0x0
	s_or_b32 exec_lo, exec_lo, s12
	v_add_nc_u32_e32 v0, 0xe00, v18
	s_mov_b32 s12, exec_lo
	s_delay_alu instid0(VALU_DEP_1)
	v_cmpx_gt_u32_e64 s30, v0
	s_cbranch_execz .LBB175_73
; %bb.72:
	ds_load_b32 v1, v34 offset:15360
	s_wait_dscnt 0x0
	v_lshrrev_b32_e32 v2, s28, v1
	s_delay_alu instid0(VALU_DEP_1) | instskip(NEXT) | instid1(VALU_DEP_1)
	v_and_b32_e32 v2, s15, v2
	v_lshlrev_b32_e32 v3, 2, v2
	ds_store_b32 v35, v2 offset:28
	ds_load_b32 v3, v3
	s_wait_dscnt 0x0
	v_add_nc_u32_e32 v0, v3, v0
	global_store_b32 v0, v1, s[18:19] scale_offset
.LBB175_73:
	s_wait_xcnt 0x0
	s_or_b32 exec_lo, exec_lo, s12
	v_dual_mov_b32 v0, 0 :: v_dual_lshlrev_b32 v2, 3, v20
	s_lshl_b64 s[12:13], s[38:39], 3
	v_lshlrev_b32_e32 v4, 3, v8
	s_add_nc_u64 s[12:13], s[20:21], s[12:13]
	s_delay_alu instid0(VALU_DEP_2) | instskip(NEXT) | instid1(VALU_DEP_1)
	v_dual_mov_b32 v3, v0 :: v_dual_mov_b32 v5, v0
	v_add_nc_u64_e32 v[2:3], s[12:13], v[2:3]
	s_delay_alu instid0(VALU_DEP_1)
	v_add_nc_u64_e32 v[16:17], v[2:3], v[4:5]
	v_dual_mov_b32 v2, 0 :: v_dual_mov_b32 v3, 0
	s_and_saveexec_b32 s11, s9
	s_cbranch_execz .LBB175_75
; %bb.74:
	global_load_b64 v[2:3], v[16:17], off
.LBB175_75:
	s_wait_xcnt 0x0
	s_or_b32 exec_lo, exec_lo, s11
	v_mov_b32_e32 v1, 0
	s_and_saveexec_b32 s9, s8
	s_cbranch_execz .LBB175_77
; %bb.76:
	global_load_b64 v[0:1], v[16:17], off offset:256
.LBB175_77:
	s_wait_xcnt 0x0
	s_or_b32 exec_lo, exec_lo, s9
	v_dual_mov_b32 v4, 0 :: v_dual_mov_b32 v6, 0
	v_mov_b32_e32 v7, 0
	s_and_saveexec_b32 s8, s7
	s_cbranch_execz .LBB175_79
; %bb.78:
	global_load_b64 v[6:7], v[16:17], off offset:512
.LBB175_79:
	s_wait_xcnt 0x0
	s_or_b32 exec_lo, exec_lo, s8
	v_mov_b32_e32 v5, 0
	s_and_saveexec_b32 s7, s6
	s_cbranch_execz .LBB175_81
; %bb.80:
	global_load_b64 v[4:5], v[16:17], off offset:768
.LBB175_81:
	s_wait_xcnt 0x0
	s_or_b32 exec_lo, exec_lo, s7
	v_dual_mov_b32 v8, 0 :: v_dual_mov_b32 v10, 0
	v_mov_b32_e32 v11, 0
	s_and_saveexec_b32 s6, s5
	s_cbranch_execz .LBB175_83
; %bb.82:
	global_load_b64 v[10:11], v[16:17], off offset:1024
.LBB175_83:
	;; [unrolled: 17-line block ×3, first 2 shown]
	s_wait_xcnt 0x0
	s_or_b32 exec_lo, exec_lo, s1
	v_mov_b32_e32 v13, 0
	s_and_saveexec_b32 s0, vcc_lo
	s_cbranch_execz .LBB175_89
; %bb.88:
	global_load_b64 v[12:13], v[16:17], off offset:1792
.LBB175_89:
	s_wait_xcnt 0x0
	s_or_b32 exec_lo, exec_lo, s0
	v_mov_b32_e32 v16, v18
	s_mov_b32 s0, -1
	s_wait_loadcnt 0x0
	s_wait_storecnt 0x0
	s_barrier_signal -1
	s_barrier_wait -1
	s_branch .LBB175_91
.LBB175_90:                             ;   in Loop: Header=BB175_91 Depth=1
	s_wait_xcnt 0x0
	s_or_b32 exec_lo, exec_lo, s1
	v_dual_mov_b32 v35, v36 :: v_dual_add_nc_u32 v16, 0x800, v16
	v_add_nc_u32_e32 v33, 0xfffff800, v33
	v_add_nc_u32_e32 v32, 0xfffff800, v32
	;; [unrolled: 1-line block ×8, first 2 shown]
	s_xor_b32 s0, s0, -1
	s_wait_storecnt 0x0
	s_and_b32 vcc_lo, exec_lo, s0
	s_mov_b32 s0, 0
	s_barrier_signal -1
	s_barrier_wait -1
	s_cbranch_vccnz .LBB175_99
.LBB175_91:                             ; =>This Inner Loop Header: Depth=1
	v_min_u32_e32 v17, 0x800, v28
	v_min_u32_e32 v37, 0x800, v26
	;; [unrolled: 1-line block ×5, first 2 shown]
	v_lshlrev_b32_e32 v17, 3, v17
	s_delay_alu instid0(VALU_DEP_4) | instskip(NEXT) | instid1(VALU_DEP_4)
	v_dual_lshlrev_b32 v37, 3, v37 :: v_dual_lshlrev_b32 v38, 3, v38
	v_lshlrev_b32_e32 v39, 3, v39
	s_mov_b32 s1, exec_lo
	ds_store_b64 v17, v[2:3] offset:1024
	ds_store_b64 v37, v[0:1] offset:1024
	;; [unrolled: 1-line block ×3, first 2 shown]
	v_min_u32_e32 v17, 0x800, v31
	v_min_u32_e32 v37, 0x800, v32
	;; [unrolled: 1-line block ×3, first 2 shown]
	s_delay_alu instid0(VALU_DEP_3) | instskip(NEXT) | instid1(VALU_DEP_2)
	v_dual_lshlrev_b32 v40, 3, v40 :: v_dual_lshlrev_b32 v17, 3, v17
	v_dual_lshlrev_b32 v37, 3, v37 :: v_dual_lshlrev_b32 v38, 3, v38
	ds_store_b64 v39, v[4:5] offset:1024
	ds_store_b64 v40, v[10:11] offset:1024
	;; [unrolled: 1-line block ×5, first 2 shown]
	s_wait_dscnt 0x0
	s_barrier_signal -1
	s_barrier_wait -1
	v_cmpx_gt_u32_e64 s30, v16
	s_cbranch_execz .LBB175_93
; %bb.92:                               ;   in Loop: Header=BB175_91 Depth=1
	ds_load_b32 v17, v35
	s_wait_dscnt 0x0
	v_lshlrev_b32_e32 v17, 2, v17
	ds_load_b32 v17, v17
	ds_load_b64 v[38:39], v23 offset:1024
	s_wait_dscnt 0x1
	v_add_nc_u32_e32 v17, v16, v17
	s_wait_dscnt 0x0
	global_store_b64 v17, v[38:39], s[22:23] scale_offset
.LBB175_93:                             ;   in Loop: Header=BB175_91 Depth=1
	s_wait_xcnt 0x0
	s_or_b32 exec_lo, exec_lo, s1
	v_add_nc_u32_e32 v17, 0x200, v16
	s_mov_b32 s1, exec_lo
	s_delay_alu instid0(VALU_DEP_1)
	v_cmpx_gt_u32_e64 s30, v17
	s_cbranch_execz .LBB175_95
; %bb.94:                               ;   in Loop: Header=BB175_91 Depth=1
	ds_load_b32 v17, v35 offset:4
	s_wait_dscnt 0x0
	v_lshlrev_b32_e32 v17, 2, v17
	ds_load_b32 v17, v17
	ds_load_b64 v[38:39], v23 offset:5120
	s_wait_dscnt 0x1
	v_add3_u32 v17, v16, v17, 0x200
	s_wait_dscnt 0x0
	global_store_b64 v17, v[38:39], s[22:23] scale_offset
.LBB175_95:                             ;   in Loop: Header=BB175_91 Depth=1
	s_wait_xcnt 0x0
	s_or_b32 exec_lo, exec_lo, s1
	v_add_nc_u32_e32 v17, 0x400, v16
	s_mov_b32 s1, exec_lo
	s_delay_alu instid0(VALU_DEP_1)
	v_cmpx_gt_u32_e64 s30, v17
	s_cbranch_execz .LBB175_97
; %bb.96:                               ;   in Loop: Header=BB175_91 Depth=1
	ds_load_b32 v17, v35 offset:8
	s_wait_dscnt 0x0
	v_lshlrev_b32_e32 v17, 2, v17
	ds_load_b32 v17, v17
	ds_load_b64 v[38:39], v23 offset:9216
	s_wait_dscnt 0x1
	v_add3_u32 v17, v16, v17, 0x400
	s_wait_dscnt 0x0
	global_store_b64 v17, v[38:39], s[22:23] scale_offset
.LBB175_97:                             ;   in Loop: Header=BB175_91 Depth=1
	s_wait_xcnt 0x0
	s_or_b32 exec_lo, exec_lo, s1
	v_add_nc_u32_e32 v17, 0x600, v16
	s_mov_b32 s1, exec_lo
	s_delay_alu instid0(VALU_DEP_1)
	v_cmpx_gt_u32_e64 s30, v17
	s_cbranch_execz .LBB175_90
; %bb.98:                               ;   in Loop: Header=BB175_91 Depth=1
	ds_load_b32 v17, v35 offset:12
	s_wait_dscnt 0x0
	v_lshlrev_b32_e32 v17, 2, v17
	ds_load_b32 v17, v17
	ds_load_b64 v[38:39], v23 offset:13312
	s_wait_dscnt 0x1
	v_add3_u32 v17, v16, v17, 0x600
	s_wait_dscnt 0x0
	global_store_b64 v17, v[38:39], s[22:23] scale_offset
	s_branch .LBB175_90
.LBB175_99:
	s_add_co_i32 s40, s40, -1
	s_delay_alu instid0(SALU_CYCLE_1) | instskip(SKIP_2) | instid1(SALU_CYCLE_1)
	s_cmp_eq_u32 s31, s40
	s_cselect_b32 s0, -1, 0
	s_xor_b32 s1, s10, -1
	s_and_b32 s1, s1, s0
	s_delay_alu instid0(SALU_CYCLE_1)
	s_and_saveexec_b32 s0, s1
	s_cbranch_execz .LBB175_101
; %bb.100:
	ds_load_b32 v0, v34
	s_wait_dscnt 0x0
	v_add3_u32 v0, v24, v25, v0
	global_store_b32 v18, v0, s[26:27] scale_offset
.LBB175_101:
	s_wait_xcnt 0x0
	s_or_b32 exec_lo, exec_lo, s0
	s_mov_b32 s0, 0
.LBB175_102:
	s_delay_alu instid0(SALU_CYCLE_1)
	s_and_b32 vcc_lo, exec_lo, s0
	s_cbranch_vccz .LBB175_143
; %bb.103:
	s_lshl_b32 s8, s31, 12
	s_mov_b32 s9, 0
	v_dual_mov_b32 v3, 0 :: v_dual_lshlrev_b32 v2, 2, v20
	s_lshl_b64 s[0:1], s[8:9], 2
	v_and_b32_e32 v8, 0x1f00, v23
	s_add_nc_u64 s[0:1], s[16:17], s[0:1]
	v_mul_u32_u24_e32 v27, 36, v18
	v_add_nc_u64_e32 v[0:1], s[0:1], v[2:3]
	s_bfe_u32 s0, ttmp6, 0x4000c
	v_lshlrev_b32_e32 v2, 2, v8
	s_add_co_i32 s0, s0, 1
	s_and_b32 s1, ttmp6, 15
	s_mul_i32 s0, ttmp9, s0
	s_delay_alu instid0(VALU_DEP_1)
	v_add_nc_u64_e32 v[0:1], v[0:1], v[2:3]
	s_add_co_i32 s1, s1, s0
	s_cmp_eq_u32 s33, 0
	s_clause 0x7
	global_load_b32 v13, v[0:1], off
	global_load_b32 v14, v[0:1], off offset:128
	global_load_b32 v15, v[0:1], off offset:256
	;; [unrolled: 1-line block ×7, first 2 shown]
	s_clause 0x1
	s_load_b32 s10, s[2:3], 0x58
	s_load_u16 s5, s[2:3], 0x66
	s_cselect_b32 s0, ttmp9, s1
	s_mov_b32 s1, s9
	s_wait_kmcnt 0x0
	s_cmp_lt_u32 s0, s10
	v_mad_u32_u24 v1, v22, s5, v21
	s_cselect_b32 s0, 12, 18
	s_lshl_b32 s11, -1, s29
	s_add_nc_u64 s[0:1], s[36:37], s[0:1]
	s_load_u16 s12, s[0:1], 0x0
	ds_store_2addr_b32 v27, v3, v3 offset0:16 offset1:17
	ds_store_2addr_b32 v27, v3, v3 offset0:18 offset1:19
	;; [unrolled: 1-line block ×4, first 2 shown]
	ds_store_b32 v27, v3 offset:96
	s_wait_storecnt 0x0
	s_wait_loadcnt_dscnt 0x0
	s_barrier_signal -1
	s_barrier_wait -1
	; wave barrier
	v_lshrrev_b32_e32 v0, s28, v13
	s_delay_alu instid0(VALU_DEP_1) | instskip(SKIP_2) | instid1(VALU_DEP_2)
	v_bitop3_b32 v2, v0, 1, s11 bitop3:0x40
	v_bitop3_b32 v0, v0, s11, v0 bitop3:0x30
	s_wait_xcnt 0x0
	v_add_co_u32 v2, s0, v2, -1
	s_delay_alu instid0(VALU_DEP_1) | instskip(NEXT) | instid1(VALU_DEP_3)
	v_cndmask_b32_e64 v4, 0, 1, s0
	v_dual_lshlrev_b32 v5, 30, v0 :: v_dual_lshlrev_b32 v6, 29, v0
	v_dual_lshlrev_b32 v7, 28, v0 :: v_dual_lshlrev_b32 v16, 27, v0
	s_delay_alu instid0(VALU_DEP_3) | instskip(NEXT) | instid1(VALU_DEP_3)
	v_cmp_ne_u32_e32 vcc_lo, 0, v4
	v_not_b32_e32 v4, v5
	v_dual_lshlrev_b32 v17, 26, v0 :: v_dual_lshlrev_b32 v21, 25, v0
	v_cmp_gt_i32_e64 s0, 0, v5
	v_cmp_gt_i32_e64 s1, 0, v6
	v_not_b32_e32 v5, v6
	v_not_b32_e32 v6, v7
	v_ashrrev_i32_e32 v4, 31, v4
	v_dual_lshlrev_b32 v22, 24, v0 :: v_dual_bitop2_b32 v2, vcc_lo, v2 bitop3:0x14
	v_cmp_gt_i32_e64 s2, 0, v7
	v_cmp_gt_i32_e64 s3, 0, v16
	v_not_b32_e32 v7, v16
	v_not_b32_e32 v16, v17
	v_dual_ashrrev_i32 v5, 31, v5 :: v_dual_ashrrev_i32 v6, 31, v6
	v_xor_b32_e32 v4, s0, v4
	v_cmp_gt_i32_e64 s5, 0, v17
	v_cmp_gt_i32_e64 s6, 0, v21
	v_not_b32_e32 v17, v21
	v_not_b32_e32 v21, v22
	v_dual_ashrrev_i32 v7, 31, v7 :: v_dual_ashrrev_i32 v16, 31, v16
	v_xor_b32_e32 v5, s1, v5
	v_xor_b32_e32 v6, s2, v6
	v_bitop3_b32 v2, v2, v4, exec_lo bitop3:0x80
	v_cmp_gt_i32_e64 s7, 0, v22
	v_ashrrev_i32_e32 v4, 31, v17
	v_dual_ashrrev_i32 v17, 31, v21 :: v_dual_bitop2_b32 v7, s3, v7 bitop3:0x14
	s_delay_alu instid0(VALU_DEP_4)
	v_bitop3_b32 v2, v2, v6, v5 bitop3:0x80
	s_wait_kmcnt 0x0
	v_mad_u32 v5, v1, s12, v18
	v_xor_b32_e32 v16, s5, v16
	v_xor_b32_e32 v1, s6, v4
	;; [unrolled: 1-line block ×3, first 2 shown]
	s_not_b32 s5, s11
	s_delay_alu instid0(VALU_DEP_3) | instskip(NEXT) | instid1(VALU_DEP_1)
	v_bitop3_b32 v2, v2, v16, v7 bitop3:0x80
	v_bitop3_b32 v1, v2, v4, v1 bitop3:0x80
	v_mul_lo_u32 v2, 0x44, v0
	v_lshrrev_b32_e32 v0, 3, v5
	s_delay_alu instid0(VALU_DEP_3) | instskip(SKIP_1) | instid1(VALU_DEP_3)
	v_mbcnt_lo_u32_b32 v24, v1, 0
	v_cmp_ne_u32_e64 s0, 0, v1
	v_and_b32_e32 v0, 0x1ffffffc, v0
	s_delay_alu instid0(VALU_DEP_3) | instskip(NEXT) | instid1(VALU_DEP_2)
	v_cmp_eq_u32_e32 vcc_lo, 0, v24
	v_add_nc_u32_e32 v28, v0, v2
	s_and_b32 s1, s0, vcc_lo
	s_delay_alu instid0(SALU_CYCLE_1)
	s_and_saveexec_b32 s0, s1
; %bb.104:
	v_bcnt_u32_b32 v1, v1, 0
	ds_store_b32 v28, v1 offset:64
; %bb.105:
	s_or_b32 exec_lo, exec_lo, s0
	v_lshrrev_b32_e32 v1, s28, v14
	; wave barrier
	s_delay_alu instid0(VALU_DEP_1) | instskip(SKIP_1) | instid1(VALU_DEP_2)
	v_and_b32_e32 v2, s5, v1
	v_bitop3_b32 v1, v1, 1, s5 bitop3:0x80
	v_dual_lshlrev_b32 v5, 30, v2 :: v_dual_lshlrev_b32 v6, 29, v2
	s_delay_alu instid0(VALU_DEP_2) | instskip(NEXT) | instid1(VALU_DEP_1)
	v_add_co_u32 v1, s0, v1, -1
	v_cndmask_b32_e64 v4, 0, 1, s0
	v_lshlrev_b32_e32 v7, 28, v2
	s_delay_alu instid0(VALU_DEP_4) | instskip(SKIP_1) | instid1(VALU_DEP_4)
	v_cmp_gt_i32_e64 s0, 0, v5
	v_cmp_gt_i32_e64 s1, 0, v6
	v_cmp_ne_u32_e32 vcc_lo, 0, v4
	v_not_b32_e32 v4, v5
	v_not_b32_e32 v5, v6
	;; [unrolled: 1-line block ×3, first 2 shown]
	s_delay_alu instid0(VALU_DEP_3) | instskip(NEXT) | instid1(VALU_DEP_2)
	v_dual_ashrrev_i32 v4, 31, v4 :: v_dual_bitop2_b32 v1, vcc_lo, v1 bitop3:0x14
	v_dual_ashrrev_i32 v5, 31, v5 :: v_dual_ashrrev_i32 v6, 31, v6
	v_mul_lo_u32 v3, 0x44, v2
	v_dual_lshlrev_b32 v16, 27, v2 :: v_dual_lshlrev_b32 v17, 26, v2
	v_dual_lshlrev_b32 v21, 25, v2 :: v_dual_lshlrev_b32 v2, 24, v2
	v_cmp_gt_i32_e64 s2, 0, v7
	v_xor_b32_e32 v4, s0, v4
	s_delay_alu instid0(VALU_DEP_4)
	v_not_b32_e32 v7, v16
	v_not_b32_e32 v22, v17
	v_xor_b32_e32 v5, s1, v5
	v_xor_b32_e32 v6, s2, v6
	v_bitop3_b32 v1, v1, v4, exec_lo bitop3:0x80
	v_cmp_gt_i32_e32 vcc_lo, 0, v16
	v_ashrrev_i32_e32 v4, 31, v7
	v_cmp_gt_i32_e64 s0, 0, v17
	v_ashrrev_i32_e32 v7, 31, v22
	v_bitop3_b32 v1, v1, v6, v5 bitop3:0x80
	v_not_b32_e32 v5, v21
	v_not_b32_e32 v6, v2
	v_xor_b32_e32 v4, vcc_lo, v4
	v_xor_b32_e32 v7, s0, v7
	v_cmp_gt_i32_e32 vcc_lo, 0, v21
	v_ashrrev_i32_e32 v5, 31, v5
	v_cmp_gt_i32_e64 s0, 0, v2
	v_dual_ashrrev_i32 v2, 31, v6 :: v_dual_add_nc_u32 v31, v0, v3
	v_bitop3_b32 v1, v1, v7, v4 bitop3:0x80
	s_delay_alu instid0(VALU_DEP_4) | instskip(NEXT) | instid1(VALU_DEP_3)
	v_xor_b32_e32 v3, vcc_lo, v5
	v_xor_b32_e32 v2, s0, v2
	ds_load_b32 v16, v31 offset:64
	; wave barrier
	v_bitop3_b32 v1, v1, v2, v3 bitop3:0x80
	s_delay_alu instid0(VALU_DEP_1) | instskip(SKIP_1) | instid1(VALU_DEP_2)
	v_mbcnt_lo_u32_b32 v17, v1, 0
	v_cmp_ne_u32_e64 s0, 0, v1
	v_cmp_eq_u32_e32 vcc_lo, 0, v17
	s_and_b32 s1, s0, vcc_lo
	s_delay_alu instid0(SALU_CYCLE_1)
	s_and_saveexec_b32 s0, s1
	s_cbranch_execz .LBB175_107
; %bb.106:
	s_wait_dscnt 0x0
	v_bcnt_u32_b32 v1, v1, v16
	ds_store_b32 v31, v1 offset:64
.LBB175_107:
	s_or_b32 exec_lo, exec_lo, s0
	v_lshrrev_b32_e32 v1, s28, v15
	; wave barrier
	s_delay_alu instid0(VALU_DEP_1) | instskip(NEXT) | instid1(VALU_DEP_1)
	v_and_b32_e32 v2, s5, v1
	v_lshlrev_b32_e32 v5, 30, v2
	v_bitop3_b32 v1, v1, 1, s5 bitop3:0x80
	s_delay_alu instid0(VALU_DEP_1) | instskip(NEXT) | instid1(VALU_DEP_1)
	v_add_co_u32 v1, s0, v1, -1
	v_cndmask_b32_e64 v4, 0, 1, s0
	s_delay_alu instid0(VALU_DEP_4) | instskip(NEXT) | instid1(VALU_DEP_2)
	v_cmp_gt_i32_e64 s0, 0, v5
	v_cmp_ne_u32_e32 vcc_lo, 0, v4
	v_not_b32_e32 v4, v5
	s_delay_alu instid0(VALU_DEP_1) | instskip(SKIP_3) | instid1(VALU_DEP_4)
	v_dual_ashrrev_i32 v4, 31, v4 :: v_dual_lshlrev_b32 v6, 29, v2
	v_dual_lshlrev_b32 v7, 28, v2 :: v_dual_lshlrev_b32 v21, 27, v2
	v_lshlrev_b32_e32 v22, 26, v2
	v_mul_lo_u32 v3, 0x44, v2
	v_cmp_gt_i32_e64 s1, 0, v6
	v_not_b32_e32 v5, v6
	v_not_b32_e32 v6, v7
	v_cmp_gt_i32_e64 s2, 0, v7
	v_xor_b32_e32 v1, vcc_lo, v1
	s_delay_alu instid0(VALU_DEP_4) | instskip(NEXT) | instid1(VALU_DEP_4)
	v_dual_ashrrev_i32 v5, 31, v5 :: v_dual_bitop2_b32 v4, s0, v4 bitop3:0x14
	v_ashrrev_i32_e32 v6, 31, v6
	v_dual_lshlrev_b32 v25, 25, v2 :: v_dual_lshlrev_b32 v2, 24, v2
	v_not_b32_e32 v7, v21
	v_not_b32_e32 v26, v22
	v_xor_b32_e32 v5, s1, v5
	v_xor_b32_e32 v6, s2, v6
	v_bitop3_b32 v1, v1, v4, exec_lo bitop3:0x80
	v_cmp_gt_i32_e32 vcc_lo, 0, v21
	v_ashrrev_i32_e32 v4, 31, v7
	v_cmp_gt_i32_e64 s0, 0, v22
	v_ashrrev_i32_e32 v7, 31, v26
	v_bitop3_b32 v1, v1, v6, v5 bitop3:0x80
	v_not_b32_e32 v5, v25
	v_not_b32_e32 v6, v2
	v_xor_b32_e32 v4, vcc_lo, v4
	v_xor_b32_e32 v7, s0, v7
	v_cmp_gt_i32_e32 vcc_lo, 0, v25
	v_ashrrev_i32_e32 v5, 31, v5
	v_cmp_gt_i32_e64 s0, 0, v2
	v_dual_ashrrev_i32 v2, 31, v6 :: v_dual_add_nc_u32 v34, v0, v3
	v_bitop3_b32 v1, v1, v7, v4 bitop3:0x80
	s_delay_alu instid0(VALU_DEP_4) | instskip(NEXT) | instid1(VALU_DEP_3)
	v_xor_b32_e32 v3, vcc_lo, v5
	v_xor_b32_e32 v2, s0, v2
	ds_load_b32 v21, v34 offset:64
	; wave barrier
	v_bitop3_b32 v1, v1, v2, v3 bitop3:0x80
	s_delay_alu instid0(VALU_DEP_1) | instskip(SKIP_1) | instid1(VALU_DEP_2)
	v_mbcnt_lo_u32_b32 v22, v1, 0
	v_cmp_ne_u32_e64 s0, 0, v1
	v_cmp_eq_u32_e32 vcc_lo, 0, v22
	s_and_b32 s1, s0, vcc_lo
	s_delay_alu instid0(SALU_CYCLE_1)
	s_and_saveexec_b32 s0, s1
	s_cbranch_execz .LBB175_109
; %bb.108:
	s_wait_dscnt 0x0
	v_bcnt_u32_b32 v1, v1, v21
	ds_store_b32 v34, v1 offset:64
.LBB175_109:
	s_or_b32 exec_lo, exec_lo, s0
	v_lshrrev_b32_e32 v1, s28, v23
	; wave barrier
	s_delay_alu instid0(VALU_DEP_1) | instskip(NEXT) | instid1(VALU_DEP_1)
	v_and_b32_e32 v2, s5, v1
	v_lshlrev_b32_e32 v5, 30, v2
	v_bitop3_b32 v1, v1, 1, s5 bitop3:0x80
	s_delay_alu instid0(VALU_DEP_1) | instskip(NEXT) | instid1(VALU_DEP_1)
	v_add_co_u32 v1, s0, v1, -1
	v_cndmask_b32_e64 v4, 0, 1, s0
	s_delay_alu instid0(VALU_DEP_4) | instskip(NEXT) | instid1(VALU_DEP_2)
	v_cmp_gt_i32_e64 s0, 0, v5
	v_cmp_ne_u32_e32 vcc_lo, 0, v4
	v_not_b32_e32 v4, v5
	s_delay_alu instid0(VALU_DEP_1) | instskip(SKIP_3) | instid1(VALU_DEP_4)
	v_dual_ashrrev_i32 v4, 31, v4 :: v_dual_lshlrev_b32 v6, 29, v2
	v_dual_lshlrev_b32 v7, 28, v2 :: v_dual_lshlrev_b32 v25, 27, v2
	v_lshlrev_b32_e32 v26, 26, v2
	v_mul_lo_u32 v3, 0x44, v2
	v_cmp_gt_i32_e64 s1, 0, v6
	v_not_b32_e32 v5, v6
	v_not_b32_e32 v6, v7
	v_cmp_gt_i32_e64 s2, 0, v7
	v_xor_b32_e32 v1, vcc_lo, v1
	s_delay_alu instid0(VALU_DEP_4) | instskip(NEXT) | instid1(VALU_DEP_4)
	v_dual_ashrrev_i32 v5, 31, v5 :: v_dual_bitop2_b32 v4, s0, v4 bitop3:0x14
	v_ashrrev_i32_e32 v6, 31, v6
	v_dual_lshlrev_b32 v29, 25, v2 :: v_dual_lshlrev_b32 v2, 24, v2
	v_not_b32_e32 v7, v25
	v_not_b32_e32 v30, v26
	v_xor_b32_e32 v5, s1, v5
	v_xor_b32_e32 v6, s2, v6
	v_bitop3_b32 v1, v1, v4, exec_lo bitop3:0x80
	v_cmp_gt_i32_e32 vcc_lo, 0, v25
	v_ashrrev_i32_e32 v4, 31, v7
	v_cmp_gt_i32_e64 s0, 0, v26
	v_ashrrev_i32_e32 v7, 31, v30
	v_bitop3_b32 v1, v1, v6, v5 bitop3:0x80
	v_not_b32_e32 v5, v29
	v_not_b32_e32 v6, v2
	v_xor_b32_e32 v4, vcc_lo, v4
	v_xor_b32_e32 v7, s0, v7
	v_cmp_gt_i32_e32 vcc_lo, 0, v29
	v_ashrrev_i32_e32 v5, 31, v5
	v_cmp_gt_i32_e64 s0, 0, v2
	v_dual_ashrrev_i32 v2, 31, v6 :: v_dual_add_nc_u32 v37, v0, v3
	v_bitop3_b32 v1, v1, v7, v4 bitop3:0x80
	s_delay_alu instid0(VALU_DEP_4) | instskip(NEXT) | instid1(VALU_DEP_3)
	v_xor_b32_e32 v3, vcc_lo, v5
	v_xor_b32_e32 v2, s0, v2
	ds_load_b32 v25, v37 offset:64
	; wave barrier
	v_bitop3_b32 v1, v1, v2, v3 bitop3:0x80
	s_delay_alu instid0(VALU_DEP_1) | instskip(SKIP_1) | instid1(VALU_DEP_2)
	v_mbcnt_lo_u32_b32 v26, v1, 0
	v_cmp_ne_u32_e64 s0, 0, v1
	v_cmp_eq_u32_e32 vcc_lo, 0, v26
	s_and_b32 s1, s0, vcc_lo
	s_delay_alu instid0(SALU_CYCLE_1)
	s_and_saveexec_b32 s0, s1
	s_cbranch_execz .LBB175_111
; %bb.110:
	s_wait_dscnt 0x0
	v_bcnt_u32_b32 v1, v1, v25
	ds_store_b32 v37, v1 offset:64
.LBB175_111:
	s_or_b32 exec_lo, exec_lo, s0
	v_lshrrev_b32_e32 v1, s28, v9
	; wave barrier
	s_delay_alu instid0(VALU_DEP_1) | instskip(NEXT) | instid1(VALU_DEP_1)
	v_and_b32_e32 v2, s5, v1
	v_lshlrev_b32_e32 v5, 30, v2
	v_bitop3_b32 v1, v1, 1, s5 bitop3:0x80
	s_delay_alu instid0(VALU_DEP_1) | instskip(NEXT) | instid1(VALU_DEP_1)
	v_add_co_u32 v1, s0, v1, -1
	v_cndmask_b32_e64 v4, 0, 1, s0
	s_delay_alu instid0(VALU_DEP_4) | instskip(NEXT) | instid1(VALU_DEP_2)
	v_cmp_gt_i32_e64 s0, 0, v5
	v_cmp_ne_u32_e32 vcc_lo, 0, v4
	v_not_b32_e32 v4, v5
	s_delay_alu instid0(VALU_DEP_1) | instskip(SKIP_3) | instid1(VALU_DEP_4)
	v_dual_ashrrev_i32 v4, 31, v4 :: v_dual_lshlrev_b32 v6, 29, v2
	v_dual_lshlrev_b32 v7, 28, v2 :: v_dual_lshlrev_b32 v29, 27, v2
	v_lshlrev_b32_e32 v30, 26, v2
	v_mul_lo_u32 v3, 0x44, v2
	v_cmp_gt_i32_e64 s1, 0, v6
	v_not_b32_e32 v5, v6
	v_not_b32_e32 v6, v7
	v_cmp_gt_i32_e64 s2, 0, v7
	v_xor_b32_e32 v1, vcc_lo, v1
	s_delay_alu instid0(VALU_DEP_4) | instskip(NEXT) | instid1(VALU_DEP_4)
	v_dual_ashrrev_i32 v5, 31, v5 :: v_dual_bitop2_b32 v4, s0, v4 bitop3:0x14
	v_ashrrev_i32_e32 v6, 31, v6
	v_dual_lshlrev_b32 v32, 25, v2 :: v_dual_lshlrev_b32 v2, 24, v2
	v_not_b32_e32 v7, v29
	v_not_b32_e32 v33, v30
	v_xor_b32_e32 v5, s1, v5
	v_xor_b32_e32 v6, s2, v6
	v_bitop3_b32 v1, v1, v4, exec_lo bitop3:0x80
	v_cmp_gt_i32_e32 vcc_lo, 0, v29
	v_ashrrev_i32_e32 v4, 31, v7
	v_cmp_gt_i32_e64 s0, 0, v30
	v_ashrrev_i32_e32 v7, 31, v33
	v_bitop3_b32 v1, v1, v6, v5 bitop3:0x80
	v_not_b32_e32 v5, v32
	v_not_b32_e32 v6, v2
	v_xor_b32_e32 v4, vcc_lo, v4
	v_xor_b32_e32 v7, s0, v7
	v_cmp_gt_i32_e32 vcc_lo, 0, v32
	v_ashrrev_i32_e32 v5, 31, v5
	v_cmp_gt_i32_e64 s0, 0, v2
	v_dual_ashrrev_i32 v2, 31, v6 :: v_dual_add_nc_u32 v40, v0, v3
	v_bitop3_b32 v1, v1, v7, v4 bitop3:0x80
	s_delay_alu instid0(VALU_DEP_4) | instskip(NEXT) | instid1(VALU_DEP_3)
	v_xor_b32_e32 v3, vcc_lo, v5
	v_xor_b32_e32 v2, s0, v2
	ds_load_b32 v29, v40 offset:64
	; wave barrier
	v_bitop3_b32 v1, v1, v2, v3 bitop3:0x80
	s_delay_alu instid0(VALU_DEP_1) | instskip(SKIP_1) | instid1(VALU_DEP_2)
	v_mbcnt_lo_u32_b32 v30, v1, 0
	v_cmp_ne_u32_e64 s0, 0, v1
	v_cmp_eq_u32_e32 vcc_lo, 0, v30
	s_and_b32 s1, s0, vcc_lo
	s_delay_alu instid0(SALU_CYCLE_1)
	s_and_saveexec_b32 s0, s1
	s_cbranch_execz .LBB175_113
; %bb.112:
	s_wait_dscnt 0x0
	v_bcnt_u32_b32 v1, v1, v29
	ds_store_b32 v40, v1 offset:64
.LBB175_113:
	s_or_b32 exec_lo, exec_lo, s0
	v_lshrrev_b32_e32 v1, s28, v10
	; wave barrier
	s_delay_alu instid0(VALU_DEP_1) | instskip(SKIP_1) | instid1(VALU_DEP_2)
	v_and_b32_e32 v2, s5, v1
	v_bitop3_b32 v1, v1, 1, s5 bitop3:0x80
	v_dual_lshlrev_b32 v5, 30, v2 :: v_dual_lshlrev_b32 v6, 29, v2
	s_delay_alu instid0(VALU_DEP_2) | instskip(NEXT) | instid1(VALU_DEP_1)
	v_add_co_u32 v1, s0, v1, -1
	v_cndmask_b32_e64 v4, 0, 1, s0
	v_lshlrev_b32_e32 v7, 28, v2
	s_delay_alu instid0(VALU_DEP_4) | instskip(SKIP_1) | instid1(VALU_DEP_4)
	v_cmp_gt_i32_e64 s0, 0, v5
	v_cmp_gt_i32_e64 s1, 0, v6
	v_cmp_ne_u32_e32 vcc_lo, 0, v4
	v_not_b32_e32 v4, v5
	v_not_b32_e32 v5, v6
	;; [unrolled: 1-line block ×3, first 2 shown]
	s_delay_alu instid0(VALU_DEP_3) | instskip(NEXT) | instid1(VALU_DEP_2)
	v_dual_ashrrev_i32 v4, 31, v4 :: v_dual_bitop2_b32 v1, vcc_lo, v1 bitop3:0x14
	v_dual_ashrrev_i32 v5, 31, v5 :: v_dual_ashrrev_i32 v6, 31, v6
	v_mul_lo_u32 v3, 0x44, v2
	v_dual_lshlrev_b32 v32, 27, v2 :: v_dual_lshlrev_b32 v33, 26, v2
	v_dual_lshlrev_b32 v35, 25, v2 :: v_dual_lshlrev_b32 v2, 24, v2
	v_cmp_gt_i32_e64 s2, 0, v7
	v_xor_b32_e32 v4, s0, v4
	s_delay_alu instid0(VALU_DEP_4)
	v_not_b32_e32 v7, v32
	v_not_b32_e32 v36, v33
	v_xor_b32_e32 v5, s1, v5
	v_xor_b32_e32 v6, s2, v6
	v_bitop3_b32 v1, v1, v4, exec_lo bitop3:0x80
	v_cmp_gt_i32_e32 vcc_lo, 0, v32
	v_ashrrev_i32_e32 v4, 31, v7
	v_cmp_gt_i32_e64 s0, 0, v33
	v_ashrrev_i32_e32 v7, 31, v36
	v_bitop3_b32 v1, v1, v6, v5 bitop3:0x80
	v_not_b32_e32 v5, v35
	v_not_b32_e32 v6, v2
	v_xor_b32_e32 v4, vcc_lo, v4
	v_xor_b32_e32 v7, s0, v7
	v_cmp_gt_i32_e32 vcc_lo, 0, v35
	v_ashrrev_i32_e32 v5, 31, v5
	v_cmp_gt_i32_e64 s0, 0, v2
	v_dual_ashrrev_i32 v2, 31, v6 :: v_dual_add_nc_u32 v42, v0, v3
	v_bitop3_b32 v1, v1, v7, v4 bitop3:0x80
	s_delay_alu instid0(VALU_DEP_4) | instskip(NEXT) | instid1(VALU_DEP_3)
	v_xor_b32_e32 v3, vcc_lo, v5
	v_xor_b32_e32 v2, s0, v2
	ds_load_b32 v32, v42 offset:64
	; wave barrier
	v_bitop3_b32 v1, v1, v2, v3 bitop3:0x80
	s_delay_alu instid0(VALU_DEP_1) | instskip(SKIP_1) | instid1(VALU_DEP_2)
	v_mbcnt_lo_u32_b32 v33, v1, 0
	v_cmp_ne_u32_e64 s0, 0, v1
	v_cmp_eq_u32_e32 vcc_lo, 0, v33
	s_and_b32 s1, s0, vcc_lo
	s_delay_alu instid0(SALU_CYCLE_1)
	s_and_saveexec_b32 s0, s1
	s_cbranch_execz .LBB175_115
; %bb.114:
	s_wait_dscnt 0x0
	v_bcnt_u32_b32 v1, v1, v32
	ds_store_b32 v42, v1 offset:64
.LBB175_115:
	s_or_b32 exec_lo, exec_lo, s0
	v_lshrrev_b32_e32 v1, s28, v11
	; wave barrier
	s_delay_alu instid0(VALU_DEP_1) | instskip(NEXT) | instid1(VALU_DEP_1)
	v_and_b32_e32 v2, s5, v1
	v_lshlrev_b32_e32 v5, 30, v2
	v_bitop3_b32 v1, v1, 1, s5 bitop3:0x80
	s_delay_alu instid0(VALU_DEP_1) | instskip(NEXT) | instid1(VALU_DEP_1)
	v_add_co_u32 v1, s0, v1, -1
	v_cndmask_b32_e64 v4, 0, 1, s0
	s_delay_alu instid0(VALU_DEP_4) | instskip(NEXT) | instid1(VALU_DEP_2)
	v_cmp_gt_i32_e64 s0, 0, v5
	v_cmp_ne_u32_e32 vcc_lo, 0, v4
	v_not_b32_e32 v4, v5
	s_delay_alu instid0(VALU_DEP_1) | instskip(SKIP_3) | instid1(VALU_DEP_4)
	v_dual_ashrrev_i32 v4, 31, v4 :: v_dual_lshlrev_b32 v6, 29, v2
	v_dual_lshlrev_b32 v7, 28, v2 :: v_dual_lshlrev_b32 v35, 27, v2
	v_lshlrev_b32_e32 v36, 26, v2
	v_mul_lo_u32 v3, 0x44, v2
	v_cmp_gt_i32_e64 s1, 0, v6
	v_not_b32_e32 v5, v6
	v_not_b32_e32 v6, v7
	v_cmp_gt_i32_e64 s2, 0, v7
	v_xor_b32_e32 v1, vcc_lo, v1
	s_delay_alu instid0(VALU_DEP_4) | instskip(NEXT) | instid1(VALU_DEP_4)
	v_dual_ashrrev_i32 v5, 31, v5 :: v_dual_bitop2_b32 v4, s0, v4 bitop3:0x14
	v_ashrrev_i32_e32 v6, 31, v6
	v_dual_lshlrev_b32 v38, 25, v2 :: v_dual_lshlrev_b32 v2, 24, v2
	v_not_b32_e32 v7, v35
	v_not_b32_e32 v39, v36
	v_xor_b32_e32 v5, s1, v5
	v_xor_b32_e32 v6, s2, v6
	v_bitop3_b32 v1, v1, v4, exec_lo bitop3:0x80
	v_cmp_gt_i32_e32 vcc_lo, 0, v35
	v_ashrrev_i32_e32 v4, 31, v7
	v_cmp_gt_i32_e64 s0, 0, v36
	v_ashrrev_i32_e32 v7, 31, v39
	v_bitop3_b32 v1, v1, v6, v5 bitop3:0x80
	v_not_b32_e32 v5, v38
	v_not_b32_e32 v6, v2
	v_xor_b32_e32 v4, vcc_lo, v4
	v_xor_b32_e32 v7, s0, v7
	v_cmp_gt_i32_e32 vcc_lo, 0, v38
	v_ashrrev_i32_e32 v5, 31, v5
	v_cmp_gt_i32_e64 s0, 0, v2
	v_dual_ashrrev_i32 v2, 31, v6 :: v_dual_add_nc_u32 v43, v0, v3
	v_bitop3_b32 v1, v1, v7, v4 bitop3:0x80
	s_delay_alu instid0(VALU_DEP_4) | instskip(NEXT) | instid1(VALU_DEP_3)
	v_xor_b32_e32 v3, vcc_lo, v5
	v_xor_b32_e32 v2, s0, v2
	ds_load_b32 v35, v43 offset:64
	; wave barrier
	v_bitop3_b32 v1, v1, v2, v3 bitop3:0x80
	s_delay_alu instid0(VALU_DEP_1) | instskip(SKIP_1) | instid1(VALU_DEP_2)
	v_mbcnt_lo_u32_b32 v36, v1, 0
	v_cmp_ne_u32_e64 s0, 0, v1
	v_cmp_eq_u32_e32 vcc_lo, 0, v36
	s_and_b32 s1, s0, vcc_lo
	s_delay_alu instid0(SALU_CYCLE_1)
	s_and_saveexec_b32 s0, s1
	s_cbranch_execz .LBB175_117
; %bb.116:
	s_wait_dscnt 0x0
	v_bcnt_u32_b32 v1, v1, v35
	ds_store_b32 v43, v1 offset:64
.LBB175_117:
	s_or_b32 exec_lo, exec_lo, s0
	v_lshrrev_b32_e32 v1, s28, v12
	; wave barrier
	s_delay_alu instid0(VALU_DEP_1) | instskip(NEXT) | instid1(VALU_DEP_1)
	v_and_b32_e32 v2, s5, v1
	v_lshlrev_b32_e32 v5, 30, v2
	v_bitop3_b32 v1, v1, 1, s5 bitop3:0x80
	s_delay_alu instid0(VALU_DEP_1) | instskip(NEXT) | instid1(VALU_DEP_1)
	v_add_co_u32 v1, s0, v1, -1
	v_cndmask_b32_e64 v4, 0, 1, s0
	s_delay_alu instid0(VALU_DEP_4) | instskip(NEXT) | instid1(VALU_DEP_2)
	v_cmp_gt_i32_e64 s0, 0, v5
	v_cmp_ne_u32_e32 vcc_lo, 0, v4
	v_not_b32_e32 v4, v5
	s_delay_alu instid0(VALU_DEP_1) | instskip(SKIP_3) | instid1(VALU_DEP_4)
	v_dual_ashrrev_i32 v4, 31, v4 :: v_dual_lshlrev_b32 v6, 29, v2
	v_dual_lshlrev_b32 v7, 28, v2 :: v_dual_lshlrev_b32 v38, 27, v2
	v_lshlrev_b32_e32 v39, 26, v2
	v_mul_lo_u32 v3, 0x44, v2
	v_cmp_gt_i32_e64 s1, 0, v6
	v_not_b32_e32 v5, v6
	v_not_b32_e32 v6, v7
	v_cmp_gt_i32_e64 s2, 0, v7
	v_xor_b32_e32 v1, vcc_lo, v1
	s_delay_alu instid0(VALU_DEP_4) | instskip(NEXT) | instid1(VALU_DEP_4)
	v_dual_ashrrev_i32 v5, 31, v5 :: v_dual_bitop2_b32 v4, s0, v4 bitop3:0x14
	v_ashrrev_i32_e32 v6, 31, v6
	v_dual_lshlrev_b32 v41, 25, v2 :: v_dual_lshlrev_b32 v2, 24, v2
	v_not_b32_e32 v7, v38
	v_not_b32_e32 v44, v39
	v_xor_b32_e32 v5, s1, v5
	v_xor_b32_e32 v6, s2, v6
	v_bitop3_b32 v1, v1, v4, exec_lo bitop3:0x80
	v_cmp_gt_i32_e32 vcc_lo, 0, v38
	v_ashrrev_i32_e32 v4, 31, v7
	v_cmp_gt_i32_e64 s0, 0, v39
	v_ashrrev_i32_e32 v7, 31, v44
	v_bitop3_b32 v1, v1, v6, v5 bitop3:0x80
	v_not_b32_e32 v5, v41
	v_not_b32_e32 v6, v2
	v_xor_b32_e32 v4, vcc_lo, v4
	v_xor_b32_e32 v7, s0, v7
	v_cmp_gt_i32_e32 vcc_lo, 0, v41
	v_ashrrev_i32_e32 v5, 31, v5
	v_cmp_gt_i32_e64 s0, 0, v2
	v_dual_ashrrev_i32 v2, 31, v6 :: v_dual_add_nc_u32 v44, v0, v3
	v_bitop3_b32 v0, v1, v7, v4 bitop3:0x80
	s_delay_alu instid0(VALU_DEP_4) | instskip(NEXT) | instid1(VALU_DEP_3)
	v_xor_b32_e32 v1, vcc_lo, v5
	v_xor_b32_e32 v2, s0, v2
	ds_load_b32 v39, v44 offset:64
	; wave barrier
	v_bitop3_b32 v0, v0, v2, v1 bitop3:0x80
	s_delay_alu instid0(VALU_DEP_1) | instskip(SKIP_1) | instid1(VALU_DEP_2)
	v_mbcnt_lo_u32_b32 v41, v0, 0
	v_cmp_ne_u32_e64 s0, 0, v0
	v_cmp_eq_u32_e32 vcc_lo, 0, v41
	s_and_b32 s1, s0, vcc_lo
	s_delay_alu instid0(SALU_CYCLE_1)
	s_and_saveexec_b32 s0, s1
	s_cbranch_execz .LBB175_119
; %bb.118:
	s_wait_dscnt 0x0
	v_bcnt_u32_b32 v0, v0, v39
	ds_store_b32 v44, v0 offset:64
.LBB175_119:
	s_or_b32 exec_lo, exec_lo, s0
	; wave barrier
	s_wait_dscnt 0x0
	s_barrier_signal -1
	s_barrier_wait -1
	ds_load_2addr_b32 v[6:7], v27 offset0:16 offset1:17
	ds_load_2addr_b32 v[4:5], v27 offset0:18 offset1:19
	;; [unrolled: 1-line block ×4, first 2 shown]
	ds_load_b32 v38, v27 offset:96
	v_bfe_i32 v47, v20, 4, 1
	s_mov_b32 s6, exec_lo
	s_wait_dscnt 0x3
	v_add3_u32 v45, v7, v6, v4
	s_wait_dscnt 0x2
	s_delay_alu instid0(VALU_DEP_1) | instskip(SKIP_1) | instid1(VALU_DEP_1)
	v_add3_u32 v45, v45, v5, v2
	s_wait_dscnt 0x1
	v_add3_u32 v45, v45, v3, v0
	s_wait_dscnt 0x0
	s_delay_alu instid0(VALU_DEP_1) | instskip(SKIP_1) | instid1(VALU_DEP_2)
	v_add3_u32 v38, v45, v1, v38
	v_and_b32_e32 v45, 15, v20
	v_mov_b32_dpp v46, v38 row_shr:1 row_mask:0xf bank_mask:0xf
	s_delay_alu instid0(VALU_DEP_2) | instskip(NEXT) | instid1(VALU_DEP_2)
	v_cmp_eq_u32_e32 vcc_lo, 0, v45
	v_cndmask_b32_e64 v46, v46, 0, vcc_lo
	s_delay_alu instid0(VALU_DEP_1) | instskip(SKIP_3) | instid1(VALU_DEP_4)
	v_add_nc_u32_e32 v38, v46, v38
	v_cmp_lt_u32_e64 s0, 1, v45
	v_cmp_lt_u32_e64 s1, 3, v45
	;; [unrolled: 1-line block ×3, first 2 shown]
	v_mov_b32_dpp v46, v38 row_shr:2 row_mask:0xf bank_mask:0xf
	s_delay_alu instid0(VALU_DEP_1) | instskip(NEXT) | instid1(VALU_DEP_1)
	v_cndmask_b32_e64 v46, 0, v46, s0
	v_add_nc_u32_e32 v38, v38, v46
	s_delay_alu instid0(VALU_DEP_1) | instskip(NEXT) | instid1(VALU_DEP_1)
	v_mov_b32_dpp v46, v38 row_shr:4 row_mask:0xf bank_mask:0xf
	v_cndmask_b32_e64 v46, 0, v46, s1
	s_delay_alu instid0(VALU_DEP_1) | instskip(NEXT) | instid1(VALU_DEP_1)
	v_add_nc_u32_e32 v38, v38, v46
	v_mov_b32_dpp v46, v38 row_shr:8 row_mask:0xf bank_mask:0xf
	s_delay_alu instid0(VALU_DEP_1) | instskip(SKIP_1) | instid1(VALU_DEP_2)
	v_cndmask_b32_e64 v45, 0, v46, s2
	v_and_b32_e32 v46, 0x3e0, v18
	v_add_nc_u32_e32 v38, v38, v45
	s_delay_alu instid0(VALU_DEP_2) | instskip(SKIP_4) | instid1(VALU_DEP_2)
	v_min_u32_e32 v46, 0x1e0, v46
	ds_swizzle_b32 v45, v38 offset:swizzle(BROADCAST,32,15)
	s_wait_dscnt 0x0
	v_and_b32_e32 v45, v47, v45
	v_or_b32_e32 v47, 31, v46
	v_dual_lshrrev_b32 v46, 5, v18 :: v_dual_add_nc_u32 v45, v38, v45
	s_delay_alu instid0(VALU_DEP_2)
	v_cmpx_eq_u32_e64 v18, v47
; %bb.120:
	s_delay_alu instid0(VALU_DEP_2)
	v_lshlrev_b32_e32 v38, 2, v46
	ds_store_b32 v38, v45
; %bb.121:
	s_or_b32 exec_lo, exec_lo, s6
	v_lshlrev_b32_e32 v38, 2, v18
	s_mov_b32 s6, exec_lo
	s_wait_dscnt 0x0
	s_barrier_signal -1
	s_barrier_wait -1
	v_cmpx_gt_u32_e32 16, v18
	s_cbranch_execz .LBB175_123
; %bb.122:
	ds_load_b32 v47, v38
	s_wait_dscnt 0x0
	v_mov_b32_dpp v48, v47 row_shr:1 row_mask:0xf bank_mask:0xf
	s_delay_alu instid0(VALU_DEP_1) | instskip(NEXT) | instid1(VALU_DEP_1)
	v_cndmask_b32_e64 v48, v48, 0, vcc_lo
	v_add_nc_u32_e32 v47, v48, v47
	s_delay_alu instid0(VALU_DEP_1) | instskip(NEXT) | instid1(VALU_DEP_1)
	v_mov_b32_dpp v48, v47 row_shr:2 row_mask:0xf bank_mask:0xf
	v_cndmask_b32_e64 v48, 0, v48, s0
	s_delay_alu instid0(VALU_DEP_1) | instskip(NEXT) | instid1(VALU_DEP_1)
	v_add_nc_u32_e32 v47, v47, v48
	v_mov_b32_dpp v48, v47 row_shr:4 row_mask:0xf bank_mask:0xf
	s_delay_alu instid0(VALU_DEP_1) | instskip(NEXT) | instid1(VALU_DEP_1)
	v_cndmask_b32_e64 v48, 0, v48, s1
	v_add_nc_u32_e32 v47, v47, v48
	s_delay_alu instid0(VALU_DEP_1) | instskip(NEXT) | instid1(VALU_DEP_1)
	v_mov_b32_dpp v48, v47 row_shr:8 row_mask:0xf bank_mask:0xf
	v_cndmask_b32_e64 v48, 0, v48, s2
	s_delay_alu instid0(VALU_DEP_1)
	v_add_nc_u32_e32 v47, v47, v48
	ds_store_b32 v38, v47
.LBB175_123:
	s_or_b32 exec_lo, exec_lo, s6
	v_mov_b32_e32 v47, 0
	s_mov_b32 s0, exec_lo
	s_wait_dscnt 0x0
	s_barrier_signal -1
	s_barrier_wait -1
	v_cmpx_lt_u32_e32 31, v18
; %bb.124:
	v_lshl_add_u32 v46, v46, 2, -4
	ds_load_b32 v47, v46
; %bb.125:
	s_or_b32 exec_lo, exec_lo, s0
	v_sub_co_u32 v46, vcc_lo, v20, 1
	s_wait_dscnt 0x0
	v_add_nc_u32_e32 v45, v47, v45
	s_delay_alu instid0(VALU_DEP_2) | instskip(NEXT) | instid1(VALU_DEP_1)
	v_cmp_gt_i32_e64 s0, 0, v46
	v_cndmask_b32_e64 v46, v46, v20, s0
	v_cmp_lt_u32_e64 s0, 0xff, v18
	s_delay_alu instid0(VALU_DEP_2) | instskip(SKIP_4) | instid1(VALU_DEP_2)
	v_lshlrev_b32_e32 v46, 2, v46
	ds_bpermute_b32 v45, v46, v45
	s_wait_dscnt 0x0
	v_cndmask_b32_e32 v45, v45, v47, vcc_lo
	v_cmp_gt_u32_e32 vcc_lo, 0x100, v18
	v_cndmask_b32_e64 v45, v45, 0, s4
	s_delay_alu instid0(VALU_DEP_1) | instskip(NEXT) | instid1(VALU_DEP_1)
	v_add_nc_u32_e32 v6, v45, v6
	v_add_nc_u32_e32 v7, v6, v7
	s_delay_alu instid0(VALU_DEP_1) | instskip(NEXT) | instid1(VALU_DEP_1)
	v_add_nc_u32_e32 v4, v7, v4
	v_add_nc_u32_e32 v5, v4, v5
	;; [unrolled: 3-line block ×4, first 2 shown]
	ds_store_2addr_b32 v27, v45, v6 offset0:16 offset1:17
	ds_store_2addr_b32 v27, v7, v4 offset0:18 offset1:19
	;; [unrolled: 1-line block ×4, first 2 shown]
	ds_store_b32 v27, v1 offset:96
	s_wait_dscnt 0x0
	s_barrier_signal -1
	s_barrier_wait -1
	ds_load_b32 v0, v28 offset:64
	ds_load_b32 v31, v31 offset:64
	;; [unrolled: 1-line block ×8, first 2 shown]
                                        ; implicit-def: $vgpr27
                                        ; implicit-def: $vgpr28
	s_and_saveexec_b32 s2, vcc_lo
	s_cbranch_execz .LBB175_129
; %bb.126:
	v_mul_u32_u24_e32 v1, 0x44, v18
	v_add_nc_u32_e32 v2, 1, v18
	s_mov_b32 s3, exec_lo
	ds_load_b32 v27, v1 offset:64
	v_mov_b32_e32 v1, 0x1000
	v_cmpx_ne_u32_e32 0x100, v2
; %bb.127:
	v_mul_u32_u24_e32 v1, 0x44, v2
	ds_load_b32 v1, v1 offset:64
; %bb.128:
	s_or_b32 exec_lo, exec_lo, s3
	s_wait_dscnt 0x0
	v_sub_nc_u32_e32 v28, v1, v27
.LBB175_129:
	s_or_b32 exec_lo, exec_lo, s2
	s_wait_dscnt 0x7
	v_dual_add_nc_u32 v5, v26, v25 :: v_dual_add_nc_u32 v24, v0, v24
	v_dual_add_nc_u32 v6, v22, v21 :: v_dual_add_nc_u32 v0, v17, v16
	;; [unrolled: 1-line block ×3, first 2 shown]
	s_delay_alu instid0(VALU_DEP_3)
	v_dual_lshlrev_b32 v7, 2, v24 :: v_dual_add_nc_u32 v2, v36, v35
	v_add_nc_u32_e32 v3, v33, v32
	s_wait_dscnt 0x6
	v_add_lshl_u32 v0, v0, v31, 2
	s_wait_dscnt 0x5
	v_add_lshl_u32 v6, v6, v34, 2
	;; [unrolled: 2-line block ×3, first 2 shown]
	s_wait_dscnt 0x0
	s_barrier_signal -1
	s_barrier_wait -1
	ds_store_b32 v7, v13 offset:1024
	ds_store_b32 v0, v14 offset:1024
	;; [unrolled: 1-line block ×4, first 2 shown]
	v_add_lshl_u32 v0, v4, v40, 2
	v_add_lshl_u32 v4, v1, v44, 2
	v_mov_b32_e32 v1, 0
	v_add_lshl_u32 v3, v3, v42, 2
	v_add_lshl_u32 v2, v2, v43, 2
	ds_store_b32 v0, v9 offset:1024
	ds_store_b32 v3, v10 offset:1024
	;; [unrolled: 1-line block ×4, first 2 shown]
	s_and_saveexec_b32 s1, vcc_lo
	s_cbranch_execz .LBB175_139
; %bb.130:
	v_lshl_add_u32 v0, s31, 8, v18
	v_dual_mov_b32 v6, 0 :: v_dual_bitop2_b32 v4, 2.0, v28 bitop3:0x54
	s_mov_b32 s2, 0
	s_mov_b32 s3, s31
	s_delay_alu instid0(VALU_DEP_2)
	v_lshl_add_u64 v[2:3], v[0:1], 2, s[34:35]
	global_store_b32 v0, v4, s[34:35] scale_offset scope:SCOPE_DEV
                                        ; implicit-def: $sgpr4
	s_branch .LBB175_133
.LBB175_131:                            ;   in Loop: Header=BB175_133 Depth=1
	s_or_b32 exec_lo, exec_lo, s6
.LBB175_132:                            ;   in Loop: Header=BB175_133 Depth=1
	s_delay_alu instid0(SALU_CYCLE_1) | instskip(SKIP_2) | instid1(VALU_DEP_2)
	s_or_b32 exec_lo, exec_lo, s4
	v_and_b32_e32 v0, 0x3fffffff, v7
	v_cmp_gt_i32_e64 s4, -2.0, v7
	v_add_nc_u32_e32 v6, v0, v6
	s_and_b32 s6, exec_lo, s4
	s_delay_alu instid0(SALU_CYCLE_1) | instskip(NEXT) | instid1(SALU_CYCLE_1)
	s_or_b32 s2, s6, s2
	s_and_not1_b32 exec_lo, exec_lo, s2
	s_cbranch_execz .LBB175_138
.LBB175_133:                            ; =>This Loop Header: Depth=1
                                        ;     Child Loop BB175_136 Depth 2
	s_or_b32 s4, s4, exec_lo
	s_cmp_eq_u32 s3, 0
	s_cbranch_scc1 .LBB175_137
; %bb.134:                              ;   in Loop: Header=BB175_133 Depth=1
	s_add_co_i32 s3, s3, -1
	s_mov_b32 s4, exec_lo
	s_wait_xcnt 0x0
	v_lshl_or_b32 v0, s3, 8, v18
	global_load_b32 v7, v0, s[34:35] scale_offset scope:SCOPE_DEV
	s_wait_loadcnt 0x0
	v_cmpx_gt_u32_e32 2.0, v7
	s_cbranch_execz .LBB175_132
; %bb.135:                              ;   in Loop: Header=BB175_133 Depth=1
	v_lshl_add_u64 v[4:5], v[0:1], 2, s[34:35]
	s_mov_b32 s6, 0
.LBB175_136:                            ;   Parent Loop BB175_133 Depth=1
                                        ; =>  This Inner Loop Header: Depth=2
	global_load_b32 v7, v[4:5], off scope:SCOPE_DEV
	s_wait_loadcnt 0x0
	v_cmp_lt_u32_e32 vcc_lo, 0x3fffffff, v7
	s_or_b32 s6, vcc_lo, s6
	s_wait_xcnt 0x0
	s_and_not1_b32 exec_lo, exec_lo, s6
	s_cbranch_execnz .LBB175_136
	s_branch .LBB175_131
.LBB175_137:                            ;   in Loop: Header=BB175_133 Depth=1
                                        ; implicit-def: $sgpr3
	s_and_b32 s6, exec_lo, s4
	s_delay_alu instid0(SALU_CYCLE_1)
	s_or_b32 s2, s6, s2
	s_wait_xcnt 0x0
	s_and_not1_b32 exec_lo, exec_lo, s2
	s_cbranch_execnz .LBB175_133
.LBB175_138:
	s_or_b32 exec_lo, exec_lo, s2
	v_dual_add_nc_u32 v0, v6, v28 :: v_dual_sub_nc_u32 v1, v6, v27
	s_delay_alu instid0(VALU_DEP_1)
	v_or_b32_e32 v0, 0x80000000, v0
	global_store_b32 v[2:3], v0, off scope:SCOPE_DEV
	global_load_b32 v0, v18, s[24:25] scale_offset
	s_wait_loadcnt 0x0
	v_add_nc_u32_e32 v0, v1, v0
	ds_store_b32 v38, v0
.LBB175_139:
	s_wait_xcnt 0x0
	s_or_b32 exec_lo, exec_lo, s1
	s_wait_storecnt_dscnt 0x0
	s_barrier_signal -1
	s_barrier_wait -1
	ds_load_2addr_stride64_b32 v[0:1], v38 offset0:4 offset1:12
	ds_load_2addr_stride64_b32 v[2:3], v38 offset0:20 offset1:28
	;; [unrolled: 1-line block ×4, first 2 shown]
	v_dual_mov_b32 v11, 0 :: v_dual_lshlrev_b32 v10, 3, v20
	s_lshl_b64 s[2:3], s[8:9], 3
	v_add3_u32 v32, v33, v42, v32
	s_add_nc_u64 s[2:3], s[20:21], s[2:3]
	v_add3_u32 v29, v30, v40, v29
	v_add3_u32 v25, v26, v37, v25
	;; [unrolled: 1-line block ×4, first 2 shown]
	s_mov_b32 s1, 0
	v_add_nc_u32_e32 v17, v38, v38
	s_wait_dscnt 0x3
	v_dual_mov_b32 v22, v18 :: v_dual_lshrrev_b32 v9, s28, v1
	s_wait_dscnt 0x2
	v_dual_lshrrev_b32 v12, s28, v0 :: v_dual_lshrrev_b32 v13, s28, v3
	s_wait_dscnt 0x1
	v_dual_lshrrev_b32 v14, s28, v2 :: v_dual_lshrrev_b32 v15, s28, v5
	;; [unrolled: 2-line block ×3, first 2 shown]
	v_dual_lshrrev_b32 v45, s28, v6 :: v_dual_bitop2_b32 v46, s5, v12 bitop3:0x40
	v_and_b32_e32 v47, s5, v9
	v_and_b32_e32 v48, s5, v14
	;; [unrolled: 1-line block ×6, first 2 shown]
	v_dual_lshlrev_b32 v9, 2, v46 :: v_dual_bitop2_b32 v53, s5, v23 bitop3:0x40
	v_dual_lshlrev_b32 v12, 2, v47 :: v_dual_lshlrev_b32 v13, 2, v48
	v_dual_lshlrev_b32 v14, 2, v49 :: v_dual_lshlrev_b32 v15, 2, v50
	s_delay_alu instid0(VALU_DEP_4) | instskip(NEXT) | instid1(VALU_DEP_4)
	v_dual_lshlrev_b32 v20, 2, v51 :: v_dual_lshlrev_b32 v23, 2, v52
	v_lshlrev_b32_e32 v45, 2, v53
	ds_load_b32 v9, v9
	ds_load_b32 v56, v12
	;; [unrolled: 1-line block ×8, first 2 shown]
	v_add_nc_u64_e32 v[12:13], s[2:3], v[10:11]
	v_lshlrev_b32_e32 v10, 3, v8
	s_mov_b32 s2, -1
	s_delay_alu instid0(VALU_DEP_1)
	v_add_nc_u64_e32 v[54:55], v[12:13], v[10:11]
	s_wait_dscnt 0x7
	v_add_nc_u32_e32 v8, v9, v18
	s_wait_dscnt 0x6
	v_add3_u32 v9, v18, v56, 0x200
	s_wait_dscnt 0x5
	v_add3_u32 v10, v57, v18, 0x400
	s_wait_dscnt 0x4
	v_add3_u32 v11, v18, v14, 0x600
	s_wait_dscnt 0x3
	v_add3_u32 v12, v15, v18, 0x800
	s_wait_dscnt 0x2
	v_add3_u32 v13, v18, v20, 0xa00
	s_wait_dscnt 0x1
	v_add3_u32 v14, v23, v18, 0xc00
	s_wait_dscnt 0x0
	v_add3_u32 v15, v18, v45, 0xe00
	s_clause 0x7
	global_store_b32 v8, v0, s[18:19] scale_offset
	global_store_b32 v9, v1, s[18:19] scale_offset
	;; [unrolled: 1-line block ×8, first 2 shown]
	s_clause 0x7
	global_load_b64 v[0:1], v[54:55], off
	global_load_b64 v[2:3], v[54:55], off offset:256
	global_load_b64 v[4:5], v[54:55], off offset:512
	;; [unrolled: 1-line block ×7, first 2 shown]
	v_lshlrev_b32_e32 v20, 5, v19
	ds_store_b128 v20, v[46:49] offset:34896
	ds_store_b128 v20, v[50:53] offset:34912
	v_add_nc_u32_e32 v45, 0x8850, v20
	v_add_nc_u32_e32 v19, 0x8860, v20
	v_add3_u32 v20, v41, v44, v39
	v_add3_u32 v23, v36, v43, v35
	s_wait_storecnt 0x0
	s_wait_loadcnt_dscnt 0x0
	s_barrier_signal -1
	s_barrier_wait -1
.LBB175_140:                            ; =>This Inner Loop Header: Depth=1
	s_wait_xcnt 0x3
	v_add_min_u32_e64 v26, v24, s1, 0x800
	s_wait_xcnt 0x2
	v_add_min_u32_e64 v30, v16, s1, 0x800
	;; [unrolled: 2-line block ×4, first 2 shown]
	v_add_min_u32_e64 v34, v29, s1, 0x800
	v_add_min_u32_e64 v35, v32, s1, 0x800
	;; [unrolled: 1-line block ×4, first 2 shown]
	v_dual_lshlrev_b32 v26, 3, v26 :: v_dual_lshlrev_b32 v31, 3, v31
	v_dual_lshlrev_b32 v30, 3, v30 :: v_dual_lshlrev_b32 v33, 3, v33
	;; [unrolled: 1-line block ×3, first 2 shown]
	s_delay_alu instid0(VALU_DEP_4)
	v_dual_lshlrev_b32 v36, 3, v36 :: v_dual_lshlrev_b32 v37, 3, v37
	ds_store_b64 v26, v[0:1] offset:1024
	ds_store_b64 v30, v[2:3] offset:1024
	;; [unrolled: 1-line block ×8, first 2 shown]
	s_wait_dscnt 0x0
	s_barrier_signal -1
	s_barrier_wait -1
	ds_load_2addr_b32 v[30:31], v45 offset1:1
	ds_load_2addr_b32 v[40:41], v45 offset0:2 offset1:3
	ds_load_2addr_stride64_b64 v[34:37], v17 offset0:2 offset1:10
	s_addk_co_i32 s1, 0xf800
	s_and_b32 vcc_lo, exec_lo, s2
	s_mov_b32 s2, 0
	s_wait_dscnt 0x2
	v_dual_lshlrev_b32 v26, 2, v30 :: v_dual_lshlrev_b32 v30, 2, v31
	s_wait_dscnt 0x1
	v_dual_lshlrev_b32 v31, 2, v40 :: v_dual_lshlrev_b32 v33, 2, v41
	ds_load_b32 v26, v26
	ds_load_b32 v30, v30
	;; [unrolled: 1-line block ×4, first 2 shown]
	ds_load_2addr_stride64_b64 v[40:43], v17 offset0:18 offset1:26
	s_wait_dscnt 0x4
	v_dual_mov_b32 v45, v19 :: v_dual_add_nc_u32 v26, v22, v26
	s_wait_dscnt 0x3
	v_add3_u32 v30, v22, v30, 0x200
	s_wait_dscnt 0x2
	v_add3_u32 v31, v22, v31, 0x400
	;; [unrolled: 2-line block ×3, first 2 shown]
	v_add_nc_u32_e32 v22, 0x800, v22
	s_clause 0x1
	global_store_b64 v26, v[34:35], s[22:23] scale_offset
	global_store_b64 v30, v[36:37], s[22:23] scale_offset
	s_wait_dscnt 0x0
	s_clause 0x1
	global_store_b64 v31, v[40:41], s[22:23] scale_offset
	global_store_b64 v33, v[42:43], s[22:23] scale_offset
	s_wait_storecnt 0x0
	s_barrier_signal -1
	s_barrier_wait -1
	s_cbranch_vccnz .LBB175_140
; %bb.141:
	s_add_co_i32 s10, s10, -1
	s_delay_alu instid0(SALU_CYCLE_1) | instskip(SKIP_2) | instid1(SALU_CYCLE_1)
	s_cmp_eq_u32 s31, s10
	s_cselect_b32 s1, -1, 0
	s_xor_b32 s0, s0, -1
	s_and_b32 s0, s0, s1
	s_wait_xcnt 0x0
	s_and_saveexec_b32 s1, s0
	s_cbranch_execz .LBB175_143
; %bb.142:
	ds_load_b32 v0, v38
	s_wait_dscnt 0x0
	v_add3_u32 v0, v27, v28, v0
	global_store_b32 v18, v0, s[26:27] scale_offset
.LBB175_143:
	s_endpgm
	.section	.rodata,"a",@progbits
	.p2align	6, 0x0
	.amdhsa_kernel _ZN7rocprim17ROCPRIM_400000_NS6detail17trampoline_kernelINS0_14default_configENS1_35radix_sort_onesweep_config_selectorIjN6thrust23THRUST_200600_302600_NS5tupleIffNS6_9null_typeES8_S8_S8_S8_S8_S8_S8_EEEEZZNS1_29radix_sort_onesweep_iterationIS3_Lb0ENS6_6detail15normal_iteratorINS6_10device_ptrIjEEEESG_NSD_INSE_IS9_EEEESI_jNS0_19identity_decomposerENS1_16block_id_wrapperIjLb1EEEEE10hipError_tT1_PNSt15iterator_traitsISN_E10value_typeET2_T3_PNSO_IST_E10value_typeET4_T5_PSY_SZ_PNS1_23onesweep_lookback_stateEbbT6_jjT7_P12ihipStream_tbENKUlT_T0_SN_SS_E_clISG_SG_SI_SI_EEDaS16_S17_SN_SS_EUlS16_E_NS1_11comp_targetILNS1_3genE0ELNS1_11target_archE4294967295ELNS1_3gpuE0ELNS1_3repE0EEENS1_47radix_sort_onesweep_sort_config_static_selectorELNS0_4arch9wavefront6targetE0EEEvSN_
		.amdhsa_group_segment_fixed_size 51280
		.amdhsa_private_segment_fixed_size 0
		.amdhsa_kernarg_size 344
		.amdhsa_user_sgpr_count 4
		.amdhsa_user_sgpr_dispatch_ptr 1
		.amdhsa_user_sgpr_queue_ptr 0
		.amdhsa_user_sgpr_kernarg_segment_ptr 1
		.amdhsa_user_sgpr_dispatch_id 0
		.amdhsa_user_sgpr_kernarg_preload_length 0
		.amdhsa_user_sgpr_kernarg_preload_offset 0
		.amdhsa_user_sgpr_private_segment_size 0
		.amdhsa_wavefront_size32 1
		.amdhsa_uses_dynamic_stack 0
		.amdhsa_enable_private_segment 0
		.amdhsa_system_sgpr_workgroup_id_x 1
		.amdhsa_system_sgpr_workgroup_id_y 0
		.amdhsa_system_sgpr_workgroup_id_z 0
		.amdhsa_system_sgpr_workgroup_info 0
		.amdhsa_system_vgpr_workitem_id 2
		.amdhsa_next_free_vgpr 58
		.amdhsa_next_free_sgpr 43
		.amdhsa_named_barrier_count 0
		.amdhsa_reserve_vcc 1
		.amdhsa_float_round_mode_32 0
		.amdhsa_float_round_mode_16_64 0
		.amdhsa_float_denorm_mode_32 3
		.amdhsa_float_denorm_mode_16_64 3
		.amdhsa_fp16_overflow 0
		.amdhsa_memory_ordered 1
		.amdhsa_forward_progress 1
		.amdhsa_inst_pref_size 105
		.amdhsa_round_robin_scheduling 0
		.amdhsa_exception_fp_ieee_invalid_op 0
		.amdhsa_exception_fp_denorm_src 0
		.amdhsa_exception_fp_ieee_div_zero 0
		.amdhsa_exception_fp_ieee_overflow 0
		.amdhsa_exception_fp_ieee_underflow 0
		.amdhsa_exception_fp_ieee_inexact 0
		.amdhsa_exception_int_div_zero 0
	.end_amdhsa_kernel
	.section	.text._ZN7rocprim17ROCPRIM_400000_NS6detail17trampoline_kernelINS0_14default_configENS1_35radix_sort_onesweep_config_selectorIjN6thrust23THRUST_200600_302600_NS5tupleIffNS6_9null_typeES8_S8_S8_S8_S8_S8_S8_EEEEZZNS1_29radix_sort_onesweep_iterationIS3_Lb0ENS6_6detail15normal_iteratorINS6_10device_ptrIjEEEESG_NSD_INSE_IS9_EEEESI_jNS0_19identity_decomposerENS1_16block_id_wrapperIjLb1EEEEE10hipError_tT1_PNSt15iterator_traitsISN_E10value_typeET2_T3_PNSO_IST_E10value_typeET4_T5_PSY_SZ_PNS1_23onesweep_lookback_stateEbbT6_jjT7_P12ihipStream_tbENKUlT_T0_SN_SS_E_clISG_SG_SI_SI_EEDaS16_S17_SN_SS_EUlS16_E_NS1_11comp_targetILNS1_3genE0ELNS1_11target_archE4294967295ELNS1_3gpuE0ELNS1_3repE0EEENS1_47radix_sort_onesweep_sort_config_static_selectorELNS0_4arch9wavefront6targetE0EEEvSN_,"axG",@progbits,_ZN7rocprim17ROCPRIM_400000_NS6detail17trampoline_kernelINS0_14default_configENS1_35radix_sort_onesweep_config_selectorIjN6thrust23THRUST_200600_302600_NS5tupleIffNS6_9null_typeES8_S8_S8_S8_S8_S8_S8_EEEEZZNS1_29radix_sort_onesweep_iterationIS3_Lb0ENS6_6detail15normal_iteratorINS6_10device_ptrIjEEEESG_NSD_INSE_IS9_EEEESI_jNS0_19identity_decomposerENS1_16block_id_wrapperIjLb1EEEEE10hipError_tT1_PNSt15iterator_traitsISN_E10value_typeET2_T3_PNSO_IST_E10value_typeET4_T5_PSY_SZ_PNS1_23onesweep_lookback_stateEbbT6_jjT7_P12ihipStream_tbENKUlT_T0_SN_SS_E_clISG_SG_SI_SI_EEDaS16_S17_SN_SS_EUlS16_E_NS1_11comp_targetILNS1_3genE0ELNS1_11target_archE4294967295ELNS1_3gpuE0ELNS1_3repE0EEENS1_47radix_sort_onesweep_sort_config_static_selectorELNS0_4arch9wavefront6targetE0EEEvSN_,comdat
.Lfunc_end175:
	.size	_ZN7rocprim17ROCPRIM_400000_NS6detail17trampoline_kernelINS0_14default_configENS1_35radix_sort_onesweep_config_selectorIjN6thrust23THRUST_200600_302600_NS5tupleIffNS6_9null_typeES8_S8_S8_S8_S8_S8_S8_EEEEZZNS1_29radix_sort_onesweep_iterationIS3_Lb0ENS6_6detail15normal_iteratorINS6_10device_ptrIjEEEESG_NSD_INSE_IS9_EEEESI_jNS0_19identity_decomposerENS1_16block_id_wrapperIjLb1EEEEE10hipError_tT1_PNSt15iterator_traitsISN_E10value_typeET2_T3_PNSO_IST_E10value_typeET4_T5_PSY_SZ_PNS1_23onesweep_lookback_stateEbbT6_jjT7_P12ihipStream_tbENKUlT_T0_SN_SS_E_clISG_SG_SI_SI_EEDaS16_S17_SN_SS_EUlS16_E_NS1_11comp_targetILNS1_3genE0ELNS1_11target_archE4294967295ELNS1_3gpuE0ELNS1_3repE0EEENS1_47radix_sort_onesweep_sort_config_static_selectorELNS0_4arch9wavefront6targetE0EEEvSN_, .Lfunc_end175-_ZN7rocprim17ROCPRIM_400000_NS6detail17trampoline_kernelINS0_14default_configENS1_35radix_sort_onesweep_config_selectorIjN6thrust23THRUST_200600_302600_NS5tupleIffNS6_9null_typeES8_S8_S8_S8_S8_S8_S8_EEEEZZNS1_29radix_sort_onesweep_iterationIS3_Lb0ENS6_6detail15normal_iteratorINS6_10device_ptrIjEEEESG_NSD_INSE_IS9_EEEESI_jNS0_19identity_decomposerENS1_16block_id_wrapperIjLb1EEEEE10hipError_tT1_PNSt15iterator_traitsISN_E10value_typeET2_T3_PNSO_IST_E10value_typeET4_T5_PSY_SZ_PNS1_23onesweep_lookback_stateEbbT6_jjT7_P12ihipStream_tbENKUlT_T0_SN_SS_E_clISG_SG_SI_SI_EEDaS16_S17_SN_SS_EUlS16_E_NS1_11comp_targetILNS1_3genE0ELNS1_11target_archE4294967295ELNS1_3gpuE0ELNS1_3repE0EEENS1_47radix_sort_onesweep_sort_config_static_selectorELNS0_4arch9wavefront6targetE0EEEvSN_
                                        ; -- End function
	.set _ZN7rocprim17ROCPRIM_400000_NS6detail17trampoline_kernelINS0_14default_configENS1_35radix_sort_onesweep_config_selectorIjN6thrust23THRUST_200600_302600_NS5tupleIffNS6_9null_typeES8_S8_S8_S8_S8_S8_S8_EEEEZZNS1_29radix_sort_onesweep_iterationIS3_Lb0ENS6_6detail15normal_iteratorINS6_10device_ptrIjEEEESG_NSD_INSE_IS9_EEEESI_jNS0_19identity_decomposerENS1_16block_id_wrapperIjLb1EEEEE10hipError_tT1_PNSt15iterator_traitsISN_E10value_typeET2_T3_PNSO_IST_E10value_typeET4_T5_PSY_SZ_PNS1_23onesweep_lookback_stateEbbT6_jjT7_P12ihipStream_tbENKUlT_T0_SN_SS_E_clISG_SG_SI_SI_EEDaS16_S17_SN_SS_EUlS16_E_NS1_11comp_targetILNS1_3genE0ELNS1_11target_archE4294967295ELNS1_3gpuE0ELNS1_3repE0EEENS1_47radix_sort_onesweep_sort_config_static_selectorELNS0_4arch9wavefront6targetE0EEEvSN_.num_vgpr, 58
	.set _ZN7rocprim17ROCPRIM_400000_NS6detail17trampoline_kernelINS0_14default_configENS1_35radix_sort_onesweep_config_selectorIjN6thrust23THRUST_200600_302600_NS5tupleIffNS6_9null_typeES8_S8_S8_S8_S8_S8_S8_EEEEZZNS1_29radix_sort_onesweep_iterationIS3_Lb0ENS6_6detail15normal_iteratorINS6_10device_ptrIjEEEESG_NSD_INSE_IS9_EEEESI_jNS0_19identity_decomposerENS1_16block_id_wrapperIjLb1EEEEE10hipError_tT1_PNSt15iterator_traitsISN_E10value_typeET2_T3_PNSO_IST_E10value_typeET4_T5_PSY_SZ_PNS1_23onesweep_lookback_stateEbbT6_jjT7_P12ihipStream_tbENKUlT_T0_SN_SS_E_clISG_SG_SI_SI_EEDaS16_S17_SN_SS_EUlS16_E_NS1_11comp_targetILNS1_3genE0ELNS1_11target_archE4294967295ELNS1_3gpuE0ELNS1_3repE0EEENS1_47radix_sort_onesweep_sort_config_static_selectorELNS0_4arch9wavefront6targetE0EEEvSN_.num_agpr, 0
	.set _ZN7rocprim17ROCPRIM_400000_NS6detail17trampoline_kernelINS0_14default_configENS1_35radix_sort_onesweep_config_selectorIjN6thrust23THRUST_200600_302600_NS5tupleIffNS6_9null_typeES8_S8_S8_S8_S8_S8_S8_EEEEZZNS1_29radix_sort_onesweep_iterationIS3_Lb0ENS6_6detail15normal_iteratorINS6_10device_ptrIjEEEESG_NSD_INSE_IS9_EEEESI_jNS0_19identity_decomposerENS1_16block_id_wrapperIjLb1EEEEE10hipError_tT1_PNSt15iterator_traitsISN_E10value_typeET2_T3_PNSO_IST_E10value_typeET4_T5_PSY_SZ_PNS1_23onesweep_lookback_stateEbbT6_jjT7_P12ihipStream_tbENKUlT_T0_SN_SS_E_clISG_SG_SI_SI_EEDaS16_S17_SN_SS_EUlS16_E_NS1_11comp_targetILNS1_3genE0ELNS1_11target_archE4294967295ELNS1_3gpuE0ELNS1_3repE0EEENS1_47radix_sort_onesweep_sort_config_static_selectorELNS0_4arch9wavefront6targetE0EEEvSN_.numbered_sgpr, 43
	.set _ZN7rocprim17ROCPRIM_400000_NS6detail17trampoline_kernelINS0_14default_configENS1_35radix_sort_onesweep_config_selectorIjN6thrust23THRUST_200600_302600_NS5tupleIffNS6_9null_typeES8_S8_S8_S8_S8_S8_S8_EEEEZZNS1_29radix_sort_onesweep_iterationIS3_Lb0ENS6_6detail15normal_iteratorINS6_10device_ptrIjEEEESG_NSD_INSE_IS9_EEEESI_jNS0_19identity_decomposerENS1_16block_id_wrapperIjLb1EEEEE10hipError_tT1_PNSt15iterator_traitsISN_E10value_typeET2_T3_PNSO_IST_E10value_typeET4_T5_PSY_SZ_PNS1_23onesweep_lookback_stateEbbT6_jjT7_P12ihipStream_tbENKUlT_T0_SN_SS_E_clISG_SG_SI_SI_EEDaS16_S17_SN_SS_EUlS16_E_NS1_11comp_targetILNS1_3genE0ELNS1_11target_archE4294967295ELNS1_3gpuE0ELNS1_3repE0EEENS1_47radix_sort_onesweep_sort_config_static_selectorELNS0_4arch9wavefront6targetE0EEEvSN_.num_named_barrier, 0
	.set _ZN7rocprim17ROCPRIM_400000_NS6detail17trampoline_kernelINS0_14default_configENS1_35radix_sort_onesweep_config_selectorIjN6thrust23THRUST_200600_302600_NS5tupleIffNS6_9null_typeES8_S8_S8_S8_S8_S8_S8_EEEEZZNS1_29radix_sort_onesweep_iterationIS3_Lb0ENS6_6detail15normal_iteratorINS6_10device_ptrIjEEEESG_NSD_INSE_IS9_EEEESI_jNS0_19identity_decomposerENS1_16block_id_wrapperIjLb1EEEEE10hipError_tT1_PNSt15iterator_traitsISN_E10value_typeET2_T3_PNSO_IST_E10value_typeET4_T5_PSY_SZ_PNS1_23onesweep_lookback_stateEbbT6_jjT7_P12ihipStream_tbENKUlT_T0_SN_SS_E_clISG_SG_SI_SI_EEDaS16_S17_SN_SS_EUlS16_E_NS1_11comp_targetILNS1_3genE0ELNS1_11target_archE4294967295ELNS1_3gpuE0ELNS1_3repE0EEENS1_47radix_sort_onesweep_sort_config_static_selectorELNS0_4arch9wavefront6targetE0EEEvSN_.private_seg_size, 0
	.set _ZN7rocprim17ROCPRIM_400000_NS6detail17trampoline_kernelINS0_14default_configENS1_35radix_sort_onesweep_config_selectorIjN6thrust23THRUST_200600_302600_NS5tupleIffNS6_9null_typeES8_S8_S8_S8_S8_S8_S8_EEEEZZNS1_29radix_sort_onesweep_iterationIS3_Lb0ENS6_6detail15normal_iteratorINS6_10device_ptrIjEEEESG_NSD_INSE_IS9_EEEESI_jNS0_19identity_decomposerENS1_16block_id_wrapperIjLb1EEEEE10hipError_tT1_PNSt15iterator_traitsISN_E10value_typeET2_T3_PNSO_IST_E10value_typeET4_T5_PSY_SZ_PNS1_23onesweep_lookback_stateEbbT6_jjT7_P12ihipStream_tbENKUlT_T0_SN_SS_E_clISG_SG_SI_SI_EEDaS16_S17_SN_SS_EUlS16_E_NS1_11comp_targetILNS1_3genE0ELNS1_11target_archE4294967295ELNS1_3gpuE0ELNS1_3repE0EEENS1_47radix_sort_onesweep_sort_config_static_selectorELNS0_4arch9wavefront6targetE0EEEvSN_.uses_vcc, 1
	.set _ZN7rocprim17ROCPRIM_400000_NS6detail17trampoline_kernelINS0_14default_configENS1_35radix_sort_onesweep_config_selectorIjN6thrust23THRUST_200600_302600_NS5tupleIffNS6_9null_typeES8_S8_S8_S8_S8_S8_S8_EEEEZZNS1_29radix_sort_onesweep_iterationIS3_Lb0ENS6_6detail15normal_iteratorINS6_10device_ptrIjEEEESG_NSD_INSE_IS9_EEEESI_jNS0_19identity_decomposerENS1_16block_id_wrapperIjLb1EEEEE10hipError_tT1_PNSt15iterator_traitsISN_E10value_typeET2_T3_PNSO_IST_E10value_typeET4_T5_PSY_SZ_PNS1_23onesweep_lookback_stateEbbT6_jjT7_P12ihipStream_tbENKUlT_T0_SN_SS_E_clISG_SG_SI_SI_EEDaS16_S17_SN_SS_EUlS16_E_NS1_11comp_targetILNS1_3genE0ELNS1_11target_archE4294967295ELNS1_3gpuE0ELNS1_3repE0EEENS1_47radix_sort_onesweep_sort_config_static_selectorELNS0_4arch9wavefront6targetE0EEEvSN_.uses_flat_scratch, 0
	.set _ZN7rocprim17ROCPRIM_400000_NS6detail17trampoline_kernelINS0_14default_configENS1_35radix_sort_onesweep_config_selectorIjN6thrust23THRUST_200600_302600_NS5tupleIffNS6_9null_typeES8_S8_S8_S8_S8_S8_S8_EEEEZZNS1_29radix_sort_onesweep_iterationIS3_Lb0ENS6_6detail15normal_iteratorINS6_10device_ptrIjEEEESG_NSD_INSE_IS9_EEEESI_jNS0_19identity_decomposerENS1_16block_id_wrapperIjLb1EEEEE10hipError_tT1_PNSt15iterator_traitsISN_E10value_typeET2_T3_PNSO_IST_E10value_typeET4_T5_PSY_SZ_PNS1_23onesweep_lookback_stateEbbT6_jjT7_P12ihipStream_tbENKUlT_T0_SN_SS_E_clISG_SG_SI_SI_EEDaS16_S17_SN_SS_EUlS16_E_NS1_11comp_targetILNS1_3genE0ELNS1_11target_archE4294967295ELNS1_3gpuE0ELNS1_3repE0EEENS1_47radix_sort_onesweep_sort_config_static_selectorELNS0_4arch9wavefront6targetE0EEEvSN_.has_dyn_sized_stack, 0
	.set _ZN7rocprim17ROCPRIM_400000_NS6detail17trampoline_kernelINS0_14default_configENS1_35radix_sort_onesweep_config_selectorIjN6thrust23THRUST_200600_302600_NS5tupleIffNS6_9null_typeES8_S8_S8_S8_S8_S8_S8_EEEEZZNS1_29radix_sort_onesweep_iterationIS3_Lb0ENS6_6detail15normal_iteratorINS6_10device_ptrIjEEEESG_NSD_INSE_IS9_EEEESI_jNS0_19identity_decomposerENS1_16block_id_wrapperIjLb1EEEEE10hipError_tT1_PNSt15iterator_traitsISN_E10value_typeET2_T3_PNSO_IST_E10value_typeET4_T5_PSY_SZ_PNS1_23onesweep_lookback_stateEbbT6_jjT7_P12ihipStream_tbENKUlT_T0_SN_SS_E_clISG_SG_SI_SI_EEDaS16_S17_SN_SS_EUlS16_E_NS1_11comp_targetILNS1_3genE0ELNS1_11target_archE4294967295ELNS1_3gpuE0ELNS1_3repE0EEENS1_47radix_sort_onesweep_sort_config_static_selectorELNS0_4arch9wavefront6targetE0EEEvSN_.has_recursion, 0
	.set _ZN7rocprim17ROCPRIM_400000_NS6detail17trampoline_kernelINS0_14default_configENS1_35radix_sort_onesweep_config_selectorIjN6thrust23THRUST_200600_302600_NS5tupleIffNS6_9null_typeES8_S8_S8_S8_S8_S8_S8_EEEEZZNS1_29radix_sort_onesweep_iterationIS3_Lb0ENS6_6detail15normal_iteratorINS6_10device_ptrIjEEEESG_NSD_INSE_IS9_EEEESI_jNS0_19identity_decomposerENS1_16block_id_wrapperIjLb1EEEEE10hipError_tT1_PNSt15iterator_traitsISN_E10value_typeET2_T3_PNSO_IST_E10value_typeET4_T5_PSY_SZ_PNS1_23onesweep_lookback_stateEbbT6_jjT7_P12ihipStream_tbENKUlT_T0_SN_SS_E_clISG_SG_SI_SI_EEDaS16_S17_SN_SS_EUlS16_E_NS1_11comp_targetILNS1_3genE0ELNS1_11target_archE4294967295ELNS1_3gpuE0ELNS1_3repE0EEENS1_47radix_sort_onesweep_sort_config_static_selectorELNS0_4arch9wavefront6targetE0EEEvSN_.has_indirect_call, 0
	.section	.AMDGPU.csdata,"",@progbits
; Kernel info:
; codeLenInByte = 13360
; TotalNumSgprs: 45
; NumVgprs: 58
; ScratchSize: 0
; MemoryBound: 0
; FloatMode: 240
; IeeeMode: 1
; LDSByteSize: 51280 bytes/workgroup (compile time only)
; SGPRBlocks: 0
; VGPRBlocks: 3
; NumSGPRsForWavesPerEU: 45
; NumVGPRsForWavesPerEU: 58
; NamedBarCnt: 0
; Occupancy: 16
; WaveLimiterHint : 1
; COMPUTE_PGM_RSRC2:SCRATCH_EN: 0
; COMPUTE_PGM_RSRC2:USER_SGPR: 4
; COMPUTE_PGM_RSRC2:TRAP_HANDLER: 0
; COMPUTE_PGM_RSRC2:TGID_X_EN: 1
; COMPUTE_PGM_RSRC2:TGID_Y_EN: 0
; COMPUTE_PGM_RSRC2:TGID_Z_EN: 0
; COMPUTE_PGM_RSRC2:TIDIG_COMP_CNT: 2
	.section	.text._ZN7rocprim17ROCPRIM_400000_NS6detail17trampoline_kernelINS0_14default_configENS1_35radix_sort_onesweep_config_selectorIjN6thrust23THRUST_200600_302600_NS5tupleIffNS6_9null_typeES8_S8_S8_S8_S8_S8_S8_EEEEZZNS1_29radix_sort_onesweep_iterationIS3_Lb0ENS6_6detail15normal_iteratorINS6_10device_ptrIjEEEESG_NSD_INSE_IS9_EEEESI_jNS0_19identity_decomposerENS1_16block_id_wrapperIjLb1EEEEE10hipError_tT1_PNSt15iterator_traitsISN_E10value_typeET2_T3_PNSO_IST_E10value_typeET4_T5_PSY_SZ_PNS1_23onesweep_lookback_stateEbbT6_jjT7_P12ihipStream_tbENKUlT_T0_SN_SS_E_clISG_SG_SI_SI_EEDaS16_S17_SN_SS_EUlS16_E_NS1_11comp_targetILNS1_3genE6ELNS1_11target_archE950ELNS1_3gpuE13ELNS1_3repE0EEENS1_47radix_sort_onesweep_sort_config_static_selectorELNS0_4arch9wavefront6targetE0EEEvSN_,"axG",@progbits,_ZN7rocprim17ROCPRIM_400000_NS6detail17trampoline_kernelINS0_14default_configENS1_35radix_sort_onesweep_config_selectorIjN6thrust23THRUST_200600_302600_NS5tupleIffNS6_9null_typeES8_S8_S8_S8_S8_S8_S8_EEEEZZNS1_29radix_sort_onesweep_iterationIS3_Lb0ENS6_6detail15normal_iteratorINS6_10device_ptrIjEEEESG_NSD_INSE_IS9_EEEESI_jNS0_19identity_decomposerENS1_16block_id_wrapperIjLb1EEEEE10hipError_tT1_PNSt15iterator_traitsISN_E10value_typeET2_T3_PNSO_IST_E10value_typeET4_T5_PSY_SZ_PNS1_23onesweep_lookback_stateEbbT6_jjT7_P12ihipStream_tbENKUlT_T0_SN_SS_E_clISG_SG_SI_SI_EEDaS16_S17_SN_SS_EUlS16_E_NS1_11comp_targetILNS1_3genE6ELNS1_11target_archE950ELNS1_3gpuE13ELNS1_3repE0EEENS1_47radix_sort_onesweep_sort_config_static_selectorELNS0_4arch9wavefront6targetE0EEEvSN_,comdat
	.protected	_ZN7rocprim17ROCPRIM_400000_NS6detail17trampoline_kernelINS0_14default_configENS1_35radix_sort_onesweep_config_selectorIjN6thrust23THRUST_200600_302600_NS5tupleIffNS6_9null_typeES8_S8_S8_S8_S8_S8_S8_EEEEZZNS1_29radix_sort_onesweep_iterationIS3_Lb0ENS6_6detail15normal_iteratorINS6_10device_ptrIjEEEESG_NSD_INSE_IS9_EEEESI_jNS0_19identity_decomposerENS1_16block_id_wrapperIjLb1EEEEE10hipError_tT1_PNSt15iterator_traitsISN_E10value_typeET2_T3_PNSO_IST_E10value_typeET4_T5_PSY_SZ_PNS1_23onesweep_lookback_stateEbbT6_jjT7_P12ihipStream_tbENKUlT_T0_SN_SS_E_clISG_SG_SI_SI_EEDaS16_S17_SN_SS_EUlS16_E_NS1_11comp_targetILNS1_3genE6ELNS1_11target_archE950ELNS1_3gpuE13ELNS1_3repE0EEENS1_47radix_sort_onesweep_sort_config_static_selectorELNS0_4arch9wavefront6targetE0EEEvSN_ ; -- Begin function _ZN7rocprim17ROCPRIM_400000_NS6detail17trampoline_kernelINS0_14default_configENS1_35radix_sort_onesweep_config_selectorIjN6thrust23THRUST_200600_302600_NS5tupleIffNS6_9null_typeES8_S8_S8_S8_S8_S8_S8_EEEEZZNS1_29radix_sort_onesweep_iterationIS3_Lb0ENS6_6detail15normal_iteratorINS6_10device_ptrIjEEEESG_NSD_INSE_IS9_EEEESI_jNS0_19identity_decomposerENS1_16block_id_wrapperIjLb1EEEEE10hipError_tT1_PNSt15iterator_traitsISN_E10value_typeET2_T3_PNSO_IST_E10value_typeET4_T5_PSY_SZ_PNS1_23onesweep_lookback_stateEbbT6_jjT7_P12ihipStream_tbENKUlT_T0_SN_SS_E_clISG_SG_SI_SI_EEDaS16_S17_SN_SS_EUlS16_E_NS1_11comp_targetILNS1_3genE6ELNS1_11target_archE950ELNS1_3gpuE13ELNS1_3repE0EEENS1_47radix_sort_onesweep_sort_config_static_selectorELNS0_4arch9wavefront6targetE0EEEvSN_
	.globl	_ZN7rocprim17ROCPRIM_400000_NS6detail17trampoline_kernelINS0_14default_configENS1_35radix_sort_onesweep_config_selectorIjN6thrust23THRUST_200600_302600_NS5tupleIffNS6_9null_typeES8_S8_S8_S8_S8_S8_S8_EEEEZZNS1_29radix_sort_onesweep_iterationIS3_Lb0ENS6_6detail15normal_iteratorINS6_10device_ptrIjEEEESG_NSD_INSE_IS9_EEEESI_jNS0_19identity_decomposerENS1_16block_id_wrapperIjLb1EEEEE10hipError_tT1_PNSt15iterator_traitsISN_E10value_typeET2_T3_PNSO_IST_E10value_typeET4_T5_PSY_SZ_PNS1_23onesweep_lookback_stateEbbT6_jjT7_P12ihipStream_tbENKUlT_T0_SN_SS_E_clISG_SG_SI_SI_EEDaS16_S17_SN_SS_EUlS16_E_NS1_11comp_targetILNS1_3genE6ELNS1_11target_archE950ELNS1_3gpuE13ELNS1_3repE0EEENS1_47radix_sort_onesweep_sort_config_static_selectorELNS0_4arch9wavefront6targetE0EEEvSN_
	.p2align	8
	.type	_ZN7rocprim17ROCPRIM_400000_NS6detail17trampoline_kernelINS0_14default_configENS1_35radix_sort_onesweep_config_selectorIjN6thrust23THRUST_200600_302600_NS5tupleIffNS6_9null_typeES8_S8_S8_S8_S8_S8_S8_EEEEZZNS1_29radix_sort_onesweep_iterationIS3_Lb0ENS6_6detail15normal_iteratorINS6_10device_ptrIjEEEESG_NSD_INSE_IS9_EEEESI_jNS0_19identity_decomposerENS1_16block_id_wrapperIjLb1EEEEE10hipError_tT1_PNSt15iterator_traitsISN_E10value_typeET2_T3_PNSO_IST_E10value_typeET4_T5_PSY_SZ_PNS1_23onesweep_lookback_stateEbbT6_jjT7_P12ihipStream_tbENKUlT_T0_SN_SS_E_clISG_SG_SI_SI_EEDaS16_S17_SN_SS_EUlS16_E_NS1_11comp_targetILNS1_3genE6ELNS1_11target_archE950ELNS1_3gpuE13ELNS1_3repE0EEENS1_47radix_sort_onesweep_sort_config_static_selectorELNS0_4arch9wavefront6targetE0EEEvSN_,@function
_ZN7rocprim17ROCPRIM_400000_NS6detail17trampoline_kernelINS0_14default_configENS1_35radix_sort_onesweep_config_selectorIjN6thrust23THRUST_200600_302600_NS5tupleIffNS6_9null_typeES8_S8_S8_S8_S8_S8_S8_EEEEZZNS1_29radix_sort_onesweep_iterationIS3_Lb0ENS6_6detail15normal_iteratorINS6_10device_ptrIjEEEESG_NSD_INSE_IS9_EEEESI_jNS0_19identity_decomposerENS1_16block_id_wrapperIjLb1EEEEE10hipError_tT1_PNSt15iterator_traitsISN_E10value_typeET2_T3_PNSO_IST_E10value_typeET4_T5_PSY_SZ_PNS1_23onesweep_lookback_stateEbbT6_jjT7_P12ihipStream_tbENKUlT_T0_SN_SS_E_clISG_SG_SI_SI_EEDaS16_S17_SN_SS_EUlS16_E_NS1_11comp_targetILNS1_3genE6ELNS1_11target_archE950ELNS1_3gpuE13ELNS1_3repE0EEENS1_47radix_sort_onesweep_sort_config_static_selectorELNS0_4arch9wavefront6targetE0EEEvSN_: ; @_ZN7rocprim17ROCPRIM_400000_NS6detail17trampoline_kernelINS0_14default_configENS1_35radix_sort_onesweep_config_selectorIjN6thrust23THRUST_200600_302600_NS5tupleIffNS6_9null_typeES8_S8_S8_S8_S8_S8_S8_EEEEZZNS1_29radix_sort_onesweep_iterationIS3_Lb0ENS6_6detail15normal_iteratorINS6_10device_ptrIjEEEESG_NSD_INSE_IS9_EEEESI_jNS0_19identity_decomposerENS1_16block_id_wrapperIjLb1EEEEE10hipError_tT1_PNSt15iterator_traitsISN_E10value_typeET2_T3_PNSO_IST_E10value_typeET4_T5_PSY_SZ_PNS1_23onesweep_lookback_stateEbbT6_jjT7_P12ihipStream_tbENKUlT_T0_SN_SS_E_clISG_SG_SI_SI_EEDaS16_S17_SN_SS_EUlS16_E_NS1_11comp_targetILNS1_3genE6ELNS1_11target_archE950ELNS1_3gpuE13ELNS1_3repE0EEENS1_47radix_sort_onesweep_sort_config_static_selectorELNS0_4arch9wavefront6targetE0EEEvSN_
; %bb.0:
	.section	.rodata,"a",@progbits
	.p2align	6, 0x0
	.amdhsa_kernel _ZN7rocprim17ROCPRIM_400000_NS6detail17trampoline_kernelINS0_14default_configENS1_35radix_sort_onesweep_config_selectorIjN6thrust23THRUST_200600_302600_NS5tupleIffNS6_9null_typeES8_S8_S8_S8_S8_S8_S8_EEEEZZNS1_29radix_sort_onesweep_iterationIS3_Lb0ENS6_6detail15normal_iteratorINS6_10device_ptrIjEEEESG_NSD_INSE_IS9_EEEESI_jNS0_19identity_decomposerENS1_16block_id_wrapperIjLb1EEEEE10hipError_tT1_PNSt15iterator_traitsISN_E10value_typeET2_T3_PNSO_IST_E10value_typeET4_T5_PSY_SZ_PNS1_23onesweep_lookback_stateEbbT6_jjT7_P12ihipStream_tbENKUlT_T0_SN_SS_E_clISG_SG_SI_SI_EEDaS16_S17_SN_SS_EUlS16_E_NS1_11comp_targetILNS1_3genE6ELNS1_11target_archE950ELNS1_3gpuE13ELNS1_3repE0EEENS1_47radix_sort_onesweep_sort_config_static_selectorELNS0_4arch9wavefront6targetE0EEEvSN_
		.amdhsa_group_segment_fixed_size 0
		.amdhsa_private_segment_fixed_size 0
		.amdhsa_kernarg_size 88
		.amdhsa_user_sgpr_count 2
		.amdhsa_user_sgpr_dispatch_ptr 0
		.amdhsa_user_sgpr_queue_ptr 0
		.amdhsa_user_sgpr_kernarg_segment_ptr 1
		.amdhsa_user_sgpr_dispatch_id 0
		.amdhsa_user_sgpr_kernarg_preload_length 0
		.amdhsa_user_sgpr_kernarg_preload_offset 0
		.amdhsa_user_sgpr_private_segment_size 0
		.amdhsa_wavefront_size32 1
		.amdhsa_uses_dynamic_stack 0
		.amdhsa_enable_private_segment 0
		.amdhsa_system_sgpr_workgroup_id_x 1
		.amdhsa_system_sgpr_workgroup_id_y 0
		.amdhsa_system_sgpr_workgroup_id_z 0
		.amdhsa_system_sgpr_workgroup_info 0
		.amdhsa_system_vgpr_workitem_id 0
		.amdhsa_next_free_vgpr 1
		.amdhsa_next_free_sgpr 1
		.amdhsa_named_barrier_count 0
		.amdhsa_reserve_vcc 0
		.amdhsa_float_round_mode_32 0
		.amdhsa_float_round_mode_16_64 0
		.amdhsa_float_denorm_mode_32 3
		.amdhsa_float_denorm_mode_16_64 3
		.amdhsa_fp16_overflow 0
		.amdhsa_memory_ordered 1
		.amdhsa_forward_progress 1
		.amdhsa_inst_pref_size 0
		.amdhsa_round_robin_scheduling 0
		.amdhsa_exception_fp_ieee_invalid_op 0
		.amdhsa_exception_fp_denorm_src 0
		.amdhsa_exception_fp_ieee_div_zero 0
		.amdhsa_exception_fp_ieee_overflow 0
		.amdhsa_exception_fp_ieee_underflow 0
		.amdhsa_exception_fp_ieee_inexact 0
		.amdhsa_exception_int_div_zero 0
	.end_amdhsa_kernel
	.section	.text._ZN7rocprim17ROCPRIM_400000_NS6detail17trampoline_kernelINS0_14default_configENS1_35radix_sort_onesweep_config_selectorIjN6thrust23THRUST_200600_302600_NS5tupleIffNS6_9null_typeES8_S8_S8_S8_S8_S8_S8_EEEEZZNS1_29radix_sort_onesweep_iterationIS3_Lb0ENS6_6detail15normal_iteratorINS6_10device_ptrIjEEEESG_NSD_INSE_IS9_EEEESI_jNS0_19identity_decomposerENS1_16block_id_wrapperIjLb1EEEEE10hipError_tT1_PNSt15iterator_traitsISN_E10value_typeET2_T3_PNSO_IST_E10value_typeET4_T5_PSY_SZ_PNS1_23onesweep_lookback_stateEbbT6_jjT7_P12ihipStream_tbENKUlT_T0_SN_SS_E_clISG_SG_SI_SI_EEDaS16_S17_SN_SS_EUlS16_E_NS1_11comp_targetILNS1_3genE6ELNS1_11target_archE950ELNS1_3gpuE13ELNS1_3repE0EEENS1_47radix_sort_onesweep_sort_config_static_selectorELNS0_4arch9wavefront6targetE0EEEvSN_,"axG",@progbits,_ZN7rocprim17ROCPRIM_400000_NS6detail17trampoline_kernelINS0_14default_configENS1_35radix_sort_onesweep_config_selectorIjN6thrust23THRUST_200600_302600_NS5tupleIffNS6_9null_typeES8_S8_S8_S8_S8_S8_S8_EEEEZZNS1_29radix_sort_onesweep_iterationIS3_Lb0ENS6_6detail15normal_iteratorINS6_10device_ptrIjEEEESG_NSD_INSE_IS9_EEEESI_jNS0_19identity_decomposerENS1_16block_id_wrapperIjLb1EEEEE10hipError_tT1_PNSt15iterator_traitsISN_E10value_typeET2_T3_PNSO_IST_E10value_typeET4_T5_PSY_SZ_PNS1_23onesweep_lookback_stateEbbT6_jjT7_P12ihipStream_tbENKUlT_T0_SN_SS_E_clISG_SG_SI_SI_EEDaS16_S17_SN_SS_EUlS16_E_NS1_11comp_targetILNS1_3genE6ELNS1_11target_archE950ELNS1_3gpuE13ELNS1_3repE0EEENS1_47radix_sort_onesweep_sort_config_static_selectorELNS0_4arch9wavefront6targetE0EEEvSN_,comdat
.Lfunc_end176:
	.size	_ZN7rocprim17ROCPRIM_400000_NS6detail17trampoline_kernelINS0_14default_configENS1_35radix_sort_onesweep_config_selectorIjN6thrust23THRUST_200600_302600_NS5tupleIffNS6_9null_typeES8_S8_S8_S8_S8_S8_S8_EEEEZZNS1_29radix_sort_onesweep_iterationIS3_Lb0ENS6_6detail15normal_iteratorINS6_10device_ptrIjEEEESG_NSD_INSE_IS9_EEEESI_jNS0_19identity_decomposerENS1_16block_id_wrapperIjLb1EEEEE10hipError_tT1_PNSt15iterator_traitsISN_E10value_typeET2_T3_PNSO_IST_E10value_typeET4_T5_PSY_SZ_PNS1_23onesweep_lookback_stateEbbT6_jjT7_P12ihipStream_tbENKUlT_T0_SN_SS_E_clISG_SG_SI_SI_EEDaS16_S17_SN_SS_EUlS16_E_NS1_11comp_targetILNS1_3genE6ELNS1_11target_archE950ELNS1_3gpuE13ELNS1_3repE0EEENS1_47radix_sort_onesweep_sort_config_static_selectorELNS0_4arch9wavefront6targetE0EEEvSN_, .Lfunc_end176-_ZN7rocprim17ROCPRIM_400000_NS6detail17trampoline_kernelINS0_14default_configENS1_35radix_sort_onesweep_config_selectorIjN6thrust23THRUST_200600_302600_NS5tupleIffNS6_9null_typeES8_S8_S8_S8_S8_S8_S8_EEEEZZNS1_29radix_sort_onesweep_iterationIS3_Lb0ENS6_6detail15normal_iteratorINS6_10device_ptrIjEEEESG_NSD_INSE_IS9_EEEESI_jNS0_19identity_decomposerENS1_16block_id_wrapperIjLb1EEEEE10hipError_tT1_PNSt15iterator_traitsISN_E10value_typeET2_T3_PNSO_IST_E10value_typeET4_T5_PSY_SZ_PNS1_23onesweep_lookback_stateEbbT6_jjT7_P12ihipStream_tbENKUlT_T0_SN_SS_E_clISG_SG_SI_SI_EEDaS16_S17_SN_SS_EUlS16_E_NS1_11comp_targetILNS1_3genE6ELNS1_11target_archE950ELNS1_3gpuE13ELNS1_3repE0EEENS1_47radix_sort_onesweep_sort_config_static_selectorELNS0_4arch9wavefront6targetE0EEEvSN_
                                        ; -- End function
	.set _ZN7rocprim17ROCPRIM_400000_NS6detail17trampoline_kernelINS0_14default_configENS1_35radix_sort_onesweep_config_selectorIjN6thrust23THRUST_200600_302600_NS5tupleIffNS6_9null_typeES8_S8_S8_S8_S8_S8_S8_EEEEZZNS1_29radix_sort_onesweep_iterationIS3_Lb0ENS6_6detail15normal_iteratorINS6_10device_ptrIjEEEESG_NSD_INSE_IS9_EEEESI_jNS0_19identity_decomposerENS1_16block_id_wrapperIjLb1EEEEE10hipError_tT1_PNSt15iterator_traitsISN_E10value_typeET2_T3_PNSO_IST_E10value_typeET4_T5_PSY_SZ_PNS1_23onesweep_lookback_stateEbbT6_jjT7_P12ihipStream_tbENKUlT_T0_SN_SS_E_clISG_SG_SI_SI_EEDaS16_S17_SN_SS_EUlS16_E_NS1_11comp_targetILNS1_3genE6ELNS1_11target_archE950ELNS1_3gpuE13ELNS1_3repE0EEENS1_47radix_sort_onesweep_sort_config_static_selectorELNS0_4arch9wavefront6targetE0EEEvSN_.num_vgpr, 0
	.set _ZN7rocprim17ROCPRIM_400000_NS6detail17trampoline_kernelINS0_14default_configENS1_35radix_sort_onesweep_config_selectorIjN6thrust23THRUST_200600_302600_NS5tupleIffNS6_9null_typeES8_S8_S8_S8_S8_S8_S8_EEEEZZNS1_29radix_sort_onesweep_iterationIS3_Lb0ENS6_6detail15normal_iteratorINS6_10device_ptrIjEEEESG_NSD_INSE_IS9_EEEESI_jNS0_19identity_decomposerENS1_16block_id_wrapperIjLb1EEEEE10hipError_tT1_PNSt15iterator_traitsISN_E10value_typeET2_T3_PNSO_IST_E10value_typeET4_T5_PSY_SZ_PNS1_23onesweep_lookback_stateEbbT6_jjT7_P12ihipStream_tbENKUlT_T0_SN_SS_E_clISG_SG_SI_SI_EEDaS16_S17_SN_SS_EUlS16_E_NS1_11comp_targetILNS1_3genE6ELNS1_11target_archE950ELNS1_3gpuE13ELNS1_3repE0EEENS1_47radix_sort_onesweep_sort_config_static_selectorELNS0_4arch9wavefront6targetE0EEEvSN_.num_agpr, 0
	.set _ZN7rocprim17ROCPRIM_400000_NS6detail17trampoline_kernelINS0_14default_configENS1_35radix_sort_onesweep_config_selectorIjN6thrust23THRUST_200600_302600_NS5tupleIffNS6_9null_typeES8_S8_S8_S8_S8_S8_S8_EEEEZZNS1_29radix_sort_onesweep_iterationIS3_Lb0ENS6_6detail15normal_iteratorINS6_10device_ptrIjEEEESG_NSD_INSE_IS9_EEEESI_jNS0_19identity_decomposerENS1_16block_id_wrapperIjLb1EEEEE10hipError_tT1_PNSt15iterator_traitsISN_E10value_typeET2_T3_PNSO_IST_E10value_typeET4_T5_PSY_SZ_PNS1_23onesweep_lookback_stateEbbT6_jjT7_P12ihipStream_tbENKUlT_T0_SN_SS_E_clISG_SG_SI_SI_EEDaS16_S17_SN_SS_EUlS16_E_NS1_11comp_targetILNS1_3genE6ELNS1_11target_archE950ELNS1_3gpuE13ELNS1_3repE0EEENS1_47radix_sort_onesweep_sort_config_static_selectorELNS0_4arch9wavefront6targetE0EEEvSN_.numbered_sgpr, 0
	.set _ZN7rocprim17ROCPRIM_400000_NS6detail17trampoline_kernelINS0_14default_configENS1_35radix_sort_onesweep_config_selectorIjN6thrust23THRUST_200600_302600_NS5tupleIffNS6_9null_typeES8_S8_S8_S8_S8_S8_S8_EEEEZZNS1_29radix_sort_onesweep_iterationIS3_Lb0ENS6_6detail15normal_iteratorINS6_10device_ptrIjEEEESG_NSD_INSE_IS9_EEEESI_jNS0_19identity_decomposerENS1_16block_id_wrapperIjLb1EEEEE10hipError_tT1_PNSt15iterator_traitsISN_E10value_typeET2_T3_PNSO_IST_E10value_typeET4_T5_PSY_SZ_PNS1_23onesweep_lookback_stateEbbT6_jjT7_P12ihipStream_tbENKUlT_T0_SN_SS_E_clISG_SG_SI_SI_EEDaS16_S17_SN_SS_EUlS16_E_NS1_11comp_targetILNS1_3genE6ELNS1_11target_archE950ELNS1_3gpuE13ELNS1_3repE0EEENS1_47radix_sort_onesweep_sort_config_static_selectorELNS0_4arch9wavefront6targetE0EEEvSN_.num_named_barrier, 0
	.set _ZN7rocprim17ROCPRIM_400000_NS6detail17trampoline_kernelINS0_14default_configENS1_35radix_sort_onesweep_config_selectorIjN6thrust23THRUST_200600_302600_NS5tupleIffNS6_9null_typeES8_S8_S8_S8_S8_S8_S8_EEEEZZNS1_29radix_sort_onesweep_iterationIS3_Lb0ENS6_6detail15normal_iteratorINS6_10device_ptrIjEEEESG_NSD_INSE_IS9_EEEESI_jNS0_19identity_decomposerENS1_16block_id_wrapperIjLb1EEEEE10hipError_tT1_PNSt15iterator_traitsISN_E10value_typeET2_T3_PNSO_IST_E10value_typeET4_T5_PSY_SZ_PNS1_23onesweep_lookback_stateEbbT6_jjT7_P12ihipStream_tbENKUlT_T0_SN_SS_E_clISG_SG_SI_SI_EEDaS16_S17_SN_SS_EUlS16_E_NS1_11comp_targetILNS1_3genE6ELNS1_11target_archE950ELNS1_3gpuE13ELNS1_3repE0EEENS1_47radix_sort_onesweep_sort_config_static_selectorELNS0_4arch9wavefront6targetE0EEEvSN_.private_seg_size, 0
	.set _ZN7rocprim17ROCPRIM_400000_NS6detail17trampoline_kernelINS0_14default_configENS1_35radix_sort_onesweep_config_selectorIjN6thrust23THRUST_200600_302600_NS5tupleIffNS6_9null_typeES8_S8_S8_S8_S8_S8_S8_EEEEZZNS1_29radix_sort_onesweep_iterationIS3_Lb0ENS6_6detail15normal_iteratorINS6_10device_ptrIjEEEESG_NSD_INSE_IS9_EEEESI_jNS0_19identity_decomposerENS1_16block_id_wrapperIjLb1EEEEE10hipError_tT1_PNSt15iterator_traitsISN_E10value_typeET2_T3_PNSO_IST_E10value_typeET4_T5_PSY_SZ_PNS1_23onesweep_lookback_stateEbbT6_jjT7_P12ihipStream_tbENKUlT_T0_SN_SS_E_clISG_SG_SI_SI_EEDaS16_S17_SN_SS_EUlS16_E_NS1_11comp_targetILNS1_3genE6ELNS1_11target_archE950ELNS1_3gpuE13ELNS1_3repE0EEENS1_47radix_sort_onesweep_sort_config_static_selectorELNS0_4arch9wavefront6targetE0EEEvSN_.uses_vcc, 0
	.set _ZN7rocprim17ROCPRIM_400000_NS6detail17trampoline_kernelINS0_14default_configENS1_35radix_sort_onesweep_config_selectorIjN6thrust23THRUST_200600_302600_NS5tupleIffNS6_9null_typeES8_S8_S8_S8_S8_S8_S8_EEEEZZNS1_29radix_sort_onesweep_iterationIS3_Lb0ENS6_6detail15normal_iteratorINS6_10device_ptrIjEEEESG_NSD_INSE_IS9_EEEESI_jNS0_19identity_decomposerENS1_16block_id_wrapperIjLb1EEEEE10hipError_tT1_PNSt15iterator_traitsISN_E10value_typeET2_T3_PNSO_IST_E10value_typeET4_T5_PSY_SZ_PNS1_23onesweep_lookback_stateEbbT6_jjT7_P12ihipStream_tbENKUlT_T0_SN_SS_E_clISG_SG_SI_SI_EEDaS16_S17_SN_SS_EUlS16_E_NS1_11comp_targetILNS1_3genE6ELNS1_11target_archE950ELNS1_3gpuE13ELNS1_3repE0EEENS1_47radix_sort_onesweep_sort_config_static_selectorELNS0_4arch9wavefront6targetE0EEEvSN_.uses_flat_scratch, 0
	.set _ZN7rocprim17ROCPRIM_400000_NS6detail17trampoline_kernelINS0_14default_configENS1_35radix_sort_onesweep_config_selectorIjN6thrust23THRUST_200600_302600_NS5tupleIffNS6_9null_typeES8_S8_S8_S8_S8_S8_S8_EEEEZZNS1_29radix_sort_onesweep_iterationIS3_Lb0ENS6_6detail15normal_iteratorINS6_10device_ptrIjEEEESG_NSD_INSE_IS9_EEEESI_jNS0_19identity_decomposerENS1_16block_id_wrapperIjLb1EEEEE10hipError_tT1_PNSt15iterator_traitsISN_E10value_typeET2_T3_PNSO_IST_E10value_typeET4_T5_PSY_SZ_PNS1_23onesweep_lookback_stateEbbT6_jjT7_P12ihipStream_tbENKUlT_T0_SN_SS_E_clISG_SG_SI_SI_EEDaS16_S17_SN_SS_EUlS16_E_NS1_11comp_targetILNS1_3genE6ELNS1_11target_archE950ELNS1_3gpuE13ELNS1_3repE0EEENS1_47radix_sort_onesweep_sort_config_static_selectorELNS0_4arch9wavefront6targetE0EEEvSN_.has_dyn_sized_stack, 0
	.set _ZN7rocprim17ROCPRIM_400000_NS6detail17trampoline_kernelINS0_14default_configENS1_35radix_sort_onesweep_config_selectorIjN6thrust23THRUST_200600_302600_NS5tupleIffNS6_9null_typeES8_S8_S8_S8_S8_S8_S8_EEEEZZNS1_29radix_sort_onesweep_iterationIS3_Lb0ENS6_6detail15normal_iteratorINS6_10device_ptrIjEEEESG_NSD_INSE_IS9_EEEESI_jNS0_19identity_decomposerENS1_16block_id_wrapperIjLb1EEEEE10hipError_tT1_PNSt15iterator_traitsISN_E10value_typeET2_T3_PNSO_IST_E10value_typeET4_T5_PSY_SZ_PNS1_23onesweep_lookback_stateEbbT6_jjT7_P12ihipStream_tbENKUlT_T0_SN_SS_E_clISG_SG_SI_SI_EEDaS16_S17_SN_SS_EUlS16_E_NS1_11comp_targetILNS1_3genE6ELNS1_11target_archE950ELNS1_3gpuE13ELNS1_3repE0EEENS1_47radix_sort_onesweep_sort_config_static_selectorELNS0_4arch9wavefront6targetE0EEEvSN_.has_recursion, 0
	.set _ZN7rocprim17ROCPRIM_400000_NS6detail17trampoline_kernelINS0_14default_configENS1_35radix_sort_onesweep_config_selectorIjN6thrust23THRUST_200600_302600_NS5tupleIffNS6_9null_typeES8_S8_S8_S8_S8_S8_S8_EEEEZZNS1_29radix_sort_onesweep_iterationIS3_Lb0ENS6_6detail15normal_iteratorINS6_10device_ptrIjEEEESG_NSD_INSE_IS9_EEEESI_jNS0_19identity_decomposerENS1_16block_id_wrapperIjLb1EEEEE10hipError_tT1_PNSt15iterator_traitsISN_E10value_typeET2_T3_PNSO_IST_E10value_typeET4_T5_PSY_SZ_PNS1_23onesweep_lookback_stateEbbT6_jjT7_P12ihipStream_tbENKUlT_T0_SN_SS_E_clISG_SG_SI_SI_EEDaS16_S17_SN_SS_EUlS16_E_NS1_11comp_targetILNS1_3genE6ELNS1_11target_archE950ELNS1_3gpuE13ELNS1_3repE0EEENS1_47radix_sort_onesweep_sort_config_static_selectorELNS0_4arch9wavefront6targetE0EEEvSN_.has_indirect_call, 0
	.section	.AMDGPU.csdata,"",@progbits
; Kernel info:
; codeLenInByte = 0
; TotalNumSgprs: 0
; NumVgprs: 0
; ScratchSize: 0
; MemoryBound: 0
; FloatMode: 240
; IeeeMode: 1
; LDSByteSize: 0 bytes/workgroup (compile time only)
; SGPRBlocks: 0
; VGPRBlocks: 0
; NumSGPRsForWavesPerEU: 1
; NumVGPRsForWavesPerEU: 1
; NamedBarCnt: 0
; Occupancy: 16
; WaveLimiterHint : 0
; COMPUTE_PGM_RSRC2:SCRATCH_EN: 0
; COMPUTE_PGM_RSRC2:USER_SGPR: 2
; COMPUTE_PGM_RSRC2:TRAP_HANDLER: 0
; COMPUTE_PGM_RSRC2:TGID_X_EN: 1
; COMPUTE_PGM_RSRC2:TGID_Y_EN: 0
; COMPUTE_PGM_RSRC2:TGID_Z_EN: 0
; COMPUTE_PGM_RSRC2:TIDIG_COMP_CNT: 0
	.section	.text._ZN7rocprim17ROCPRIM_400000_NS6detail17trampoline_kernelINS0_14default_configENS1_35radix_sort_onesweep_config_selectorIjN6thrust23THRUST_200600_302600_NS5tupleIffNS6_9null_typeES8_S8_S8_S8_S8_S8_S8_EEEEZZNS1_29radix_sort_onesweep_iterationIS3_Lb0ENS6_6detail15normal_iteratorINS6_10device_ptrIjEEEESG_NSD_INSE_IS9_EEEESI_jNS0_19identity_decomposerENS1_16block_id_wrapperIjLb1EEEEE10hipError_tT1_PNSt15iterator_traitsISN_E10value_typeET2_T3_PNSO_IST_E10value_typeET4_T5_PSY_SZ_PNS1_23onesweep_lookback_stateEbbT6_jjT7_P12ihipStream_tbENKUlT_T0_SN_SS_E_clISG_SG_SI_SI_EEDaS16_S17_SN_SS_EUlS16_E_NS1_11comp_targetILNS1_3genE5ELNS1_11target_archE942ELNS1_3gpuE9ELNS1_3repE0EEENS1_47radix_sort_onesweep_sort_config_static_selectorELNS0_4arch9wavefront6targetE0EEEvSN_,"axG",@progbits,_ZN7rocprim17ROCPRIM_400000_NS6detail17trampoline_kernelINS0_14default_configENS1_35radix_sort_onesweep_config_selectorIjN6thrust23THRUST_200600_302600_NS5tupleIffNS6_9null_typeES8_S8_S8_S8_S8_S8_S8_EEEEZZNS1_29radix_sort_onesweep_iterationIS3_Lb0ENS6_6detail15normal_iteratorINS6_10device_ptrIjEEEESG_NSD_INSE_IS9_EEEESI_jNS0_19identity_decomposerENS1_16block_id_wrapperIjLb1EEEEE10hipError_tT1_PNSt15iterator_traitsISN_E10value_typeET2_T3_PNSO_IST_E10value_typeET4_T5_PSY_SZ_PNS1_23onesweep_lookback_stateEbbT6_jjT7_P12ihipStream_tbENKUlT_T0_SN_SS_E_clISG_SG_SI_SI_EEDaS16_S17_SN_SS_EUlS16_E_NS1_11comp_targetILNS1_3genE5ELNS1_11target_archE942ELNS1_3gpuE9ELNS1_3repE0EEENS1_47radix_sort_onesweep_sort_config_static_selectorELNS0_4arch9wavefront6targetE0EEEvSN_,comdat
	.protected	_ZN7rocprim17ROCPRIM_400000_NS6detail17trampoline_kernelINS0_14default_configENS1_35radix_sort_onesweep_config_selectorIjN6thrust23THRUST_200600_302600_NS5tupleIffNS6_9null_typeES8_S8_S8_S8_S8_S8_S8_EEEEZZNS1_29radix_sort_onesweep_iterationIS3_Lb0ENS6_6detail15normal_iteratorINS6_10device_ptrIjEEEESG_NSD_INSE_IS9_EEEESI_jNS0_19identity_decomposerENS1_16block_id_wrapperIjLb1EEEEE10hipError_tT1_PNSt15iterator_traitsISN_E10value_typeET2_T3_PNSO_IST_E10value_typeET4_T5_PSY_SZ_PNS1_23onesweep_lookback_stateEbbT6_jjT7_P12ihipStream_tbENKUlT_T0_SN_SS_E_clISG_SG_SI_SI_EEDaS16_S17_SN_SS_EUlS16_E_NS1_11comp_targetILNS1_3genE5ELNS1_11target_archE942ELNS1_3gpuE9ELNS1_3repE0EEENS1_47radix_sort_onesweep_sort_config_static_selectorELNS0_4arch9wavefront6targetE0EEEvSN_ ; -- Begin function _ZN7rocprim17ROCPRIM_400000_NS6detail17trampoline_kernelINS0_14default_configENS1_35radix_sort_onesweep_config_selectorIjN6thrust23THRUST_200600_302600_NS5tupleIffNS6_9null_typeES8_S8_S8_S8_S8_S8_S8_EEEEZZNS1_29radix_sort_onesweep_iterationIS3_Lb0ENS6_6detail15normal_iteratorINS6_10device_ptrIjEEEESG_NSD_INSE_IS9_EEEESI_jNS0_19identity_decomposerENS1_16block_id_wrapperIjLb1EEEEE10hipError_tT1_PNSt15iterator_traitsISN_E10value_typeET2_T3_PNSO_IST_E10value_typeET4_T5_PSY_SZ_PNS1_23onesweep_lookback_stateEbbT6_jjT7_P12ihipStream_tbENKUlT_T0_SN_SS_E_clISG_SG_SI_SI_EEDaS16_S17_SN_SS_EUlS16_E_NS1_11comp_targetILNS1_3genE5ELNS1_11target_archE942ELNS1_3gpuE9ELNS1_3repE0EEENS1_47radix_sort_onesweep_sort_config_static_selectorELNS0_4arch9wavefront6targetE0EEEvSN_
	.globl	_ZN7rocprim17ROCPRIM_400000_NS6detail17trampoline_kernelINS0_14default_configENS1_35radix_sort_onesweep_config_selectorIjN6thrust23THRUST_200600_302600_NS5tupleIffNS6_9null_typeES8_S8_S8_S8_S8_S8_S8_EEEEZZNS1_29radix_sort_onesweep_iterationIS3_Lb0ENS6_6detail15normal_iteratorINS6_10device_ptrIjEEEESG_NSD_INSE_IS9_EEEESI_jNS0_19identity_decomposerENS1_16block_id_wrapperIjLb1EEEEE10hipError_tT1_PNSt15iterator_traitsISN_E10value_typeET2_T3_PNSO_IST_E10value_typeET4_T5_PSY_SZ_PNS1_23onesweep_lookback_stateEbbT6_jjT7_P12ihipStream_tbENKUlT_T0_SN_SS_E_clISG_SG_SI_SI_EEDaS16_S17_SN_SS_EUlS16_E_NS1_11comp_targetILNS1_3genE5ELNS1_11target_archE942ELNS1_3gpuE9ELNS1_3repE0EEENS1_47radix_sort_onesweep_sort_config_static_selectorELNS0_4arch9wavefront6targetE0EEEvSN_
	.p2align	8
	.type	_ZN7rocprim17ROCPRIM_400000_NS6detail17trampoline_kernelINS0_14default_configENS1_35radix_sort_onesweep_config_selectorIjN6thrust23THRUST_200600_302600_NS5tupleIffNS6_9null_typeES8_S8_S8_S8_S8_S8_S8_EEEEZZNS1_29radix_sort_onesweep_iterationIS3_Lb0ENS6_6detail15normal_iteratorINS6_10device_ptrIjEEEESG_NSD_INSE_IS9_EEEESI_jNS0_19identity_decomposerENS1_16block_id_wrapperIjLb1EEEEE10hipError_tT1_PNSt15iterator_traitsISN_E10value_typeET2_T3_PNSO_IST_E10value_typeET4_T5_PSY_SZ_PNS1_23onesweep_lookback_stateEbbT6_jjT7_P12ihipStream_tbENKUlT_T0_SN_SS_E_clISG_SG_SI_SI_EEDaS16_S17_SN_SS_EUlS16_E_NS1_11comp_targetILNS1_3genE5ELNS1_11target_archE942ELNS1_3gpuE9ELNS1_3repE0EEENS1_47radix_sort_onesweep_sort_config_static_selectorELNS0_4arch9wavefront6targetE0EEEvSN_,@function
_ZN7rocprim17ROCPRIM_400000_NS6detail17trampoline_kernelINS0_14default_configENS1_35radix_sort_onesweep_config_selectorIjN6thrust23THRUST_200600_302600_NS5tupleIffNS6_9null_typeES8_S8_S8_S8_S8_S8_S8_EEEEZZNS1_29radix_sort_onesweep_iterationIS3_Lb0ENS6_6detail15normal_iteratorINS6_10device_ptrIjEEEESG_NSD_INSE_IS9_EEEESI_jNS0_19identity_decomposerENS1_16block_id_wrapperIjLb1EEEEE10hipError_tT1_PNSt15iterator_traitsISN_E10value_typeET2_T3_PNSO_IST_E10value_typeET4_T5_PSY_SZ_PNS1_23onesweep_lookback_stateEbbT6_jjT7_P12ihipStream_tbENKUlT_T0_SN_SS_E_clISG_SG_SI_SI_EEDaS16_S17_SN_SS_EUlS16_E_NS1_11comp_targetILNS1_3genE5ELNS1_11target_archE942ELNS1_3gpuE9ELNS1_3repE0EEENS1_47radix_sort_onesweep_sort_config_static_selectorELNS0_4arch9wavefront6targetE0EEEvSN_: ; @_ZN7rocprim17ROCPRIM_400000_NS6detail17trampoline_kernelINS0_14default_configENS1_35radix_sort_onesweep_config_selectorIjN6thrust23THRUST_200600_302600_NS5tupleIffNS6_9null_typeES8_S8_S8_S8_S8_S8_S8_EEEEZZNS1_29radix_sort_onesweep_iterationIS3_Lb0ENS6_6detail15normal_iteratorINS6_10device_ptrIjEEEESG_NSD_INSE_IS9_EEEESI_jNS0_19identity_decomposerENS1_16block_id_wrapperIjLb1EEEEE10hipError_tT1_PNSt15iterator_traitsISN_E10value_typeET2_T3_PNSO_IST_E10value_typeET4_T5_PSY_SZ_PNS1_23onesweep_lookback_stateEbbT6_jjT7_P12ihipStream_tbENKUlT_T0_SN_SS_E_clISG_SG_SI_SI_EEDaS16_S17_SN_SS_EUlS16_E_NS1_11comp_targetILNS1_3genE5ELNS1_11target_archE942ELNS1_3gpuE9ELNS1_3repE0EEENS1_47radix_sort_onesweep_sort_config_static_selectorELNS0_4arch9wavefront6targetE0EEEvSN_
; %bb.0:
	.section	.rodata,"a",@progbits
	.p2align	6, 0x0
	.amdhsa_kernel _ZN7rocprim17ROCPRIM_400000_NS6detail17trampoline_kernelINS0_14default_configENS1_35radix_sort_onesweep_config_selectorIjN6thrust23THRUST_200600_302600_NS5tupleIffNS6_9null_typeES8_S8_S8_S8_S8_S8_S8_EEEEZZNS1_29radix_sort_onesweep_iterationIS3_Lb0ENS6_6detail15normal_iteratorINS6_10device_ptrIjEEEESG_NSD_INSE_IS9_EEEESI_jNS0_19identity_decomposerENS1_16block_id_wrapperIjLb1EEEEE10hipError_tT1_PNSt15iterator_traitsISN_E10value_typeET2_T3_PNSO_IST_E10value_typeET4_T5_PSY_SZ_PNS1_23onesweep_lookback_stateEbbT6_jjT7_P12ihipStream_tbENKUlT_T0_SN_SS_E_clISG_SG_SI_SI_EEDaS16_S17_SN_SS_EUlS16_E_NS1_11comp_targetILNS1_3genE5ELNS1_11target_archE942ELNS1_3gpuE9ELNS1_3repE0EEENS1_47radix_sort_onesweep_sort_config_static_selectorELNS0_4arch9wavefront6targetE0EEEvSN_
		.amdhsa_group_segment_fixed_size 0
		.amdhsa_private_segment_fixed_size 0
		.amdhsa_kernarg_size 88
		.amdhsa_user_sgpr_count 2
		.amdhsa_user_sgpr_dispatch_ptr 0
		.amdhsa_user_sgpr_queue_ptr 0
		.amdhsa_user_sgpr_kernarg_segment_ptr 1
		.amdhsa_user_sgpr_dispatch_id 0
		.amdhsa_user_sgpr_kernarg_preload_length 0
		.amdhsa_user_sgpr_kernarg_preload_offset 0
		.amdhsa_user_sgpr_private_segment_size 0
		.amdhsa_wavefront_size32 1
		.amdhsa_uses_dynamic_stack 0
		.amdhsa_enable_private_segment 0
		.amdhsa_system_sgpr_workgroup_id_x 1
		.amdhsa_system_sgpr_workgroup_id_y 0
		.amdhsa_system_sgpr_workgroup_id_z 0
		.amdhsa_system_sgpr_workgroup_info 0
		.amdhsa_system_vgpr_workitem_id 0
		.amdhsa_next_free_vgpr 1
		.amdhsa_next_free_sgpr 1
		.amdhsa_named_barrier_count 0
		.amdhsa_reserve_vcc 0
		.amdhsa_float_round_mode_32 0
		.amdhsa_float_round_mode_16_64 0
		.amdhsa_float_denorm_mode_32 3
		.amdhsa_float_denorm_mode_16_64 3
		.amdhsa_fp16_overflow 0
		.amdhsa_memory_ordered 1
		.amdhsa_forward_progress 1
		.amdhsa_inst_pref_size 0
		.amdhsa_round_robin_scheduling 0
		.amdhsa_exception_fp_ieee_invalid_op 0
		.amdhsa_exception_fp_denorm_src 0
		.amdhsa_exception_fp_ieee_div_zero 0
		.amdhsa_exception_fp_ieee_overflow 0
		.amdhsa_exception_fp_ieee_underflow 0
		.amdhsa_exception_fp_ieee_inexact 0
		.amdhsa_exception_int_div_zero 0
	.end_amdhsa_kernel
	.section	.text._ZN7rocprim17ROCPRIM_400000_NS6detail17trampoline_kernelINS0_14default_configENS1_35radix_sort_onesweep_config_selectorIjN6thrust23THRUST_200600_302600_NS5tupleIffNS6_9null_typeES8_S8_S8_S8_S8_S8_S8_EEEEZZNS1_29radix_sort_onesweep_iterationIS3_Lb0ENS6_6detail15normal_iteratorINS6_10device_ptrIjEEEESG_NSD_INSE_IS9_EEEESI_jNS0_19identity_decomposerENS1_16block_id_wrapperIjLb1EEEEE10hipError_tT1_PNSt15iterator_traitsISN_E10value_typeET2_T3_PNSO_IST_E10value_typeET4_T5_PSY_SZ_PNS1_23onesweep_lookback_stateEbbT6_jjT7_P12ihipStream_tbENKUlT_T0_SN_SS_E_clISG_SG_SI_SI_EEDaS16_S17_SN_SS_EUlS16_E_NS1_11comp_targetILNS1_3genE5ELNS1_11target_archE942ELNS1_3gpuE9ELNS1_3repE0EEENS1_47radix_sort_onesweep_sort_config_static_selectorELNS0_4arch9wavefront6targetE0EEEvSN_,"axG",@progbits,_ZN7rocprim17ROCPRIM_400000_NS6detail17trampoline_kernelINS0_14default_configENS1_35radix_sort_onesweep_config_selectorIjN6thrust23THRUST_200600_302600_NS5tupleIffNS6_9null_typeES8_S8_S8_S8_S8_S8_S8_EEEEZZNS1_29radix_sort_onesweep_iterationIS3_Lb0ENS6_6detail15normal_iteratorINS6_10device_ptrIjEEEESG_NSD_INSE_IS9_EEEESI_jNS0_19identity_decomposerENS1_16block_id_wrapperIjLb1EEEEE10hipError_tT1_PNSt15iterator_traitsISN_E10value_typeET2_T3_PNSO_IST_E10value_typeET4_T5_PSY_SZ_PNS1_23onesweep_lookback_stateEbbT6_jjT7_P12ihipStream_tbENKUlT_T0_SN_SS_E_clISG_SG_SI_SI_EEDaS16_S17_SN_SS_EUlS16_E_NS1_11comp_targetILNS1_3genE5ELNS1_11target_archE942ELNS1_3gpuE9ELNS1_3repE0EEENS1_47radix_sort_onesweep_sort_config_static_selectorELNS0_4arch9wavefront6targetE0EEEvSN_,comdat
.Lfunc_end177:
	.size	_ZN7rocprim17ROCPRIM_400000_NS6detail17trampoline_kernelINS0_14default_configENS1_35radix_sort_onesweep_config_selectorIjN6thrust23THRUST_200600_302600_NS5tupleIffNS6_9null_typeES8_S8_S8_S8_S8_S8_S8_EEEEZZNS1_29radix_sort_onesweep_iterationIS3_Lb0ENS6_6detail15normal_iteratorINS6_10device_ptrIjEEEESG_NSD_INSE_IS9_EEEESI_jNS0_19identity_decomposerENS1_16block_id_wrapperIjLb1EEEEE10hipError_tT1_PNSt15iterator_traitsISN_E10value_typeET2_T3_PNSO_IST_E10value_typeET4_T5_PSY_SZ_PNS1_23onesweep_lookback_stateEbbT6_jjT7_P12ihipStream_tbENKUlT_T0_SN_SS_E_clISG_SG_SI_SI_EEDaS16_S17_SN_SS_EUlS16_E_NS1_11comp_targetILNS1_3genE5ELNS1_11target_archE942ELNS1_3gpuE9ELNS1_3repE0EEENS1_47radix_sort_onesweep_sort_config_static_selectorELNS0_4arch9wavefront6targetE0EEEvSN_, .Lfunc_end177-_ZN7rocprim17ROCPRIM_400000_NS6detail17trampoline_kernelINS0_14default_configENS1_35radix_sort_onesweep_config_selectorIjN6thrust23THRUST_200600_302600_NS5tupleIffNS6_9null_typeES8_S8_S8_S8_S8_S8_S8_EEEEZZNS1_29radix_sort_onesweep_iterationIS3_Lb0ENS6_6detail15normal_iteratorINS6_10device_ptrIjEEEESG_NSD_INSE_IS9_EEEESI_jNS0_19identity_decomposerENS1_16block_id_wrapperIjLb1EEEEE10hipError_tT1_PNSt15iterator_traitsISN_E10value_typeET2_T3_PNSO_IST_E10value_typeET4_T5_PSY_SZ_PNS1_23onesweep_lookback_stateEbbT6_jjT7_P12ihipStream_tbENKUlT_T0_SN_SS_E_clISG_SG_SI_SI_EEDaS16_S17_SN_SS_EUlS16_E_NS1_11comp_targetILNS1_3genE5ELNS1_11target_archE942ELNS1_3gpuE9ELNS1_3repE0EEENS1_47radix_sort_onesweep_sort_config_static_selectorELNS0_4arch9wavefront6targetE0EEEvSN_
                                        ; -- End function
	.set _ZN7rocprim17ROCPRIM_400000_NS6detail17trampoline_kernelINS0_14default_configENS1_35radix_sort_onesweep_config_selectorIjN6thrust23THRUST_200600_302600_NS5tupleIffNS6_9null_typeES8_S8_S8_S8_S8_S8_S8_EEEEZZNS1_29radix_sort_onesweep_iterationIS3_Lb0ENS6_6detail15normal_iteratorINS6_10device_ptrIjEEEESG_NSD_INSE_IS9_EEEESI_jNS0_19identity_decomposerENS1_16block_id_wrapperIjLb1EEEEE10hipError_tT1_PNSt15iterator_traitsISN_E10value_typeET2_T3_PNSO_IST_E10value_typeET4_T5_PSY_SZ_PNS1_23onesweep_lookback_stateEbbT6_jjT7_P12ihipStream_tbENKUlT_T0_SN_SS_E_clISG_SG_SI_SI_EEDaS16_S17_SN_SS_EUlS16_E_NS1_11comp_targetILNS1_3genE5ELNS1_11target_archE942ELNS1_3gpuE9ELNS1_3repE0EEENS1_47radix_sort_onesweep_sort_config_static_selectorELNS0_4arch9wavefront6targetE0EEEvSN_.num_vgpr, 0
	.set _ZN7rocprim17ROCPRIM_400000_NS6detail17trampoline_kernelINS0_14default_configENS1_35radix_sort_onesweep_config_selectorIjN6thrust23THRUST_200600_302600_NS5tupleIffNS6_9null_typeES8_S8_S8_S8_S8_S8_S8_EEEEZZNS1_29radix_sort_onesweep_iterationIS3_Lb0ENS6_6detail15normal_iteratorINS6_10device_ptrIjEEEESG_NSD_INSE_IS9_EEEESI_jNS0_19identity_decomposerENS1_16block_id_wrapperIjLb1EEEEE10hipError_tT1_PNSt15iterator_traitsISN_E10value_typeET2_T3_PNSO_IST_E10value_typeET4_T5_PSY_SZ_PNS1_23onesweep_lookback_stateEbbT6_jjT7_P12ihipStream_tbENKUlT_T0_SN_SS_E_clISG_SG_SI_SI_EEDaS16_S17_SN_SS_EUlS16_E_NS1_11comp_targetILNS1_3genE5ELNS1_11target_archE942ELNS1_3gpuE9ELNS1_3repE0EEENS1_47radix_sort_onesweep_sort_config_static_selectorELNS0_4arch9wavefront6targetE0EEEvSN_.num_agpr, 0
	.set _ZN7rocprim17ROCPRIM_400000_NS6detail17trampoline_kernelINS0_14default_configENS1_35radix_sort_onesweep_config_selectorIjN6thrust23THRUST_200600_302600_NS5tupleIffNS6_9null_typeES8_S8_S8_S8_S8_S8_S8_EEEEZZNS1_29radix_sort_onesweep_iterationIS3_Lb0ENS6_6detail15normal_iteratorINS6_10device_ptrIjEEEESG_NSD_INSE_IS9_EEEESI_jNS0_19identity_decomposerENS1_16block_id_wrapperIjLb1EEEEE10hipError_tT1_PNSt15iterator_traitsISN_E10value_typeET2_T3_PNSO_IST_E10value_typeET4_T5_PSY_SZ_PNS1_23onesweep_lookback_stateEbbT6_jjT7_P12ihipStream_tbENKUlT_T0_SN_SS_E_clISG_SG_SI_SI_EEDaS16_S17_SN_SS_EUlS16_E_NS1_11comp_targetILNS1_3genE5ELNS1_11target_archE942ELNS1_3gpuE9ELNS1_3repE0EEENS1_47radix_sort_onesweep_sort_config_static_selectorELNS0_4arch9wavefront6targetE0EEEvSN_.numbered_sgpr, 0
	.set _ZN7rocprim17ROCPRIM_400000_NS6detail17trampoline_kernelINS0_14default_configENS1_35radix_sort_onesweep_config_selectorIjN6thrust23THRUST_200600_302600_NS5tupleIffNS6_9null_typeES8_S8_S8_S8_S8_S8_S8_EEEEZZNS1_29radix_sort_onesweep_iterationIS3_Lb0ENS6_6detail15normal_iteratorINS6_10device_ptrIjEEEESG_NSD_INSE_IS9_EEEESI_jNS0_19identity_decomposerENS1_16block_id_wrapperIjLb1EEEEE10hipError_tT1_PNSt15iterator_traitsISN_E10value_typeET2_T3_PNSO_IST_E10value_typeET4_T5_PSY_SZ_PNS1_23onesweep_lookback_stateEbbT6_jjT7_P12ihipStream_tbENKUlT_T0_SN_SS_E_clISG_SG_SI_SI_EEDaS16_S17_SN_SS_EUlS16_E_NS1_11comp_targetILNS1_3genE5ELNS1_11target_archE942ELNS1_3gpuE9ELNS1_3repE0EEENS1_47radix_sort_onesweep_sort_config_static_selectorELNS0_4arch9wavefront6targetE0EEEvSN_.num_named_barrier, 0
	.set _ZN7rocprim17ROCPRIM_400000_NS6detail17trampoline_kernelINS0_14default_configENS1_35radix_sort_onesweep_config_selectorIjN6thrust23THRUST_200600_302600_NS5tupleIffNS6_9null_typeES8_S8_S8_S8_S8_S8_S8_EEEEZZNS1_29radix_sort_onesweep_iterationIS3_Lb0ENS6_6detail15normal_iteratorINS6_10device_ptrIjEEEESG_NSD_INSE_IS9_EEEESI_jNS0_19identity_decomposerENS1_16block_id_wrapperIjLb1EEEEE10hipError_tT1_PNSt15iterator_traitsISN_E10value_typeET2_T3_PNSO_IST_E10value_typeET4_T5_PSY_SZ_PNS1_23onesweep_lookback_stateEbbT6_jjT7_P12ihipStream_tbENKUlT_T0_SN_SS_E_clISG_SG_SI_SI_EEDaS16_S17_SN_SS_EUlS16_E_NS1_11comp_targetILNS1_3genE5ELNS1_11target_archE942ELNS1_3gpuE9ELNS1_3repE0EEENS1_47radix_sort_onesweep_sort_config_static_selectorELNS0_4arch9wavefront6targetE0EEEvSN_.private_seg_size, 0
	.set _ZN7rocprim17ROCPRIM_400000_NS6detail17trampoline_kernelINS0_14default_configENS1_35radix_sort_onesweep_config_selectorIjN6thrust23THRUST_200600_302600_NS5tupleIffNS6_9null_typeES8_S8_S8_S8_S8_S8_S8_EEEEZZNS1_29radix_sort_onesweep_iterationIS3_Lb0ENS6_6detail15normal_iteratorINS6_10device_ptrIjEEEESG_NSD_INSE_IS9_EEEESI_jNS0_19identity_decomposerENS1_16block_id_wrapperIjLb1EEEEE10hipError_tT1_PNSt15iterator_traitsISN_E10value_typeET2_T3_PNSO_IST_E10value_typeET4_T5_PSY_SZ_PNS1_23onesweep_lookback_stateEbbT6_jjT7_P12ihipStream_tbENKUlT_T0_SN_SS_E_clISG_SG_SI_SI_EEDaS16_S17_SN_SS_EUlS16_E_NS1_11comp_targetILNS1_3genE5ELNS1_11target_archE942ELNS1_3gpuE9ELNS1_3repE0EEENS1_47radix_sort_onesweep_sort_config_static_selectorELNS0_4arch9wavefront6targetE0EEEvSN_.uses_vcc, 0
	.set _ZN7rocprim17ROCPRIM_400000_NS6detail17trampoline_kernelINS0_14default_configENS1_35radix_sort_onesweep_config_selectorIjN6thrust23THRUST_200600_302600_NS5tupleIffNS6_9null_typeES8_S8_S8_S8_S8_S8_S8_EEEEZZNS1_29radix_sort_onesweep_iterationIS3_Lb0ENS6_6detail15normal_iteratorINS6_10device_ptrIjEEEESG_NSD_INSE_IS9_EEEESI_jNS0_19identity_decomposerENS1_16block_id_wrapperIjLb1EEEEE10hipError_tT1_PNSt15iterator_traitsISN_E10value_typeET2_T3_PNSO_IST_E10value_typeET4_T5_PSY_SZ_PNS1_23onesweep_lookback_stateEbbT6_jjT7_P12ihipStream_tbENKUlT_T0_SN_SS_E_clISG_SG_SI_SI_EEDaS16_S17_SN_SS_EUlS16_E_NS1_11comp_targetILNS1_3genE5ELNS1_11target_archE942ELNS1_3gpuE9ELNS1_3repE0EEENS1_47radix_sort_onesweep_sort_config_static_selectorELNS0_4arch9wavefront6targetE0EEEvSN_.uses_flat_scratch, 0
	.set _ZN7rocprim17ROCPRIM_400000_NS6detail17trampoline_kernelINS0_14default_configENS1_35radix_sort_onesweep_config_selectorIjN6thrust23THRUST_200600_302600_NS5tupleIffNS6_9null_typeES8_S8_S8_S8_S8_S8_S8_EEEEZZNS1_29radix_sort_onesweep_iterationIS3_Lb0ENS6_6detail15normal_iteratorINS6_10device_ptrIjEEEESG_NSD_INSE_IS9_EEEESI_jNS0_19identity_decomposerENS1_16block_id_wrapperIjLb1EEEEE10hipError_tT1_PNSt15iterator_traitsISN_E10value_typeET2_T3_PNSO_IST_E10value_typeET4_T5_PSY_SZ_PNS1_23onesweep_lookback_stateEbbT6_jjT7_P12ihipStream_tbENKUlT_T0_SN_SS_E_clISG_SG_SI_SI_EEDaS16_S17_SN_SS_EUlS16_E_NS1_11comp_targetILNS1_3genE5ELNS1_11target_archE942ELNS1_3gpuE9ELNS1_3repE0EEENS1_47radix_sort_onesweep_sort_config_static_selectorELNS0_4arch9wavefront6targetE0EEEvSN_.has_dyn_sized_stack, 0
	.set _ZN7rocprim17ROCPRIM_400000_NS6detail17trampoline_kernelINS0_14default_configENS1_35radix_sort_onesweep_config_selectorIjN6thrust23THRUST_200600_302600_NS5tupleIffNS6_9null_typeES8_S8_S8_S8_S8_S8_S8_EEEEZZNS1_29radix_sort_onesweep_iterationIS3_Lb0ENS6_6detail15normal_iteratorINS6_10device_ptrIjEEEESG_NSD_INSE_IS9_EEEESI_jNS0_19identity_decomposerENS1_16block_id_wrapperIjLb1EEEEE10hipError_tT1_PNSt15iterator_traitsISN_E10value_typeET2_T3_PNSO_IST_E10value_typeET4_T5_PSY_SZ_PNS1_23onesweep_lookback_stateEbbT6_jjT7_P12ihipStream_tbENKUlT_T0_SN_SS_E_clISG_SG_SI_SI_EEDaS16_S17_SN_SS_EUlS16_E_NS1_11comp_targetILNS1_3genE5ELNS1_11target_archE942ELNS1_3gpuE9ELNS1_3repE0EEENS1_47radix_sort_onesweep_sort_config_static_selectorELNS0_4arch9wavefront6targetE0EEEvSN_.has_recursion, 0
	.set _ZN7rocprim17ROCPRIM_400000_NS6detail17trampoline_kernelINS0_14default_configENS1_35radix_sort_onesweep_config_selectorIjN6thrust23THRUST_200600_302600_NS5tupleIffNS6_9null_typeES8_S8_S8_S8_S8_S8_S8_EEEEZZNS1_29radix_sort_onesweep_iterationIS3_Lb0ENS6_6detail15normal_iteratorINS6_10device_ptrIjEEEESG_NSD_INSE_IS9_EEEESI_jNS0_19identity_decomposerENS1_16block_id_wrapperIjLb1EEEEE10hipError_tT1_PNSt15iterator_traitsISN_E10value_typeET2_T3_PNSO_IST_E10value_typeET4_T5_PSY_SZ_PNS1_23onesweep_lookback_stateEbbT6_jjT7_P12ihipStream_tbENKUlT_T0_SN_SS_E_clISG_SG_SI_SI_EEDaS16_S17_SN_SS_EUlS16_E_NS1_11comp_targetILNS1_3genE5ELNS1_11target_archE942ELNS1_3gpuE9ELNS1_3repE0EEENS1_47radix_sort_onesweep_sort_config_static_selectorELNS0_4arch9wavefront6targetE0EEEvSN_.has_indirect_call, 0
	.section	.AMDGPU.csdata,"",@progbits
; Kernel info:
; codeLenInByte = 0
; TotalNumSgprs: 0
; NumVgprs: 0
; ScratchSize: 0
; MemoryBound: 0
; FloatMode: 240
; IeeeMode: 1
; LDSByteSize: 0 bytes/workgroup (compile time only)
; SGPRBlocks: 0
; VGPRBlocks: 0
; NumSGPRsForWavesPerEU: 1
; NumVGPRsForWavesPerEU: 1
; NamedBarCnt: 0
; Occupancy: 16
; WaveLimiterHint : 0
; COMPUTE_PGM_RSRC2:SCRATCH_EN: 0
; COMPUTE_PGM_RSRC2:USER_SGPR: 2
; COMPUTE_PGM_RSRC2:TRAP_HANDLER: 0
; COMPUTE_PGM_RSRC2:TGID_X_EN: 1
; COMPUTE_PGM_RSRC2:TGID_Y_EN: 0
; COMPUTE_PGM_RSRC2:TGID_Z_EN: 0
; COMPUTE_PGM_RSRC2:TIDIG_COMP_CNT: 0
	.section	.text._ZN7rocprim17ROCPRIM_400000_NS6detail17trampoline_kernelINS0_14default_configENS1_35radix_sort_onesweep_config_selectorIjN6thrust23THRUST_200600_302600_NS5tupleIffNS6_9null_typeES8_S8_S8_S8_S8_S8_S8_EEEEZZNS1_29radix_sort_onesweep_iterationIS3_Lb0ENS6_6detail15normal_iteratorINS6_10device_ptrIjEEEESG_NSD_INSE_IS9_EEEESI_jNS0_19identity_decomposerENS1_16block_id_wrapperIjLb1EEEEE10hipError_tT1_PNSt15iterator_traitsISN_E10value_typeET2_T3_PNSO_IST_E10value_typeET4_T5_PSY_SZ_PNS1_23onesweep_lookback_stateEbbT6_jjT7_P12ihipStream_tbENKUlT_T0_SN_SS_E_clISG_SG_SI_SI_EEDaS16_S17_SN_SS_EUlS16_E_NS1_11comp_targetILNS1_3genE2ELNS1_11target_archE906ELNS1_3gpuE6ELNS1_3repE0EEENS1_47radix_sort_onesweep_sort_config_static_selectorELNS0_4arch9wavefront6targetE0EEEvSN_,"axG",@progbits,_ZN7rocprim17ROCPRIM_400000_NS6detail17trampoline_kernelINS0_14default_configENS1_35radix_sort_onesweep_config_selectorIjN6thrust23THRUST_200600_302600_NS5tupleIffNS6_9null_typeES8_S8_S8_S8_S8_S8_S8_EEEEZZNS1_29radix_sort_onesweep_iterationIS3_Lb0ENS6_6detail15normal_iteratorINS6_10device_ptrIjEEEESG_NSD_INSE_IS9_EEEESI_jNS0_19identity_decomposerENS1_16block_id_wrapperIjLb1EEEEE10hipError_tT1_PNSt15iterator_traitsISN_E10value_typeET2_T3_PNSO_IST_E10value_typeET4_T5_PSY_SZ_PNS1_23onesweep_lookback_stateEbbT6_jjT7_P12ihipStream_tbENKUlT_T0_SN_SS_E_clISG_SG_SI_SI_EEDaS16_S17_SN_SS_EUlS16_E_NS1_11comp_targetILNS1_3genE2ELNS1_11target_archE906ELNS1_3gpuE6ELNS1_3repE0EEENS1_47radix_sort_onesweep_sort_config_static_selectorELNS0_4arch9wavefront6targetE0EEEvSN_,comdat
	.protected	_ZN7rocprim17ROCPRIM_400000_NS6detail17trampoline_kernelINS0_14default_configENS1_35radix_sort_onesweep_config_selectorIjN6thrust23THRUST_200600_302600_NS5tupleIffNS6_9null_typeES8_S8_S8_S8_S8_S8_S8_EEEEZZNS1_29radix_sort_onesweep_iterationIS3_Lb0ENS6_6detail15normal_iteratorINS6_10device_ptrIjEEEESG_NSD_INSE_IS9_EEEESI_jNS0_19identity_decomposerENS1_16block_id_wrapperIjLb1EEEEE10hipError_tT1_PNSt15iterator_traitsISN_E10value_typeET2_T3_PNSO_IST_E10value_typeET4_T5_PSY_SZ_PNS1_23onesweep_lookback_stateEbbT6_jjT7_P12ihipStream_tbENKUlT_T0_SN_SS_E_clISG_SG_SI_SI_EEDaS16_S17_SN_SS_EUlS16_E_NS1_11comp_targetILNS1_3genE2ELNS1_11target_archE906ELNS1_3gpuE6ELNS1_3repE0EEENS1_47radix_sort_onesweep_sort_config_static_selectorELNS0_4arch9wavefront6targetE0EEEvSN_ ; -- Begin function _ZN7rocprim17ROCPRIM_400000_NS6detail17trampoline_kernelINS0_14default_configENS1_35radix_sort_onesweep_config_selectorIjN6thrust23THRUST_200600_302600_NS5tupleIffNS6_9null_typeES8_S8_S8_S8_S8_S8_S8_EEEEZZNS1_29radix_sort_onesweep_iterationIS3_Lb0ENS6_6detail15normal_iteratorINS6_10device_ptrIjEEEESG_NSD_INSE_IS9_EEEESI_jNS0_19identity_decomposerENS1_16block_id_wrapperIjLb1EEEEE10hipError_tT1_PNSt15iterator_traitsISN_E10value_typeET2_T3_PNSO_IST_E10value_typeET4_T5_PSY_SZ_PNS1_23onesweep_lookback_stateEbbT6_jjT7_P12ihipStream_tbENKUlT_T0_SN_SS_E_clISG_SG_SI_SI_EEDaS16_S17_SN_SS_EUlS16_E_NS1_11comp_targetILNS1_3genE2ELNS1_11target_archE906ELNS1_3gpuE6ELNS1_3repE0EEENS1_47radix_sort_onesweep_sort_config_static_selectorELNS0_4arch9wavefront6targetE0EEEvSN_
	.globl	_ZN7rocprim17ROCPRIM_400000_NS6detail17trampoline_kernelINS0_14default_configENS1_35radix_sort_onesweep_config_selectorIjN6thrust23THRUST_200600_302600_NS5tupleIffNS6_9null_typeES8_S8_S8_S8_S8_S8_S8_EEEEZZNS1_29radix_sort_onesweep_iterationIS3_Lb0ENS6_6detail15normal_iteratorINS6_10device_ptrIjEEEESG_NSD_INSE_IS9_EEEESI_jNS0_19identity_decomposerENS1_16block_id_wrapperIjLb1EEEEE10hipError_tT1_PNSt15iterator_traitsISN_E10value_typeET2_T3_PNSO_IST_E10value_typeET4_T5_PSY_SZ_PNS1_23onesweep_lookback_stateEbbT6_jjT7_P12ihipStream_tbENKUlT_T0_SN_SS_E_clISG_SG_SI_SI_EEDaS16_S17_SN_SS_EUlS16_E_NS1_11comp_targetILNS1_3genE2ELNS1_11target_archE906ELNS1_3gpuE6ELNS1_3repE0EEENS1_47radix_sort_onesweep_sort_config_static_selectorELNS0_4arch9wavefront6targetE0EEEvSN_
	.p2align	8
	.type	_ZN7rocprim17ROCPRIM_400000_NS6detail17trampoline_kernelINS0_14default_configENS1_35radix_sort_onesweep_config_selectorIjN6thrust23THRUST_200600_302600_NS5tupleIffNS6_9null_typeES8_S8_S8_S8_S8_S8_S8_EEEEZZNS1_29radix_sort_onesweep_iterationIS3_Lb0ENS6_6detail15normal_iteratorINS6_10device_ptrIjEEEESG_NSD_INSE_IS9_EEEESI_jNS0_19identity_decomposerENS1_16block_id_wrapperIjLb1EEEEE10hipError_tT1_PNSt15iterator_traitsISN_E10value_typeET2_T3_PNSO_IST_E10value_typeET4_T5_PSY_SZ_PNS1_23onesweep_lookback_stateEbbT6_jjT7_P12ihipStream_tbENKUlT_T0_SN_SS_E_clISG_SG_SI_SI_EEDaS16_S17_SN_SS_EUlS16_E_NS1_11comp_targetILNS1_3genE2ELNS1_11target_archE906ELNS1_3gpuE6ELNS1_3repE0EEENS1_47radix_sort_onesweep_sort_config_static_selectorELNS0_4arch9wavefront6targetE0EEEvSN_,@function
_ZN7rocprim17ROCPRIM_400000_NS6detail17trampoline_kernelINS0_14default_configENS1_35radix_sort_onesweep_config_selectorIjN6thrust23THRUST_200600_302600_NS5tupleIffNS6_9null_typeES8_S8_S8_S8_S8_S8_S8_EEEEZZNS1_29radix_sort_onesweep_iterationIS3_Lb0ENS6_6detail15normal_iteratorINS6_10device_ptrIjEEEESG_NSD_INSE_IS9_EEEESI_jNS0_19identity_decomposerENS1_16block_id_wrapperIjLb1EEEEE10hipError_tT1_PNSt15iterator_traitsISN_E10value_typeET2_T3_PNSO_IST_E10value_typeET4_T5_PSY_SZ_PNS1_23onesweep_lookback_stateEbbT6_jjT7_P12ihipStream_tbENKUlT_T0_SN_SS_E_clISG_SG_SI_SI_EEDaS16_S17_SN_SS_EUlS16_E_NS1_11comp_targetILNS1_3genE2ELNS1_11target_archE906ELNS1_3gpuE6ELNS1_3repE0EEENS1_47radix_sort_onesweep_sort_config_static_selectorELNS0_4arch9wavefront6targetE0EEEvSN_: ; @_ZN7rocprim17ROCPRIM_400000_NS6detail17trampoline_kernelINS0_14default_configENS1_35radix_sort_onesweep_config_selectorIjN6thrust23THRUST_200600_302600_NS5tupleIffNS6_9null_typeES8_S8_S8_S8_S8_S8_S8_EEEEZZNS1_29radix_sort_onesweep_iterationIS3_Lb0ENS6_6detail15normal_iteratorINS6_10device_ptrIjEEEESG_NSD_INSE_IS9_EEEESI_jNS0_19identity_decomposerENS1_16block_id_wrapperIjLb1EEEEE10hipError_tT1_PNSt15iterator_traitsISN_E10value_typeET2_T3_PNSO_IST_E10value_typeET4_T5_PSY_SZ_PNS1_23onesweep_lookback_stateEbbT6_jjT7_P12ihipStream_tbENKUlT_T0_SN_SS_E_clISG_SG_SI_SI_EEDaS16_S17_SN_SS_EUlS16_E_NS1_11comp_targetILNS1_3genE2ELNS1_11target_archE906ELNS1_3gpuE6ELNS1_3repE0EEENS1_47radix_sort_onesweep_sort_config_static_selectorELNS0_4arch9wavefront6targetE0EEEvSN_
; %bb.0:
	.section	.rodata,"a",@progbits
	.p2align	6, 0x0
	.amdhsa_kernel _ZN7rocprim17ROCPRIM_400000_NS6detail17trampoline_kernelINS0_14default_configENS1_35radix_sort_onesweep_config_selectorIjN6thrust23THRUST_200600_302600_NS5tupleIffNS6_9null_typeES8_S8_S8_S8_S8_S8_S8_EEEEZZNS1_29radix_sort_onesweep_iterationIS3_Lb0ENS6_6detail15normal_iteratorINS6_10device_ptrIjEEEESG_NSD_INSE_IS9_EEEESI_jNS0_19identity_decomposerENS1_16block_id_wrapperIjLb1EEEEE10hipError_tT1_PNSt15iterator_traitsISN_E10value_typeET2_T3_PNSO_IST_E10value_typeET4_T5_PSY_SZ_PNS1_23onesweep_lookback_stateEbbT6_jjT7_P12ihipStream_tbENKUlT_T0_SN_SS_E_clISG_SG_SI_SI_EEDaS16_S17_SN_SS_EUlS16_E_NS1_11comp_targetILNS1_3genE2ELNS1_11target_archE906ELNS1_3gpuE6ELNS1_3repE0EEENS1_47radix_sort_onesweep_sort_config_static_selectorELNS0_4arch9wavefront6targetE0EEEvSN_
		.amdhsa_group_segment_fixed_size 0
		.amdhsa_private_segment_fixed_size 0
		.amdhsa_kernarg_size 88
		.amdhsa_user_sgpr_count 2
		.amdhsa_user_sgpr_dispatch_ptr 0
		.amdhsa_user_sgpr_queue_ptr 0
		.amdhsa_user_sgpr_kernarg_segment_ptr 1
		.amdhsa_user_sgpr_dispatch_id 0
		.amdhsa_user_sgpr_kernarg_preload_length 0
		.amdhsa_user_sgpr_kernarg_preload_offset 0
		.amdhsa_user_sgpr_private_segment_size 0
		.amdhsa_wavefront_size32 1
		.amdhsa_uses_dynamic_stack 0
		.amdhsa_enable_private_segment 0
		.amdhsa_system_sgpr_workgroup_id_x 1
		.amdhsa_system_sgpr_workgroup_id_y 0
		.amdhsa_system_sgpr_workgroup_id_z 0
		.amdhsa_system_sgpr_workgroup_info 0
		.amdhsa_system_vgpr_workitem_id 0
		.amdhsa_next_free_vgpr 1
		.amdhsa_next_free_sgpr 1
		.amdhsa_named_barrier_count 0
		.amdhsa_reserve_vcc 0
		.amdhsa_float_round_mode_32 0
		.amdhsa_float_round_mode_16_64 0
		.amdhsa_float_denorm_mode_32 3
		.amdhsa_float_denorm_mode_16_64 3
		.amdhsa_fp16_overflow 0
		.amdhsa_memory_ordered 1
		.amdhsa_forward_progress 1
		.amdhsa_inst_pref_size 0
		.amdhsa_round_robin_scheduling 0
		.amdhsa_exception_fp_ieee_invalid_op 0
		.amdhsa_exception_fp_denorm_src 0
		.amdhsa_exception_fp_ieee_div_zero 0
		.amdhsa_exception_fp_ieee_overflow 0
		.amdhsa_exception_fp_ieee_underflow 0
		.amdhsa_exception_fp_ieee_inexact 0
		.amdhsa_exception_int_div_zero 0
	.end_amdhsa_kernel
	.section	.text._ZN7rocprim17ROCPRIM_400000_NS6detail17trampoline_kernelINS0_14default_configENS1_35radix_sort_onesweep_config_selectorIjN6thrust23THRUST_200600_302600_NS5tupleIffNS6_9null_typeES8_S8_S8_S8_S8_S8_S8_EEEEZZNS1_29radix_sort_onesweep_iterationIS3_Lb0ENS6_6detail15normal_iteratorINS6_10device_ptrIjEEEESG_NSD_INSE_IS9_EEEESI_jNS0_19identity_decomposerENS1_16block_id_wrapperIjLb1EEEEE10hipError_tT1_PNSt15iterator_traitsISN_E10value_typeET2_T3_PNSO_IST_E10value_typeET4_T5_PSY_SZ_PNS1_23onesweep_lookback_stateEbbT6_jjT7_P12ihipStream_tbENKUlT_T0_SN_SS_E_clISG_SG_SI_SI_EEDaS16_S17_SN_SS_EUlS16_E_NS1_11comp_targetILNS1_3genE2ELNS1_11target_archE906ELNS1_3gpuE6ELNS1_3repE0EEENS1_47radix_sort_onesweep_sort_config_static_selectorELNS0_4arch9wavefront6targetE0EEEvSN_,"axG",@progbits,_ZN7rocprim17ROCPRIM_400000_NS6detail17trampoline_kernelINS0_14default_configENS1_35radix_sort_onesweep_config_selectorIjN6thrust23THRUST_200600_302600_NS5tupleIffNS6_9null_typeES8_S8_S8_S8_S8_S8_S8_EEEEZZNS1_29radix_sort_onesweep_iterationIS3_Lb0ENS6_6detail15normal_iteratorINS6_10device_ptrIjEEEESG_NSD_INSE_IS9_EEEESI_jNS0_19identity_decomposerENS1_16block_id_wrapperIjLb1EEEEE10hipError_tT1_PNSt15iterator_traitsISN_E10value_typeET2_T3_PNSO_IST_E10value_typeET4_T5_PSY_SZ_PNS1_23onesweep_lookback_stateEbbT6_jjT7_P12ihipStream_tbENKUlT_T0_SN_SS_E_clISG_SG_SI_SI_EEDaS16_S17_SN_SS_EUlS16_E_NS1_11comp_targetILNS1_3genE2ELNS1_11target_archE906ELNS1_3gpuE6ELNS1_3repE0EEENS1_47radix_sort_onesweep_sort_config_static_selectorELNS0_4arch9wavefront6targetE0EEEvSN_,comdat
.Lfunc_end178:
	.size	_ZN7rocprim17ROCPRIM_400000_NS6detail17trampoline_kernelINS0_14default_configENS1_35radix_sort_onesweep_config_selectorIjN6thrust23THRUST_200600_302600_NS5tupleIffNS6_9null_typeES8_S8_S8_S8_S8_S8_S8_EEEEZZNS1_29radix_sort_onesweep_iterationIS3_Lb0ENS6_6detail15normal_iteratorINS6_10device_ptrIjEEEESG_NSD_INSE_IS9_EEEESI_jNS0_19identity_decomposerENS1_16block_id_wrapperIjLb1EEEEE10hipError_tT1_PNSt15iterator_traitsISN_E10value_typeET2_T3_PNSO_IST_E10value_typeET4_T5_PSY_SZ_PNS1_23onesweep_lookback_stateEbbT6_jjT7_P12ihipStream_tbENKUlT_T0_SN_SS_E_clISG_SG_SI_SI_EEDaS16_S17_SN_SS_EUlS16_E_NS1_11comp_targetILNS1_3genE2ELNS1_11target_archE906ELNS1_3gpuE6ELNS1_3repE0EEENS1_47radix_sort_onesweep_sort_config_static_selectorELNS0_4arch9wavefront6targetE0EEEvSN_, .Lfunc_end178-_ZN7rocprim17ROCPRIM_400000_NS6detail17trampoline_kernelINS0_14default_configENS1_35radix_sort_onesweep_config_selectorIjN6thrust23THRUST_200600_302600_NS5tupleIffNS6_9null_typeES8_S8_S8_S8_S8_S8_S8_EEEEZZNS1_29radix_sort_onesweep_iterationIS3_Lb0ENS6_6detail15normal_iteratorINS6_10device_ptrIjEEEESG_NSD_INSE_IS9_EEEESI_jNS0_19identity_decomposerENS1_16block_id_wrapperIjLb1EEEEE10hipError_tT1_PNSt15iterator_traitsISN_E10value_typeET2_T3_PNSO_IST_E10value_typeET4_T5_PSY_SZ_PNS1_23onesweep_lookback_stateEbbT6_jjT7_P12ihipStream_tbENKUlT_T0_SN_SS_E_clISG_SG_SI_SI_EEDaS16_S17_SN_SS_EUlS16_E_NS1_11comp_targetILNS1_3genE2ELNS1_11target_archE906ELNS1_3gpuE6ELNS1_3repE0EEENS1_47radix_sort_onesweep_sort_config_static_selectorELNS0_4arch9wavefront6targetE0EEEvSN_
                                        ; -- End function
	.set _ZN7rocprim17ROCPRIM_400000_NS6detail17trampoline_kernelINS0_14default_configENS1_35radix_sort_onesweep_config_selectorIjN6thrust23THRUST_200600_302600_NS5tupleIffNS6_9null_typeES8_S8_S8_S8_S8_S8_S8_EEEEZZNS1_29radix_sort_onesweep_iterationIS3_Lb0ENS6_6detail15normal_iteratorINS6_10device_ptrIjEEEESG_NSD_INSE_IS9_EEEESI_jNS0_19identity_decomposerENS1_16block_id_wrapperIjLb1EEEEE10hipError_tT1_PNSt15iterator_traitsISN_E10value_typeET2_T3_PNSO_IST_E10value_typeET4_T5_PSY_SZ_PNS1_23onesweep_lookback_stateEbbT6_jjT7_P12ihipStream_tbENKUlT_T0_SN_SS_E_clISG_SG_SI_SI_EEDaS16_S17_SN_SS_EUlS16_E_NS1_11comp_targetILNS1_3genE2ELNS1_11target_archE906ELNS1_3gpuE6ELNS1_3repE0EEENS1_47radix_sort_onesweep_sort_config_static_selectorELNS0_4arch9wavefront6targetE0EEEvSN_.num_vgpr, 0
	.set _ZN7rocprim17ROCPRIM_400000_NS6detail17trampoline_kernelINS0_14default_configENS1_35radix_sort_onesweep_config_selectorIjN6thrust23THRUST_200600_302600_NS5tupleIffNS6_9null_typeES8_S8_S8_S8_S8_S8_S8_EEEEZZNS1_29radix_sort_onesweep_iterationIS3_Lb0ENS6_6detail15normal_iteratorINS6_10device_ptrIjEEEESG_NSD_INSE_IS9_EEEESI_jNS0_19identity_decomposerENS1_16block_id_wrapperIjLb1EEEEE10hipError_tT1_PNSt15iterator_traitsISN_E10value_typeET2_T3_PNSO_IST_E10value_typeET4_T5_PSY_SZ_PNS1_23onesweep_lookback_stateEbbT6_jjT7_P12ihipStream_tbENKUlT_T0_SN_SS_E_clISG_SG_SI_SI_EEDaS16_S17_SN_SS_EUlS16_E_NS1_11comp_targetILNS1_3genE2ELNS1_11target_archE906ELNS1_3gpuE6ELNS1_3repE0EEENS1_47radix_sort_onesweep_sort_config_static_selectorELNS0_4arch9wavefront6targetE0EEEvSN_.num_agpr, 0
	.set _ZN7rocprim17ROCPRIM_400000_NS6detail17trampoline_kernelINS0_14default_configENS1_35radix_sort_onesweep_config_selectorIjN6thrust23THRUST_200600_302600_NS5tupleIffNS6_9null_typeES8_S8_S8_S8_S8_S8_S8_EEEEZZNS1_29radix_sort_onesweep_iterationIS3_Lb0ENS6_6detail15normal_iteratorINS6_10device_ptrIjEEEESG_NSD_INSE_IS9_EEEESI_jNS0_19identity_decomposerENS1_16block_id_wrapperIjLb1EEEEE10hipError_tT1_PNSt15iterator_traitsISN_E10value_typeET2_T3_PNSO_IST_E10value_typeET4_T5_PSY_SZ_PNS1_23onesweep_lookback_stateEbbT6_jjT7_P12ihipStream_tbENKUlT_T0_SN_SS_E_clISG_SG_SI_SI_EEDaS16_S17_SN_SS_EUlS16_E_NS1_11comp_targetILNS1_3genE2ELNS1_11target_archE906ELNS1_3gpuE6ELNS1_3repE0EEENS1_47radix_sort_onesweep_sort_config_static_selectorELNS0_4arch9wavefront6targetE0EEEvSN_.numbered_sgpr, 0
	.set _ZN7rocprim17ROCPRIM_400000_NS6detail17trampoline_kernelINS0_14default_configENS1_35radix_sort_onesweep_config_selectorIjN6thrust23THRUST_200600_302600_NS5tupleIffNS6_9null_typeES8_S8_S8_S8_S8_S8_S8_EEEEZZNS1_29radix_sort_onesweep_iterationIS3_Lb0ENS6_6detail15normal_iteratorINS6_10device_ptrIjEEEESG_NSD_INSE_IS9_EEEESI_jNS0_19identity_decomposerENS1_16block_id_wrapperIjLb1EEEEE10hipError_tT1_PNSt15iterator_traitsISN_E10value_typeET2_T3_PNSO_IST_E10value_typeET4_T5_PSY_SZ_PNS1_23onesweep_lookback_stateEbbT6_jjT7_P12ihipStream_tbENKUlT_T0_SN_SS_E_clISG_SG_SI_SI_EEDaS16_S17_SN_SS_EUlS16_E_NS1_11comp_targetILNS1_3genE2ELNS1_11target_archE906ELNS1_3gpuE6ELNS1_3repE0EEENS1_47radix_sort_onesweep_sort_config_static_selectorELNS0_4arch9wavefront6targetE0EEEvSN_.num_named_barrier, 0
	.set _ZN7rocprim17ROCPRIM_400000_NS6detail17trampoline_kernelINS0_14default_configENS1_35radix_sort_onesweep_config_selectorIjN6thrust23THRUST_200600_302600_NS5tupleIffNS6_9null_typeES8_S8_S8_S8_S8_S8_S8_EEEEZZNS1_29radix_sort_onesweep_iterationIS3_Lb0ENS6_6detail15normal_iteratorINS6_10device_ptrIjEEEESG_NSD_INSE_IS9_EEEESI_jNS0_19identity_decomposerENS1_16block_id_wrapperIjLb1EEEEE10hipError_tT1_PNSt15iterator_traitsISN_E10value_typeET2_T3_PNSO_IST_E10value_typeET4_T5_PSY_SZ_PNS1_23onesweep_lookback_stateEbbT6_jjT7_P12ihipStream_tbENKUlT_T0_SN_SS_E_clISG_SG_SI_SI_EEDaS16_S17_SN_SS_EUlS16_E_NS1_11comp_targetILNS1_3genE2ELNS1_11target_archE906ELNS1_3gpuE6ELNS1_3repE0EEENS1_47radix_sort_onesweep_sort_config_static_selectorELNS0_4arch9wavefront6targetE0EEEvSN_.private_seg_size, 0
	.set _ZN7rocprim17ROCPRIM_400000_NS6detail17trampoline_kernelINS0_14default_configENS1_35radix_sort_onesweep_config_selectorIjN6thrust23THRUST_200600_302600_NS5tupleIffNS6_9null_typeES8_S8_S8_S8_S8_S8_S8_EEEEZZNS1_29radix_sort_onesweep_iterationIS3_Lb0ENS6_6detail15normal_iteratorINS6_10device_ptrIjEEEESG_NSD_INSE_IS9_EEEESI_jNS0_19identity_decomposerENS1_16block_id_wrapperIjLb1EEEEE10hipError_tT1_PNSt15iterator_traitsISN_E10value_typeET2_T3_PNSO_IST_E10value_typeET4_T5_PSY_SZ_PNS1_23onesweep_lookback_stateEbbT6_jjT7_P12ihipStream_tbENKUlT_T0_SN_SS_E_clISG_SG_SI_SI_EEDaS16_S17_SN_SS_EUlS16_E_NS1_11comp_targetILNS1_3genE2ELNS1_11target_archE906ELNS1_3gpuE6ELNS1_3repE0EEENS1_47radix_sort_onesweep_sort_config_static_selectorELNS0_4arch9wavefront6targetE0EEEvSN_.uses_vcc, 0
	.set _ZN7rocprim17ROCPRIM_400000_NS6detail17trampoline_kernelINS0_14default_configENS1_35radix_sort_onesweep_config_selectorIjN6thrust23THRUST_200600_302600_NS5tupleIffNS6_9null_typeES8_S8_S8_S8_S8_S8_S8_EEEEZZNS1_29radix_sort_onesweep_iterationIS3_Lb0ENS6_6detail15normal_iteratorINS6_10device_ptrIjEEEESG_NSD_INSE_IS9_EEEESI_jNS0_19identity_decomposerENS1_16block_id_wrapperIjLb1EEEEE10hipError_tT1_PNSt15iterator_traitsISN_E10value_typeET2_T3_PNSO_IST_E10value_typeET4_T5_PSY_SZ_PNS1_23onesweep_lookback_stateEbbT6_jjT7_P12ihipStream_tbENKUlT_T0_SN_SS_E_clISG_SG_SI_SI_EEDaS16_S17_SN_SS_EUlS16_E_NS1_11comp_targetILNS1_3genE2ELNS1_11target_archE906ELNS1_3gpuE6ELNS1_3repE0EEENS1_47radix_sort_onesweep_sort_config_static_selectorELNS0_4arch9wavefront6targetE0EEEvSN_.uses_flat_scratch, 0
	.set _ZN7rocprim17ROCPRIM_400000_NS6detail17trampoline_kernelINS0_14default_configENS1_35radix_sort_onesweep_config_selectorIjN6thrust23THRUST_200600_302600_NS5tupleIffNS6_9null_typeES8_S8_S8_S8_S8_S8_S8_EEEEZZNS1_29radix_sort_onesweep_iterationIS3_Lb0ENS6_6detail15normal_iteratorINS6_10device_ptrIjEEEESG_NSD_INSE_IS9_EEEESI_jNS0_19identity_decomposerENS1_16block_id_wrapperIjLb1EEEEE10hipError_tT1_PNSt15iterator_traitsISN_E10value_typeET2_T3_PNSO_IST_E10value_typeET4_T5_PSY_SZ_PNS1_23onesweep_lookback_stateEbbT6_jjT7_P12ihipStream_tbENKUlT_T0_SN_SS_E_clISG_SG_SI_SI_EEDaS16_S17_SN_SS_EUlS16_E_NS1_11comp_targetILNS1_3genE2ELNS1_11target_archE906ELNS1_3gpuE6ELNS1_3repE0EEENS1_47radix_sort_onesweep_sort_config_static_selectorELNS0_4arch9wavefront6targetE0EEEvSN_.has_dyn_sized_stack, 0
	.set _ZN7rocprim17ROCPRIM_400000_NS6detail17trampoline_kernelINS0_14default_configENS1_35radix_sort_onesweep_config_selectorIjN6thrust23THRUST_200600_302600_NS5tupleIffNS6_9null_typeES8_S8_S8_S8_S8_S8_S8_EEEEZZNS1_29radix_sort_onesweep_iterationIS3_Lb0ENS6_6detail15normal_iteratorINS6_10device_ptrIjEEEESG_NSD_INSE_IS9_EEEESI_jNS0_19identity_decomposerENS1_16block_id_wrapperIjLb1EEEEE10hipError_tT1_PNSt15iterator_traitsISN_E10value_typeET2_T3_PNSO_IST_E10value_typeET4_T5_PSY_SZ_PNS1_23onesweep_lookback_stateEbbT6_jjT7_P12ihipStream_tbENKUlT_T0_SN_SS_E_clISG_SG_SI_SI_EEDaS16_S17_SN_SS_EUlS16_E_NS1_11comp_targetILNS1_3genE2ELNS1_11target_archE906ELNS1_3gpuE6ELNS1_3repE0EEENS1_47radix_sort_onesweep_sort_config_static_selectorELNS0_4arch9wavefront6targetE0EEEvSN_.has_recursion, 0
	.set _ZN7rocprim17ROCPRIM_400000_NS6detail17trampoline_kernelINS0_14default_configENS1_35radix_sort_onesweep_config_selectorIjN6thrust23THRUST_200600_302600_NS5tupleIffNS6_9null_typeES8_S8_S8_S8_S8_S8_S8_EEEEZZNS1_29radix_sort_onesweep_iterationIS3_Lb0ENS6_6detail15normal_iteratorINS6_10device_ptrIjEEEESG_NSD_INSE_IS9_EEEESI_jNS0_19identity_decomposerENS1_16block_id_wrapperIjLb1EEEEE10hipError_tT1_PNSt15iterator_traitsISN_E10value_typeET2_T3_PNSO_IST_E10value_typeET4_T5_PSY_SZ_PNS1_23onesweep_lookback_stateEbbT6_jjT7_P12ihipStream_tbENKUlT_T0_SN_SS_E_clISG_SG_SI_SI_EEDaS16_S17_SN_SS_EUlS16_E_NS1_11comp_targetILNS1_3genE2ELNS1_11target_archE906ELNS1_3gpuE6ELNS1_3repE0EEENS1_47radix_sort_onesweep_sort_config_static_selectorELNS0_4arch9wavefront6targetE0EEEvSN_.has_indirect_call, 0
	.section	.AMDGPU.csdata,"",@progbits
; Kernel info:
; codeLenInByte = 0
; TotalNumSgprs: 0
; NumVgprs: 0
; ScratchSize: 0
; MemoryBound: 0
; FloatMode: 240
; IeeeMode: 1
; LDSByteSize: 0 bytes/workgroup (compile time only)
; SGPRBlocks: 0
; VGPRBlocks: 0
; NumSGPRsForWavesPerEU: 1
; NumVGPRsForWavesPerEU: 1
; NamedBarCnt: 0
; Occupancy: 16
; WaveLimiterHint : 0
; COMPUTE_PGM_RSRC2:SCRATCH_EN: 0
; COMPUTE_PGM_RSRC2:USER_SGPR: 2
; COMPUTE_PGM_RSRC2:TRAP_HANDLER: 0
; COMPUTE_PGM_RSRC2:TGID_X_EN: 1
; COMPUTE_PGM_RSRC2:TGID_Y_EN: 0
; COMPUTE_PGM_RSRC2:TGID_Z_EN: 0
; COMPUTE_PGM_RSRC2:TIDIG_COMP_CNT: 0
	.section	.text._ZN7rocprim17ROCPRIM_400000_NS6detail17trampoline_kernelINS0_14default_configENS1_35radix_sort_onesweep_config_selectorIjN6thrust23THRUST_200600_302600_NS5tupleIffNS6_9null_typeES8_S8_S8_S8_S8_S8_S8_EEEEZZNS1_29radix_sort_onesweep_iterationIS3_Lb0ENS6_6detail15normal_iteratorINS6_10device_ptrIjEEEESG_NSD_INSE_IS9_EEEESI_jNS0_19identity_decomposerENS1_16block_id_wrapperIjLb1EEEEE10hipError_tT1_PNSt15iterator_traitsISN_E10value_typeET2_T3_PNSO_IST_E10value_typeET4_T5_PSY_SZ_PNS1_23onesweep_lookback_stateEbbT6_jjT7_P12ihipStream_tbENKUlT_T0_SN_SS_E_clISG_SG_SI_SI_EEDaS16_S17_SN_SS_EUlS16_E_NS1_11comp_targetILNS1_3genE4ELNS1_11target_archE910ELNS1_3gpuE8ELNS1_3repE0EEENS1_47radix_sort_onesweep_sort_config_static_selectorELNS0_4arch9wavefront6targetE0EEEvSN_,"axG",@progbits,_ZN7rocprim17ROCPRIM_400000_NS6detail17trampoline_kernelINS0_14default_configENS1_35radix_sort_onesweep_config_selectorIjN6thrust23THRUST_200600_302600_NS5tupleIffNS6_9null_typeES8_S8_S8_S8_S8_S8_S8_EEEEZZNS1_29radix_sort_onesweep_iterationIS3_Lb0ENS6_6detail15normal_iteratorINS6_10device_ptrIjEEEESG_NSD_INSE_IS9_EEEESI_jNS0_19identity_decomposerENS1_16block_id_wrapperIjLb1EEEEE10hipError_tT1_PNSt15iterator_traitsISN_E10value_typeET2_T3_PNSO_IST_E10value_typeET4_T5_PSY_SZ_PNS1_23onesweep_lookback_stateEbbT6_jjT7_P12ihipStream_tbENKUlT_T0_SN_SS_E_clISG_SG_SI_SI_EEDaS16_S17_SN_SS_EUlS16_E_NS1_11comp_targetILNS1_3genE4ELNS1_11target_archE910ELNS1_3gpuE8ELNS1_3repE0EEENS1_47radix_sort_onesweep_sort_config_static_selectorELNS0_4arch9wavefront6targetE0EEEvSN_,comdat
	.protected	_ZN7rocprim17ROCPRIM_400000_NS6detail17trampoline_kernelINS0_14default_configENS1_35radix_sort_onesweep_config_selectorIjN6thrust23THRUST_200600_302600_NS5tupleIffNS6_9null_typeES8_S8_S8_S8_S8_S8_S8_EEEEZZNS1_29radix_sort_onesweep_iterationIS3_Lb0ENS6_6detail15normal_iteratorINS6_10device_ptrIjEEEESG_NSD_INSE_IS9_EEEESI_jNS0_19identity_decomposerENS1_16block_id_wrapperIjLb1EEEEE10hipError_tT1_PNSt15iterator_traitsISN_E10value_typeET2_T3_PNSO_IST_E10value_typeET4_T5_PSY_SZ_PNS1_23onesweep_lookback_stateEbbT6_jjT7_P12ihipStream_tbENKUlT_T0_SN_SS_E_clISG_SG_SI_SI_EEDaS16_S17_SN_SS_EUlS16_E_NS1_11comp_targetILNS1_3genE4ELNS1_11target_archE910ELNS1_3gpuE8ELNS1_3repE0EEENS1_47radix_sort_onesweep_sort_config_static_selectorELNS0_4arch9wavefront6targetE0EEEvSN_ ; -- Begin function _ZN7rocprim17ROCPRIM_400000_NS6detail17trampoline_kernelINS0_14default_configENS1_35radix_sort_onesweep_config_selectorIjN6thrust23THRUST_200600_302600_NS5tupleIffNS6_9null_typeES8_S8_S8_S8_S8_S8_S8_EEEEZZNS1_29radix_sort_onesweep_iterationIS3_Lb0ENS6_6detail15normal_iteratorINS6_10device_ptrIjEEEESG_NSD_INSE_IS9_EEEESI_jNS0_19identity_decomposerENS1_16block_id_wrapperIjLb1EEEEE10hipError_tT1_PNSt15iterator_traitsISN_E10value_typeET2_T3_PNSO_IST_E10value_typeET4_T5_PSY_SZ_PNS1_23onesweep_lookback_stateEbbT6_jjT7_P12ihipStream_tbENKUlT_T0_SN_SS_E_clISG_SG_SI_SI_EEDaS16_S17_SN_SS_EUlS16_E_NS1_11comp_targetILNS1_3genE4ELNS1_11target_archE910ELNS1_3gpuE8ELNS1_3repE0EEENS1_47radix_sort_onesweep_sort_config_static_selectorELNS0_4arch9wavefront6targetE0EEEvSN_
	.globl	_ZN7rocprim17ROCPRIM_400000_NS6detail17trampoline_kernelINS0_14default_configENS1_35radix_sort_onesweep_config_selectorIjN6thrust23THRUST_200600_302600_NS5tupleIffNS6_9null_typeES8_S8_S8_S8_S8_S8_S8_EEEEZZNS1_29radix_sort_onesweep_iterationIS3_Lb0ENS6_6detail15normal_iteratorINS6_10device_ptrIjEEEESG_NSD_INSE_IS9_EEEESI_jNS0_19identity_decomposerENS1_16block_id_wrapperIjLb1EEEEE10hipError_tT1_PNSt15iterator_traitsISN_E10value_typeET2_T3_PNSO_IST_E10value_typeET4_T5_PSY_SZ_PNS1_23onesweep_lookback_stateEbbT6_jjT7_P12ihipStream_tbENKUlT_T0_SN_SS_E_clISG_SG_SI_SI_EEDaS16_S17_SN_SS_EUlS16_E_NS1_11comp_targetILNS1_3genE4ELNS1_11target_archE910ELNS1_3gpuE8ELNS1_3repE0EEENS1_47radix_sort_onesweep_sort_config_static_selectorELNS0_4arch9wavefront6targetE0EEEvSN_
	.p2align	8
	.type	_ZN7rocprim17ROCPRIM_400000_NS6detail17trampoline_kernelINS0_14default_configENS1_35radix_sort_onesweep_config_selectorIjN6thrust23THRUST_200600_302600_NS5tupleIffNS6_9null_typeES8_S8_S8_S8_S8_S8_S8_EEEEZZNS1_29radix_sort_onesweep_iterationIS3_Lb0ENS6_6detail15normal_iteratorINS6_10device_ptrIjEEEESG_NSD_INSE_IS9_EEEESI_jNS0_19identity_decomposerENS1_16block_id_wrapperIjLb1EEEEE10hipError_tT1_PNSt15iterator_traitsISN_E10value_typeET2_T3_PNSO_IST_E10value_typeET4_T5_PSY_SZ_PNS1_23onesweep_lookback_stateEbbT6_jjT7_P12ihipStream_tbENKUlT_T0_SN_SS_E_clISG_SG_SI_SI_EEDaS16_S17_SN_SS_EUlS16_E_NS1_11comp_targetILNS1_3genE4ELNS1_11target_archE910ELNS1_3gpuE8ELNS1_3repE0EEENS1_47radix_sort_onesweep_sort_config_static_selectorELNS0_4arch9wavefront6targetE0EEEvSN_,@function
_ZN7rocprim17ROCPRIM_400000_NS6detail17trampoline_kernelINS0_14default_configENS1_35radix_sort_onesweep_config_selectorIjN6thrust23THRUST_200600_302600_NS5tupleIffNS6_9null_typeES8_S8_S8_S8_S8_S8_S8_EEEEZZNS1_29radix_sort_onesweep_iterationIS3_Lb0ENS6_6detail15normal_iteratorINS6_10device_ptrIjEEEESG_NSD_INSE_IS9_EEEESI_jNS0_19identity_decomposerENS1_16block_id_wrapperIjLb1EEEEE10hipError_tT1_PNSt15iterator_traitsISN_E10value_typeET2_T3_PNSO_IST_E10value_typeET4_T5_PSY_SZ_PNS1_23onesweep_lookback_stateEbbT6_jjT7_P12ihipStream_tbENKUlT_T0_SN_SS_E_clISG_SG_SI_SI_EEDaS16_S17_SN_SS_EUlS16_E_NS1_11comp_targetILNS1_3genE4ELNS1_11target_archE910ELNS1_3gpuE8ELNS1_3repE0EEENS1_47radix_sort_onesweep_sort_config_static_selectorELNS0_4arch9wavefront6targetE0EEEvSN_: ; @_ZN7rocprim17ROCPRIM_400000_NS6detail17trampoline_kernelINS0_14default_configENS1_35radix_sort_onesweep_config_selectorIjN6thrust23THRUST_200600_302600_NS5tupleIffNS6_9null_typeES8_S8_S8_S8_S8_S8_S8_EEEEZZNS1_29radix_sort_onesweep_iterationIS3_Lb0ENS6_6detail15normal_iteratorINS6_10device_ptrIjEEEESG_NSD_INSE_IS9_EEEESI_jNS0_19identity_decomposerENS1_16block_id_wrapperIjLb1EEEEE10hipError_tT1_PNSt15iterator_traitsISN_E10value_typeET2_T3_PNSO_IST_E10value_typeET4_T5_PSY_SZ_PNS1_23onesweep_lookback_stateEbbT6_jjT7_P12ihipStream_tbENKUlT_T0_SN_SS_E_clISG_SG_SI_SI_EEDaS16_S17_SN_SS_EUlS16_E_NS1_11comp_targetILNS1_3genE4ELNS1_11target_archE910ELNS1_3gpuE8ELNS1_3repE0EEENS1_47radix_sort_onesweep_sort_config_static_selectorELNS0_4arch9wavefront6targetE0EEEvSN_
; %bb.0:
	.section	.rodata,"a",@progbits
	.p2align	6, 0x0
	.amdhsa_kernel _ZN7rocprim17ROCPRIM_400000_NS6detail17trampoline_kernelINS0_14default_configENS1_35radix_sort_onesweep_config_selectorIjN6thrust23THRUST_200600_302600_NS5tupleIffNS6_9null_typeES8_S8_S8_S8_S8_S8_S8_EEEEZZNS1_29radix_sort_onesweep_iterationIS3_Lb0ENS6_6detail15normal_iteratorINS6_10device_ptrIjEEEESG_NSD_INSE_IS9_EEEESI_jNS0_19identity_decomposerENS1_16block_id_wrapperIjLb1EEEEE10hipError_tT1_PNSt15iterator_traitsISN_E10value_typeET2_T3_PNSO_IST_E10value_typeET4_T5_PSY_SZ_PNS1_23onesweep_lookback_stateEbbT6_jjT7_P12ihipStream_tbENKUlT_T0_SN_SS_E_clISG_SG_SI_SI_EEDaS16_S17_SN_SS_EUlS16_E_NS1_11comp_targetILNS1_3genE4ELNS1_11target_archE910ELNS1_3gpuE8ELNS1_3repE0EEENS1_47radix_sort_onesweep_sort_config_static_selectorELNS0_4arch9wavefront6targetE0EEEvSN_
		.amdhsa_group_segment_fixed_size 0
		.amdhsa_private_segment_fixed_size 0
		.amdhsa_kernarg_size 88
		.amdhsa_user_sgpr_count 2
		.amdhsa_user_sgpr_dispatch_ptr 0
		.amdhsa_user_sgpr_queue_ptr 0
		.amdhsa_user_sgpr_kernarg_segment_ptr 1
		.amdhsa_user_sgpr_dispatch_id 0
		.amdhsa_user_sgpr_kernarg_preload_length 0
		.amdhsa_user_sgpr_kernarg_preload_offset 0
		.amdhsa_user_sgpr_private_segment_size 0
		.amdhsa_wavefront_size32 1
		.amdhsa_uses_dynamic_stack 0
		.amdhsa_enable_private_segment 0
		.amdhsa_system_sgpr_workgroup_id_x 1
		.amdhsa_system_sgpr_workgroup_id_y 0
		.amdhsa_system_sgpr_workgroup_id_z 0
		.amdhsa_system_sgpr_workgroup_info 0
		.amdhsa_system_vgpr_workitem_id 0
		.amdhsa_next_free_vgpr 1
		.amdhsa_next_free_sgpr 1
		.amdhsa_named_barrier_count 0
		.amdhsa_reserve_vcc 0
		.amdhsa_float_round_mode_32 0
		.amdhsa_float_round_mode_16_64 0
		.amdhsa_float_denorm_mode_32 3
		.amdhsa_float_denorm_mode_16_64 3
		.amdhsa_fp16_overflow 0
		.amdhsa_memory_ordered 1
		.amdhsa_forward_progress 1
		.amdhsa_inst_pref_size 0
		.amdhsa_round_robin_scheduling 0
		.amdhsa_exception_fp_ieee_invalid_op 0
		.amdhsa_exception_fp_denorm_src 0
		.amdhsa_exception_fp_ieee_div_zero 0
		.amdhsa_exception_fp_ieee_overflow 0
		.amdhsa_exception_fp_ieee_underflow 0
		.amdhsa_exception_fp_ieee_inexact 0
		.amdhsa_exception_int_div_zero 0
	.end_amdhsa_kernel
	.section	.text._ZN7rocprim17ROCPRIM_400000_NS6detail17trampoline_kernelINS0_14default_configENS1_35radix_sort_onesweep_config_selectorIjN6thrust23THRUST_200600_302600_NS5tupleIffNS6_9null_typeES8_S8_S8_S8_S8_S8_S8_EEEEZZNS1_29radix_sort_onesweep_iterationIS3_Lb0ENS6_6detail15normal_iteratorINS6_10device_ptrIjEEEESG_NSD_INSE_IS9_EEEESI_jNS0_19identity_decomposerENS1_16block_id_wrapperIjLb1EEEEE10hipError_tT1_PNSt15iterator_traitsISN_E10value_typeET2_T3_PNSO_IST_E10value_typeET4_T5_PSY_SZ_PNS1_23onesweep_lookback_stateEbbT6_jjT7_P12ihipStream_tbENKUlT_T0_SN_SS_E_clISG_SG_SI_SI_EEDaS16_S17_SN_SS_EUlS16_E_NS1_11comp_targetILNS1_3genE4ELNS1_11target_archE910ELNS1_3gpuE8ELNS1_3repE0EEENS1_47radix_sort_onesweep_sort_config_static_selectorELNS0_4arch9wavefront6targetE0EEEvSN_,"axG",@progbits,_ZN7rocprim17ROCPRIM_400000_NS6detail17trampoline_kernelINS0_14default_configENS1_35radix_sort_onesweep_config_selectorIjN6thrust23THRUST_200600_302600_NS5tupleIffNS6_9null_typeES8_S8_S8_S8_S8_S8_S8_EEEEZZNS1_29radix_sort_onesweep_iterationIS3_Lb0ENS6_6detail15normal_iteratorINS6_10device_ptrIjEEEESG_NSD_INSE_IS9_EEEESI_jNS0_19identity_decomposerENS1_16block_id_wrapperIjLb1EEEEE10hipError_tT1_PNSt15iterator_traitsISN_E10value_typeET2_T3_PNSO_IST_E10value_typeET4_T5_PSY_SZ_PNS1_23onesweep_lookback_stateEbbT6_jjT7_P12ihipStream_tbENKUlT_T0_SN_SS_E_clISG_SG_SI_SI_EEDaS16_S17_SN_SS_EUlS16_E_NS1_11comp_targetILNS1_3genE4ELNS1_11target_archE910ELNS1_3gpuE8ELNS1_3repE0EEENS1_47radix_sort_onesweep_sort_config_static_selectorELNS0_4arch9wavefront6targetE0EEEvSN_,comdat
.Lfunc_end179:
	.size	_ZN7rocprim17ROCPRIM_400000_NS6detail17trampoline_kernelINS0_14default_configENS1_35radix_sort_onesweep_config_selectorIjN6thrust23THRUST_200600_302600_NS5tupleIffNS6_9null_typeES8_S8_S8_S8_S8_S8_S8_EEEEZZNS1_29radix_sort_onesweep_iterationIS3_Lb0ENS6_6detail15normal_iteratorINS6_10device_ptrIjEEEESG_NSD_INSE_IS9_EEEESI_jNS0_19identity_decomposerENS1_16block_id_wrapperIjLb1EEEEE10hipError_tT1_PNSt15iterator_traitsISN_E10value_typeET2_T3_PNSO_IST_E10value_typeET4_T5_PSY_SZ_PNS1_23onesweep_lookback_stateEbbT6_jjT7_P12ihipStream_tbENKUlT_T0_SN_SS_E_clISG_SG_SI_SI_EEDaS16_S17_SN_SS_EUlS16_E_NS1_11comp_targetILNS1_3genE4ELNS1_11target_archE910ELNS1_3gpuE8ELNS1_3repE0EEENS1_47radix_sort_onesweep_sort_config_static_selectorELNS0_4arch9wavefront6targetE0EEEvSN_, .Lfunc_end179-_ZN7rocprim17ROCPRIM_400000_NS6detail17trampoline_kernelINS0_14default_configENS1_35radix_sort_onesweep_config_selectorIjN6thrust23THRUST_200600_302600_NS5tupleIffNS6_9null_typeES8_S8_S8_S8_S8_S8_S8_EEEEZZNS1_29radix_sort_onesweep_iterationIS3_Lb0ENS6_6detail15normal_iteratorINS6_10device_ptrIjEEEESG_NSD_INSE_IS9_EEEESI_jNS0_19identity_decomposerENS1_16block_id_wrapperIjLb1EEEEE10hipError_tT1_PNSt15iterator_traitsISN_E10value_typeET2_T3_PNSO_IST_E10value_typeET4_T5_PSY_SZ_PNS1_23onesweep_lookback_stateEbbT6_jjT7_P12ihipStream_tbENKUlT_T0_SN_SS_E_clISG_SG_SI_SI_EEDaS16_S17_SN_SS_EUlS16_E_NS1_11comp_targetILNS1_3genE4ELNS1_11target_archE910ELNS1_3gpuE8ELNS1_3repE0EEENS1_47radix_sort_onesweep_sort_config_static_selectorELNS0_4arch9wavefront6targetE0EEEvSN_
                                        ; -- End function
	.set _ZN7rocprim17ROCPRIM_400000_NS6detail17trampoline_kernelINS0_14default_configENS1_35radix_sort_onesweep_config_selectorIjN6thrust23THRUST_200600_302600_NS5tupleIffNS6_9null_typeES8_S8_S8_S8_S8_S8_S8_EEEEZZNS1_29radix_sort_onesweep_iterationIS3_Lb0ENS6_6detail15normal_iteratorINS6_10device_ptrIjEEEESG_NSD_INSE_IS9_EEEESI_jNS0_19identity_decomposerENS1_16block_id_wrapperIjLb1EEEEE10hipError_tT1_PNSt15iterator_traitsISN_E10value_typeET2_T3_PNSO_IST_E10value_typeET4_T5_PSY_SZ_PNS1_23onesweep_lookback_stateEbbT6_jjT7_P12ihipStream_tbENKUlT_T0_SN_SS_E_clISG_SG_SI_SI_EEDaS16_S17_SN_SS_EUlS16_E_NS1_11comp_targetILNS1_3genE4ELNS1_11target_archE910ELNS1_3gpuE8ELNS1_3repE0EEENS1_47radix_sort_onesweep_sort_config_static_selectorELNS0_4arch9wavefront6targetE0EEEvSN_.num_vgpr, 0
	.set _ZN7rocprim17ROCPRIM_400000_NS6detail17trampoline_kernelINS0_14default_configENS1_35radix_sort_onesweep_config_selectorIjN6thrust23THRUST_200600_302600_NS5tupleIffNS6_9null_typeES8_S8_S8_S8_S8_S8_S8_EEEEZZNS1_29radix_sort_onesweep_iterationIS3_Lb0ENS6_6detail15normal_iteratorINS6_10device_ptrIjEEEESG_NSD_INSE_IS9_EEEESI_jNS0_19identity_decomposerENS1_16block_id_wrapperIjLb1EEEEE10hipError_tT1_PNSt15iterator_traitsISN_E10value_typeET2_T3_PNSO_IST_E10value_typeET4_T5_PSY_SZ_PNS1_23onesweep_lookback_stateEbbT6_jjT7_P12ihipStream_tbENKUlT_T0_SN_SS_E_clISG_SG_SI_SI_EEDaS16_S17_SN_SS_EUlS16_E_NS1_11comp_targetILNS1_3genE4ELNS1_11target_archE910ELNS1_3gpuE8ELNS1_3repE0EEENS1_47radix_sort_onesweep_sort_config_static_selectorELNS0_4arch9wavefront6targetE0EEEvSN_.num_agpr, 0
	.set _ZN7rocprim17ROCPRIM_400000_NS6detail17trampoline_kernelINS0_14default_configENS1_35radix_sort_onesweep_config_selectorIjN6thrust23THRUST_200600_302600_NS5tupleIffNS6_9null_typeES8_S8_S8_S8_S8_S8_S8_EEEEZZNS1_29radix_sort_onesweep_iterationIS3_Lb0ENS6_6detail15normal_iteratorINS6_10device_ptrIjEEEESG_NSD_INSE_IS9_EEEESI_jNS0_19identity_decomposerENS1_16block_id_wrapperIjLb1EEEEE10hipError_tT1_PNSt15iterator_traitsISN_E10value_typeET2_T3_PNSO_IST_E10value_typeET4_T5_PSY_SZ_PNS1_23onesweep_lookback_stateEbbT6_jjT7_P12ihipStream_tbENKUlT_T0_SN_SS_E_clISG_SG_SI_SI_EEDaS16_S17_SN_SS_EUlS16_E_NS1_11comp_targetILNS1_3genE4ELNS1_11target_archE910ELNS1_3gpuE8ELNS1_3repE0EEENS1_47radix_sort_onesweep_sort_config_static_selectorELNS0_4arch9wavefront6targetE0EEEvSN_.numbered_sgpr, 0
	.set _ZN7rocprim17ROCPRIM_400000_NS6detail17trampoline_kernelINS0_14default_configENS1_35radix_sort_onesweep_config_selectorIjN6thrust23THRUST_200600_302600_NS5tupleIffNS6_9null_typeES8_S8_S8_S8_S8_S8_S8_EEEEZZNS1_29radix_sort_onesweep_iterationIS3_Lb0ENS6_6detail15normal_iteratorINS6_10device_ptrIjEEEESG_NSD_INSE_IS9_EEEESI_jNS0_19identity_decomposerENS1_16block_id_wrapperIjLb1EEEEE10hipError_tT1_PNSt15iterator_traitsISN_E10value_typeET2_T3_PNSO_IST_E10value_typeET4_T5_PSY_SZ_PNS1_23onesweep_lookback_stateEbbT6_jjT7_P12ihipStream_tbENKUlT_T0_SN_SS_E_clISG_SG_SI_SI_EEDaS16_S17_SN_SS_EUlS16_E_NS1_11comp_targetILNS1_3genE4ELNS1_11target_archE910ELNS1_3gpuE8ELNS1_3repE0EEENS1_47radix_sort_onesweep_sort_config_static_selectorELNS0_4arch9wavefront6targetE0EEEvSN_.num_named_barrier, 0
	.set _ZN7rocprim17ROCPRIM_400000_NS6detail17trampoline_kernelINS0_14default_configENS1_35radix_sort_onesweep_config_selectorIjN6thrust23THRUST_200600_302600_NS5tupleIffNS6_9null_typeES8_S8_S8_S8_S8_S8_S8_EEEEZZNS1_29radix_sort_onesweep_iterationIS3_Lb0ENS6_6detail15normal_iteratorINS6_10device_ptrIjEEEESG_NSD_INSE_IS9_EEEESI_jNS0_19identity_decomposerENS1_16block_id_wrapperIjLb1EEEEE10hipError_tT1_PNSt15iterator_traitsISN_E10value_typeET2_T3_PNSO_IST_E10value_typeET4_T5_PSY_SZ_PNS1_23onesweep_lookback_stateEbbT6_jjT7_P12ihipStream_tbENKUlT_T0_SN_SS_E_clISG_SG_SI_SI_EEDaS16_S17_SN_SS_EUlS16_E_NS1_11comp_targetILNS1_3genE4ELNS1_11target_archE910ELNS1_3gpuE8ELNS1_3repE0EEENS1_47radix_sort_onesweep_sort_config_static_selectorELNS0_4arch9wavefront6targetE0EEEvSN_.private_seg_size, 0
	.set _ZN7rocprim17ROCPRIM_400000_NS6detail17trampoline_kernelINS0_14default_configENS1_35radix_sort_onesweep_config_selectorIjN6thrust23THRUST_200600_302600_NS5tupleIffNS6_9null_typeES8_S8_S8_S8_S8_S8_S8_EEEEZZNS1_29radix_sort_onesweep_iterationIS3_Lb0ENS6_6detail15normal_iteratorINS6_10device_ptrIjEEEESG_NSD_INSE_IS9_EEEESI_jNS0_19identity_decomposerENS1_16block_id_wrapperIjLb1EEEEE10hipError_tT1_PNSt15iterator_traitsISN_E10value_typeET2_T3_PNSO_IST_E10value_typeET4_T5_PSY_SZ_PNS1_23onesweep_lookback_stateEbbT6_jjT7_P12ihipStream_tbENKUlT_T0_SN_SS_E_clISG_SG_SI_SI_EEDaS16_S17_SN_SS_EUlS16_E_NS1_11comp_targetILNS1_3genE4ELNS1_11target_archE910ELNS1_3gpuE8ELNS1_3repE0EEENS1_47radix_sort_onesweep_sort_config_static_selectorELNS0_4arch9wavefront6targetE0EEEvSN_.uses_vcc, 0
	.set _ZN7rocprim17ROCPRIM_400000_NS6detail17trampoline_kernelINS0_14default_configENS1_35radix_sort_onesweep_config_selectorIjN6thrust23THRUST_200600_302600_NS5tupleIffNS6_9null_typeES8_S8_S8_S8_S8_S8_S8_EEEEZZNS1_29radix_sort_onesweep_iterationIS3_Lb0ENS6_6detail15normal_iteratorINS6_10device_ptrIjEEEESG_NSD_INSE_IS9_EEEESI_jNS0_19identity_decomposerENS1_16block_id_wrapperIjLb1EEEEE10hipError_tT1_PNSt15iterator_traitsISN_E10value_typeET2_T3_PNSO_IST_E10value_typeET4_T5_PSY_SZ_PNS1_23onesweep_lookback_stateEbbT6_jjT7_P12ihipStream_tbENKUlT_T0_SN_SS_E_clISG_SG_SI_SI_EEDaS16_S17_SN_SS_EUlS16_E_NS1_11comp_targetILNS1_3genE4ELNS1_11target_archE910ELNS1_3gpuE8ELNS1_3repE0EEENS1_47radix_sort_onesweep_sort_config_static_selectorELNS0_4arch9wavefront6targetE0EEEvSN_.uses_flat_scratch, 0
	.set _ZN7rocprim17ROCPRIM_400000_NS6detail17trampoline_kernelINS0_14default_configENS1_35radix_sort_onesweep_config_selectorIjN6thrust23THRUST_200600_302600_NS5tupleIffNS6_9null_typeES8_S8_S8_S8_S8_S8_S8_EEEEZZNS1_29radix_sort_onesweep_iterationIS3_Lb0ENS6_6detail15normal_iteratorINS6_10device_ptrIjEEEESG_NSD_INSE_IS9_EEEESI_jNS0_19identity_decomposerENS1_16block_id_wrapperIjLb1EEEEE10hipError_tT1_PNSt15iterator_traitsISN_E10value_typeET2_T3_PNSO_IST_E10value_typeET4_T5_PSY_SZ_PNS1_23onesweep_lookback_stateEbbT6_jjT7_P12ihipStream_tbENKUlT_T0_SN_SS_E_clISG_SG_SI_SI_EEDaS16_S17_SN_SS_EUlS16_E_NS1_11comp_targetILNS1_3genE4ELNS1_11target_archE910ELNS1_3gpuE8ELNS1_3repE0EEENS1_47radix_sort_onesweep_sort_config_static_selectorELNS0_4arch9wavefront6targetE0EEEvSN_.has_dyn_sized_stack, 0
	.set _ZN7rocprim17ROCPRIM_400000_NS6detail17trampoline_kernelINS0_14default_configENS1_35radix_sort_onesweep_config_selectorIjN6thrust23THRUST_200600_302600_NS5tupleIffNS6_9null_typeES8_S8_S8_S8_S8_S8_S8_EEEEZZNS1_29radix_sort_onesweep_iterationIS3_Lb0ENS6_6detail15normal_iteratorINS6_10device_ptrIjEEEESG_NSD_INSE_IS9_EEEESI_jNS0_19identity_decomposerENS1_16block_id_wrapperIjLb1EEEEE10hipError_tT1_PNSt15iterator_traitsISN_E10value_typeET2_T3_PNSO_IST_E10value_typeET4_T5_PSY_SZ_PNS1_23onesweep_lookback_stateEbbT6_jjT7_P12ihipStream_tbENKUlT_T0_SN_SS_E_clISG_SG_SI_SI_EEDaS16_S17_SN_SS_EUlS16_E_NS1_11comp_targetILNS1_3genE4ELNS1_11target_archE910ELNS1_3gpuE8ELNS1_3repE0EEENS1_47radix_sort_onesweep_sort_config_static_selectorELNS0_4arch9wavefront6targetE0EEEvSN_.has_recursion, 0
	.set _ZN7rocprim17ROCPRIM_400000_NS6detail17trampoline_kernelINS0_14default_configENS1_35radix_sort_onesweep_config_selectorIjN6thrust23THRUST_200600_302600_NS5tupleIffNS6_9null_typeES8_S8_S8_S8_S8_S8_S8_EEEEZZNS1_29radix_sort_onesweep_iterationIS3_Lb0ENS6_6detail15normal_iteratorINS6_10device_ptrIjEEEESG_NSD_INSE_IS9_EEEESI_jNS0_19identity_decomposerENS1_16block_id_wrapperIjLb1EEEEE10hipError_tT1_PNSt15iterator_traitsISN_E10value_typeET2_T3_PNSO_IST_E10value_typeET4_T5_PSY_SZ_PNS1_23onesweep_lookback_stateEbbT6_jjT7_P12ihipStream_tbENKUlT_T0_SN_SS_E_clISG_SG_SI_SI_EEDaS16_S17_SN_SS_EUlS16_E_NS1_11comp_targetILNS1_3genE4ELNS1_11target_archE910ELNS1_3gpuE8ELNS1_3repE0EEENS1_47radix_sort_onesweep_sort_config_static_selectorELNS0_4arch9wavefront6targetE0EEEvSN_.has_indirect_call, 0
	.section	.AMDGPU.csdata,"",@progbits
; Kernel info:
; codeLenInByte = 0
; TotalNumSgprs: 0
; NumVgprs: 0
; ScratchSize: 0
; MemoryBound: 0
; FloatMode: 240
; IeeeMode: 1
; LDSByteSize: 0 bytes/workgroup (compile time only)
; SGPRBlocks: 0
; VGPRBlocks: 0
; NumSGPRsForWavesPerEU: 1
; NumVGPRsForWavesPerEU: 1
; NamedBarCnt: 0
; Occupancy: 16
; WaveLimiterHint : 0
; COMPUTE_PGM_RSRC2:SCRATCH_EN: 0
; COMPUTE_PGM_RSRC2:USER_SGPR: 2
; COMPUTE_PGM_RSRC2:TRAP_HANDLER: 0
; COMPUTE_PGM_RSRC2:TGID_X_EN: 1
; COMPUTE_PGM_RSRC2:TGID_Y_EN: 0
; COMPUTE_PGM_RSRC2:TGID_Z_EN: 0
; COMPUTE_PGM_RSRC2:TIDIG_COMP_CNT: 0
	.section	.text._ZN7rocprim17ROCPRIM_400000_NS6detail17trampoline_kernelINS0_14default_configENS1_35radix_sort_onesweep_config_selectorIjN6thrust23THRUST_200600_302600_NS5tupleIffNS6_9null_typeES8_S8_S8_S8_S8_S8_S8_EEEEZZNS1_29radix_sort_onesweep_iterationIS3_Lb0ENS6_6detail15normal_iteratorINS6_10device_ptrIjEEEESG_NSD_INSE_IS9_EEEESI_jNS0_19identity_decomposerENS1_16block_id_wrapperIjLb1EEEEE10hipError_tT1_PNSt15iterator_traitsISN_E10value_typeET2_T3_PNSO_IST_E10value_typeET4_T5_PSY_SZ_PNS1_23onesweep_lookback_stateEbbT6_jjT7_P12ihipStream_tbENKUlT_T0_SN_SS_E_clISG_SG_SI_SI_EEDaS16_S17_SN_SS_EUlS16_E_NS1_11comp_targetILNS1_3genE3ELNS1_11target_archE908ELNS1_3gpuE7ELNS1_3repE0EEENS1_47radix_sort_onesweep_sort_config_static_selectorELNS0_4arch9wavefront6targetE0EEEvSN_,"axG",@progbits,_ZN7rocprim17ROCPRIM_400000_NS6detail17trampoline_kernelINS0_14default_configENS1_35radix_sort_onesweep_config_selectorIjN6thrust23THRUST_200600_302600_NS5tupleIffNS6_9null_typeES8_S8_S8_S8_S8_S8_S8_EEEEZZNS1_29radix_sort_onesweep_iterationIS3_Lb0ENS6_6detail15normal_iteratorINS6_10device_ptrIjEEEESG_NSD_INSE_IS9_EEEESI_jNS0_19identity_decomposerENS1_16block_id_wrapperIjLb1EEEEE10hipError_tT1_PNSt15iterator_traitsISN_E10value_typeET2_T3_PNSO_IST_E10value_typeET4_T5_PSY_SZ_PNS1_23onesweep_lookback_stateEbbT6_jjT7_P12ihipStream_tbENKUlT_T0_SN_SS_E_clISG_SG_SI_SI_EEDaS16_S17_SN_SS_EUlS16_E_NS1_11comp_targetILNS1_3genE3ELNS1_11target_archE908ELNS1_3gpuE7ELNS1_3repE0EEENS1_47radix_sort_onesweep_sort_config_static_selectorELNS0_4arch9wavefront6targetE0EEEvSN_,comdat
	.protected	_ZN7rocprim17ROCPRIM_400000_NS6detail17trampoline_kernelINS0_14default_configENS1_35radix_sort_onesweep_config_selectorIjN6thrust23THRUST_200600_302600_NS5tupleIffNS6_9null_typeES8_S8_S8_S8_S8_S8_S8_EEEEZZNS1_29radix_sort_onesweep_iterationIS3_Lb0ENS6_6detail15normal_iteratorINS6_10device_ptrIjEEEESG_NSD_INSE_IS9_EEEESI_jNS0_19identity_decomposerENS1_16block_id_wrapperIjLb1EEEEE10hipError_tT1_PNSt15iterator_traitsISN_E10value_typeET2_T3_PNSO_IST_E10value_typeET4_T5_PSY_SZ_PNS1_23onesweep_lookback_stateEbbT6_jjT7_P12ihipStream_tbENKUlT_T0_SN_SS_E_clISG_SG_SI_SI_EEDaS16_S17_SN_SS_EUlS16_E_NS1_11comp_targetILNS1_3genE3ELNS1_11target_archE908ELNS1_3gpuE7ELNS1_3repE0EEENS1_47radix_sort_onesweep_sort_config_static_selectorELNS0_4arch9wavefront6targetE0EEEvSN_ ; -- Begin function _ZN7rocprim17ROCPRIM_400000_NS6detail17trampoline_kernelINS0_14default_configENS1_35radix_sort_onesweep_config_selectorIjN6thrust23THRUST_200600_302600_NS5tupleIffNS6_9null_typeES8_S8_S8_S8_S8_S8_S8_EEEEZZNS1_29radix_sort_onesweep_iterationIS3_Lb0ENS6_6detail15normal_iteratorINS6_10device_ptrIjEEEESG_NSD_INSE_IS9_EEEESI_jNS0_19identity_decomposerENS1_16block_id_wrapperIjLb1EEEEE10hipError_tT1_PNSt15iterator_traitsISN_E10value_typeET2_T3_PNSO_IST_E10value_typeET4_T5_PSY_SZ_PNS1_23onesweep_lookback_stateEbbT6_jjT7_P12ihipStream_tbENKUlT_T0_SN_SS_E_clISG_SG_SI_SI_EEDaS16_S17_SN_SS_EUlS16_E_NS1_11comp_targetILNS1_3genE3ELNS1_11target_archE908ELNS1_3gpuE7ELNS1_3repE0EEENS1_47radix_sort_onesweep_sort_config_static_selectorELNS0_4arch9wavefront6targetE0EEEvSN_
	.globl	_ZN7rocprim17ROCPRIM_400000_NS6detail17trampoline_kernelINS0_14default_configENS1_35radix_sort_onesweep_config_selectorIjN6thrust23THRUST_200600_302600_NS5tupleIffNS6_9null_typeES8_S8_S8_S8_S8_S8_S8_EEEEZZNS1_29radix_sort_onesweep_iterationIS3_Lb0ENS6_6detail15normal_iteratorINS6_10device_ptrIjEEEESG_NSD_INSE_IS9_EEEESI_jNS0_19identity_decomposerENS1_16block_id_wrapperIjLb1EEEEE10hipError_tT1_PNSt15iterator_traitsISN_E10value_typeET2_T3_PNSO_IST_E10value_typeET4_T5_PSY_SZ_PNS1_23onesweep_lookback_stateEbbT6_jjT7_P12ihipStream_tbENKUlT_T0_SN_SS_E_clISG_SG_SI_SI_EEDaS16_S17_SN_SS_EUlS16_E_NS1_11comp_targetILNS1_3genE3ELNS1_11target_archE908ELNS1_3gpuE7ELNS1_3repE0EEENS1_47radix_sort_onesweep_sort_config_static_selectorELNS0_4arch9wavefront6targetE0EEEvSN_
	.p2align	8
	.type	_ZN7rocprim17ROCPRIM_400000_NS6detail17trampoline_kernelINS0_14default_configENS1_35radix_sort_onesweep_config_selectorIjN6thrust23THRUST_200600_302600_NS5tupleIffNS6_9null_typeES8_S8_S8_S8_S8_S8_S8_EEEEZZNS1_29radix_sort_onesweep_iterationIS3_Lb0ENS6_6detail15normal_iteratorINS6_10device_ptrIjEEEESG_NSD_INSE_IS9_EEEESI_jNS0_19identity_decomposerENS1_16block_id_wrapperIjLb1EEEEE10hipError_tT1_PNSt15iterator_traitsISN_E10value_typeET2_T3_PNSO_IST_E10value_typeET4_T5_PSY_SZ_PNS1_23onesweep_lookback_stateEbbT6_jjT7_P12ihipStream_tbENKUlT_T0_SN_SS_E_clISG_SG_SI_SI_EEDaS16_S17_SN_SS_EUlS16_E_NS1_11comp_targetILNS1_3genE3ELNS1_11target_archE908ELNS1_3gpuE7ELNS1_3repE0EEENS1_47radix_sort_onesweep_sort_config_static_selectorELNS0_4arch9wavefront6targetE0EEEvSN_,@function
_ZN7rocprim17ROCPRIM_400000_NS6detail17trampoline_kernelINS0_14default_configENS1_35radix_sort_onesweep_config_selectorIjN6thrust23THRUST_200600_302600_NS5tupleIffNS6_9null_typeES8_S8_S8_S8_S8_S8_S8_EEEEZZNS1_29radix_sort_onesweep_iterationIS3_Lb0ENS6_6detail15normal_iteratorINS6_10device_ptrIjEEEESG_NSD_INSE_IS9_EEEESI_jNS0_19identity_decomposerENS1_16block_id_wrapperIjLb1EEEEE10hipError_tT1_PNSt15iterator_traitsISN_E10value_typeET2_T3_PNSO_IST_E10value_typeET4_T5_PSY_SZ_PNS1_23onesweep_lookback_stateEbbT6_jjT7_P12ihipStream_tbENKUlT_T0_SN_SS_E_clISG_SG_SI_SI_EEDaS16_S17_SN_SS_EUlS16_E_NS1_11comp_targetILNS1_3genE3ELNS1_11target_archE908ELNS1_3gpuE7ELNS1_3repE0EEENS1_47radix_sort_onesweep_sort_config_static_selectorELNS0_4arch9wavefront6targetE0EEEvSN_: ; @_ZN7rocprim17ROCPRIM_400000_NS6detail17trampoline_kernelINS0_14default_configENS1_35radix_sort_onesweep_config_selectorIjN6thrust23THRUST_200600_302600_NS5tupleIffNS6_9null_typeES8_S8_S8_S8_S8_S8_S8_EEEEZZNS1_29radix_sort_onesweep_iterationIS3_Lb0ENS6_6detail15normal_iteratorINS6_10device_ptrIjEEEESG_NSD_INSE_IS9_EEEESI_jNS0_19identity_decomposerENS1_16block_id_wrapperIjLb1EEEEE10hipError_tT1_PNSt15iterator_traitsISN_E10value_typeET2_T3_PNSO_IST_E10value_typeET4_T5_PSY_SZ_PNS1_23onesweep_lookback_stateEbbT6_jjT7_P12ihipStream_tbENKUlT_T0_SN_SS_E_clISG_SG_SI_SI_EEDaS16_S17_SN_SS_EUlS16_E_NS1_11comp_targetILNS1_3genE3ELNS1_11target_archE908ELNS1_3gpuE7ELNS1_3repE0EEENS1_47radix_sort_onesweep_sort_config_static_selectorELNS0_4arch9wavefront6targetE0EEEvSN_
; %bb.0:
	.section	.rodata,"a",@progbits
	.p2align	6, 0x0
	.amdhsa_kernel _ZN7rocprim17ROCPRIM_400000_NS6detail17trampoline_kernelINS0_14default_configENS1_35radix_sort_onesweep_config_selectorIjN6thrust23THRUST_200600_302600_NS5tupleIffNS6_9null_typeES8_S8_S8_S8_S8_S8_S8_EEEEZZNS1_29radix_sort_onesweep_iterationIS3_Lb0ENS6_6detail15normal_iteratorINS6_10device_ptrIjEEEESG_NSD_INSE_IS9_EEEESI_jNS0_19identity_decomposerENS1_16block_id_wrapperIjLb1EEEEE10hipError_tT1_PNSt15iterator_traitsISN_E10value_typeET2_T3_PNSO_IST_E10value_typeET4_T5_PSY_SZ_PNS1_23onesweep_lookback_stateEbbT6_jjT7_P12ihipStream_tbENKUlT_T0_SN_SS_E_clISG_SG_SI_SI_EEDaS16_S17_SN_SS_EUlS16_E_NS1_11comp_targetILNS1_3genE3ELNS1_11target_archE908ELNS1_3gpuE7ELNS1_3repE0EEENS1_47radix_sort_onesweep_sort_config_static_selectorELNS0_4arch9wavefront6targetE0EEEvSN_
		.amdhsa_group_segment_fixed_size 0
		.amdhsa_private_segment_fixed_size 0
		.amdhsa_kernarg_size 88
		.amdhsa_user_sgpr_count 2
		.amdhsa_user_sgpr_dispatch_ptr 0
		.amdhsa_user_sgpr_queue_ptr 0
		.amdhsa_user_sgpr_kernarg_segment_ptr 1
		.amdhsa_user_sgpr_dispatch_id 0
		.amdhsa_user_sgpr_kernarg_preload_length 0
		.amdhsa_user_sgpr_kernarg_preload_offset 0
		.amdhsa_user_sgpr_private_segment_size 0
		.amdhsa_wavefront_size32 1
		.amdhsa_uses_dynamic_stack 0
		.amdhsa_enable_private_segment 0
		.amdhsa_system_sgpr_workgroup_id_x 1
		.amdhsa_system_sgpr_workgroup_id_y 0
		.amdhsa_system_sgpr_workgroup_id_z 0
		.amdhsa_system_sgpr_workgroup_info 0
		.amdhsa_system_vgpr_workitem_id 0
		.amdhsa_next_free_vgpr 1
		.amdhsa_next_free_sgpr 1
		.amdhsa_named_barrier_count 0
		.amdhsa_reserve_vcc 0
		.amdhsa_float_round_mode_32 0
		.amdhsa_float_round_mode_16_64 0
		.amdhsa_float_denorm_mode_32 3
		.amdhsa_float_denorm_mode_16_64 3
		.amdhsa_fp16_overflow 0
		.amdhsa_memory_ordered 1
		.amdhsa_forward_progress 1
		.amdhsa_inst_pref_size 0
		.amdhsa_round_robin_scheduling 0
		.amdhsa_exception_fp_ieee_invalid_op 0
		.amdhsa_exception_fp_denorm_src 0
		.amdhsa_exception_fp_ieee_div_zero 0
		.amdhsa_exception_fp_ieee_overflow 0
		.amdhsa_exception_fp_ieee_underflow 0
		.amdhsa_exception_fp_ieee_inexact 0
		.amdhsa_exception_int_div_zero 0
	.end_amdhsa_kernel
	.section	.text._ZN7rocprim17ROCPRIM_400000_NS6detail17trampoline_kernelINS0_14default_configENS1_35radix_sort_onesweep_config_selectorIjN6thrust23THRUST_200600_302600_NS5tupleIffNS6_9null_typeES8_S8_S8_S8_S8_S8_S8_EEEEZZNS1_29radix_sort_onesweep_iterationIS3_Lb0ENS6_6detail15normal_iteratorINS6_10device_ptrIjEEEESG_NSD_INSE_IS9_EEEESI_jNS0_19identity_decomposerENS1_16block_id_wrapperIjLb1EEEEE10hipError_tT1_PNSt15iterator_traitsISN_E10value_typeET2_T3_PNSO_IST_E10value_typeET4_T5_PSY_SZ_PNS1_23onesweep_lookback_stateEbbT6_jjT7_P12ihipStream_tbENKUlT_T0_SN_SS_E_clISG_SG_SI_SI_EEDaS16_S17_SN_SS_EUlS16_E_NS1_11comp_targetILNS1_3genE3ELNS1_11target_archE908ELNS1_3gpuE7ELNS1_3repE0EEENS1_47radix_sort_onesweep_sort_config_static_selectorELNS0_4arch9wavefront6targetE0EEEvSN_,"axG",@progbits,_ZN7rocprim17ROCPRIM_400000_NS6detail17trampoline_kernelINS0_14default_configENS1_35radix_sort_onesweep_config_selectorIjN6thrust23THRUST_200600_302600_NS5tupleIffNS6_9null_typeES8_S8_S8_S8_S8_S8_S8_EEEEZZNS1_29radix_sort_onesweep_iterationIS3_Lb0ENS6_6detail15normal_iteratorINS6_10device_ptrIjEEEESG_NSD_INSE_IS9_EEEESI_jNS0_19identity_decomposerENS1_16block_id_wrapperIjLb1EEEEE10hipError_tT1_PNSt15iterator_traitsISN_E10value_typeET2_T3_PNSO_IST_E10value_typeET4_T5_PSY_SZ_PNS1_23onesweep_lookback_stateEbbT6_jjT7_P12ihipStream_tbENKUlT_T0_SN_SS_E_clISG_SG_SI_SI_EEDaS16_S17_SN_SS_EUlS16_E_NS1_11comp_targetILNS1_3genE3ELNS1_11target_archE908ELNS1_3gpuE7ELNS1_3repE0EEENS1_47radix_sort_onesweep_sort_config_static_selectorELNS0_4arch9wavefront6targetE0EEEvSN_,comdat
.Lfunc_end180:
	.size	_ZN7rocprim17ROCPRIM_400000_NS6detail17trampoline_kernelINS0_14default_configENS1_35radix_sort_onesweep_config_selectorIjN6thrust23THRUST_200600_302600_NS5tupleIffNS6_9null_typeES8_S8_S8_S8_S8_S8_S8_EEEEZZNS1_29radix_sort_onesweep_iterationIS3_Lb0ENS6_6detail15normal_iteratorINS6_10device_ptrIjEEEESG_NSD_INSE_IS9_EEEESI_jNS0_19identity_decomposerENS1_16block_id_wrapperIjLb1EEEEE10hipError_tT1_PNSt15iterator_traitsISN_E10value_typeET2_T3_PNSO_IST_E10value_typeET4_T5_PSY_SZ_PNS1_23onesweep_lookback_stateEbbT6_jjT7_P12ihipStream_tbENKUlT_T0_SN_SS_E_clISG_SG_SI_SI_EEDaS16_S17_SN_SS_EUlS16_E_NS1_11comp_targetILNS1_3genE3ELNS1_11target_archE908ELNS1_3gpuE7ELNS1_3repE0EEENS1_47radix_sort_onesweep_sort_config_static_selectorELNS0_4arch9wavefront6targetE0EEEvSN_, .Lfunc_end180-_ZN7rocprim17ROCPRIM_400000_NS6detail17trampoline_kernelINS0_14default_configENS1_35radix_sort_onesweep_config_selectorIjN6thrust23THRUST_200600_302600_NS5tupleIffNS6_9null_typeES8_S8_S8_S8_S8_S8_S8_EEEEZZNS1_29radix_sort_onesweep_iterationIS3_Lb0ENS6_6detail15normal_iteratorINS6_10device_ptrIjEEEESG_NSD_INSE_IS9_EEEESI_jNS0_19identity_decomposerENS1_16block_id_wrapperIjLb1EEEEE10hipError_tT1_PNSt15iterator_traitsISN_E10value_typeET2_T3_PNSO_IST_E10value_typeET4_T5_PSY_SZ_PNS1_23onesweep_lookback_stateEbbT6_jjT7_P12ihipStream_tbENKUlT_T0_SN_SS_E_clISG_SG_SI_SI_EEDaS16_S17_SN_SS_EUlS16_E_NS1_11comp_targetILNS1_3genE3ELNS1_11target_archE908ELNS1_3gpuE7ELNS1_3repE0EEENS1_47radix_sort_onesweep_sort_config_static_selectorELNS0_4arch9wavefront6targetE0EEEvSN_
                                        ; -- End function
	.set _ZN7rocprim17ROCPRIM_400000_NS6detail17trampoline_kernelINS0_14default_configENS1_35radix_sort_onesweep_config_selectorIjN6thrust23THRUST_200600_302600_NS5tupleIffNS6_9null_typeES8_S8_S8_S8_S8_S8_S8_EEEEZZNS1_29radix_sort_onesweep_iterationIS3_Lb0ENS6_6detail15normal_iteratorINS6_10device_ptrIjEEEESG_NSD_INSE_IS9_EEEESI_jNS0_19identity_decomposerENS1_16block_id_wrapperIjLb1EEEEE10hipError_tT1_PNSt15iterator_traitsISN_E10value_typeET2_T3_PNSO_IST_E10value_typeET4_T5_PSY_SZ_PNS1_23onesweep_lookback_stateEbbT6_jjT7_P12ihipStream_tbENKUlT_T0_SN_SS_E_clISG_SG_SI_SI_EEDaS16_S17_SN_SS_EUlS16_E_NS1_11comp_targetILNS1_3genE3ELNS1_11target_archE908ELNS1_3gpuE7ELNS1_3repE0EEENS1_47radix_sort_onesweep_sort_config_static_selectorELNS0_4arch9wavefront6targetE0EEEvSN_.num_vgpr, 0
	.set _ZN7rocprim17ROCPRIM_400000_NS6detail17trampoline_kernelINS0_14default_configENS1_35radix_sort_onesweep_config_selectorIjN6thrust23THRUST_200600_302600_NS5tupleIffNS6_9null_typeES8_S8_S8_S8_S8_S8_S8_EEEEZZNS1_29radix_sort_onesweep_iterationIS3_Lb0ENS6_6detail15normal_iteratorINS6_10device_ptrIjEEEESG_NSD_INSE_IS9_EEEESI_jNS0_19identity_decomposerENS1_16block_id_wrapperIjLb1EEEEE10hipError_tT1_PNSt15iterator_traitsISN_E10value_typeET2_T3_PNSO_IST_E10value_typeET4_T5_PSY_SZ_PNS1_23onesweep_lookback_stateEbbT6_jjT7_P12ihipStream_tbENKUlT_T0_SN_SS_E_clISG_SG_SI_SI_EEDaS16_S17_SN_SS_EUlS16_E_NS1_11comp_targetILNS1_3genE3ELNS1_11target_archE908ELNS1_3gpuE7ELNS1_3repE0EEENS1_47radix_sort_onesweep_sort_config_static_selectorELNS0_4arch9wavefront6targetE0EEEvSN_.num_agpr, 0
	.set _ZN7rocprim17ROCPRIM_400000_NS6detail17trampoline_kernelINS0_14default_configENS1_35radix_sort_onesweep_config_selectorIjN6thrust23THRUST_200600_302600_NS5tupleIffNS6_9null_typeES8_S8_S8_S8_S8_S8_S8_EEEEZZNS1_29radix_sort_onesweep_iterationIS3_Lb0ENS6_6detail15normal_iteratorINS6_10device_ptrIjEEEESG_NSD_INSE_IS9_EEEESI_jNS0_19identity_decomposerENS1_16block_id_wrapperIjLb1EEEEE10hipError_tT1_PNSt15iterator_traitsISN_E10value_typeET2_T3_PNSO_IST_E10value_typeET4_T5_PSY_SZ_PNS1_23onesweep_lookback_stateEbbT6_jjT7_P12ihipStream_tbENKUlT_T0_SN_SS_E_clISG_SG_SI_SI_EEDaS16_S17_SN_SS_EUlS16_E_NS1_11comp_targetILNS1_3genE3ELNS1_11target_archE908ELNS1_3gpuE7ELNS1_3repE0EEENS1_47radix_sort_onesweep_sort_config_static_selectorELNS0_4arch9wavefront6targetE0EEEvSN_.numbered_sgpr, 0
	.set _ZN7rocprim17ROCPRIM_400000_NS6detail17trampoline_kernelINS0_14default_configENS1_35radix_sort_onesweep_config_selectorIjN6thrust23THRUST_200600_302600_NS5tupleIffNS6_9null_typeES8_S8_S8_S8_S8_S8_S8_EEEEZZNS1_29radix_sort_onesweep_iterationIS3_Lb0ENS6_6detail15normal_iteratorINS6_10device_ptrIjEEEESG_NSD_INSE_IS9_EEEESI_jNS0_19identity_decomposerENS1_16block_id_wrapperIjLb1EEEEE10hipError_tT1_PNSt15iterator_traitsISN_E10value_typeET2_T3_PNSO_IST_E10value_typeET4_T5_PSY_SZ_PNS1_23onesweep_lookback_stateEbbT6_jjT7_P12ihipStream_tbENKUlT_T0_SN_SS_E_clISG_SG_SI_SI_EEDaS16_S17_SN_SS_EUlS16_E_NS1_11comp_targetILNS1_3genE3ELNS1_11target_archE908ELNS1_3gpuE7ELNS1_3repE0EEENS1_47radix_sort_onesweep_sort_config_static_selectorELNS0_4arch9wavefront6targetE0EEEvSN_.num_named_barrier, 0
	.set _ZN7rocprim17ROCPRIM_400000_NS6detail17trampoline_kernelINS0_14default_configENS1_35radix_sort_onesweep_config_selectorIjN6thrust23THRUST_200600_302600_NS5tupleIffNS6_9null_typeES8_S8_S8_S8_S8_S8_S8_EEEEZZNS1_29radix_sort_onesweep_iterationIS3_Lb0ENS6_6detail15normal_iteratorINS6_10device_ptrIjEEEESG_NSD_INSE_IS9_EEEESI_jNS0_19identity_decomposerENS1_16block_id_wrapperIjLb1EEEEE10hipError_tT1_PNSt15iterator_traitsISN_E10value_typeET2_T3_PNSO_IST_E10value_typeET4_T5_PSY_SZ_PNS1_23onesweep_lookback_stateEbbT6_jjT7_P12ihipStream_tbENKUlT_T0_SN_SS_E_clISG_SG_SI_SI_EEDaS16_S17_SN_SS_EUlS16_E_NS1_11comp_targetILNS1_3genE3ELNS1_11target_archE908ELNS1_3gpuE7ELNS1_3repE0EEENS1_47radix_sort_onesweep_sort_config_static_selectorELNS0_4arch9wavefront6targetE0EEEvSN_.private_seg_size, 0
	.set _ZN7rocprim17ROCPRIM_400000_NS6detail17trampoline_kernelINS0_14default_configENS1_35radix_sort_onesweep_config_selectorIjN6thrust23THRUST_200600_302600_NS5tupleIffNS6_9null_typeES8_S8_S8_S8_S8_S8_S8_EEEEZZNS1_29radix_sort_onesweep_iterationIS3_Lb0ENS6_6detail15normal_iteratorINS6_10device_ptrIjEEEESG_NSD_INSE_IS9_EEEESI_jNS0_19identity_decomposerENS1_16block_id_wrapperIjLb1EEEEE10hipError_tT1_PNSt15iterator_traitsISN_E10value_typeET2_T3_PNSO_IST_E10value_typeET4_T5_PSY_SZ_PNS1_23onesweep_lookback_stateEbbT6_jjT7_P12ihipStream_tbENKUlT_T0_SN_SS_E_clISG_SG_SI_SI_EEDaS16_S17_SN_SS_EUlS16_E_NS1_11comp_targetILNS1_3genE3ELNS1_11target_archE908ELNS1_3gpuE7ELNS1_3repE0EEENS1_47radix_sort_onesweep_sort_config_static_selectorELNS0_4arch9wavefront6targetE0EEEvSN_.uses_vcc, 0
	.set _ZN7rocprim17ROCPRIM_400000_NS6detail17trampoline_kernelINS0_14default_configENS1_35radix_sort_onesweep_config_selectorIjN6thrust23THRUST_200600_302600_NS5tupleIffNS6_9null_typeES8_S8_S8_S8_S8_S8_S8_EEEEZZNS1_29radix_sort_onesweep_iterationIS3_Lb0ENS6_6detail15normal_iteratorINS6_10device_ptrIjEEEESG_NSD_INSE_IS9_EEEESI_jNS0_19identity_decomposerENS1_16block_id_wrapperIjLb1EEEEE10hipError_tT1_PNSt15iterator_traitsISN_E10value_typeET2_T3_PNSO_IST_E10value_typeET4_T5_PSY_SZ_PNS1_23onesweep_lookback_stateEbbT6_jjT7_P12ihipStream_tbENKUlT_T0_SN_SS_E_clISG_SG_SI_SI_EEDaS16_S17_SN_SS_EUlS16_E_NS1_11comp_targetILNS1_3genE3ELNS1_11target_archE908ELNS1_3gpuE7ELNS1_3repE0EEENS1_47radix_sort_onesweep_sort_config_static_selectorELNS0_4arch9wavefront6targetE0EEEvSN_.uses_flat_scratch, 0
	.set _ZN7rocprim17ROCPRIM_400000_NS6detail17trampoline_kernelINS0_14default_configENS1_35radix_sort_onesweep_config_selectorIjN6thrust23THRUST_200600_302600_NS5tupleIffNS6_9null_typeES8_S8_S8_S8_S8_S8_S8_EEEEZZNS1_29radix_sort_onesweep_iterationIS3_Lb0ENS6_6detail15normal_iteratorINS6_10device_ptrIjEEEESG_NSD_INSE_IS9_EEEESI_jNS0_19identity_decomposerENS1_16block_id_wrapperIjLb1EEEEE10hipError_tT1_PNSt15iterator_traitsISN_E10value_typeET2_T3_PNSO_IST_E10value_typeET4_T5_PSY_SZ_PNS1_23onesweep_lookback_stateEbbT6_jjT7_P12ihipStream_tbENKUlT_T0_SN_SS_E_clISG_SG_SI_SI_EEDaS16_S17_SN_SS_EUlS16_E_NS1_11comp_targetILNS1_3genE3ELNS1_11target_archE908ELNS1_3gpuE7ELNS1_3repE0EEENS1_47radix_sort_onesweep_sort_config_static_selectorELNS0_4arch9wavefront6targetE0EEEvSN_.has_dyn_sized_stack, 0
	.set _ZN7rocprim17ROCPRIM_400000_NS6detail17trampoline_kernelINS0_14default_configENS1_35radix_sort_onesweep_config_selectorIjN6thrust23THRUST_200600_302600_NS5tupleIffNS6_9null_typeES8_S8_S8_S8_S8_S8_S8_EEEEZZNS1_29radix_sort_onesweep_iterationIS3_Lb0ENS6_6detail15normal_iteratorINS6_10device_ptrIjEEEESG_NSD_INSE_IS9_EEEESI_jNS0_19identity_decomposerENS1_16block_id_wrapperIjLb1EEEEE10hipError_tT1_PNSt15iterator_traitsISN_E10value_typeET2_T3_PNSO_IST_E10value_typeET4_T5_PSY_SZ_PNS1_23onesweep_lookback_stateEbbT6_jjT7_P12ihipStream_tbENKUlT_T0_SN_SS_E_clISG_SG_SI_SI_EEDaS16_S17_SN_SS_EUlS16_E_NS1_11comp_targetILNS1_3genE3ELNS1_11target_archE908ELNS1_3gpuE7ELNS1_3repE0EEENS1_47radix_sort_onesweep_sort_config_static_selectorELNS0_4arch9wavefront6targetE0EEEvSN_.has_recursion, 0
	.set _ZN7rocprim17ROCPRIM_400000_NS6detail17trampoline_kernelINS0_14default_configENS1_35radix_sort_onesweep_config_selectorIjN6thrust23THRUST_200600_302600_NS5tupleIffNS6_9null_typeES8_S8_S8_S8_S8_S8_S8_EEEEZZNS1_29radix_sort_onesweep_iterationIS3_Lb0ENS6_6detail15normal_iteratorINS6_10device_ptrIjEEEESG_NSD_INSE_IS9_EEEESI_jNS0_19identity_decomposerENS1_16block_id_wrapperIjLb1EEEEE10hipError_tT1_PNSt15iterator_traitsISN_E10value_typeET2_T3_PNSO_IST_E10value_typeET4_T5_PSY_SZ_PNS1_23onesweep_lookback_stateEbbT6_jjT7_P12ihipStream_tbENKUlT_T0_SN_SS_E_clISG_SG_SI_SI_EEDaS16_S17_SN_SS_EUlS16_E_NS1_11comp_targetILNS1_3genE3ELNS1_11target_archE908ELNS1_3gpuE7ELNS1_3repE0EEENS1_47radix_sort_onesweep_sort_config_static_selectorELNS0_4arch9wavefront6targetE0EEEvSN_.has_indirect_call, 0
	.section	.AMDGPU.csdata,"",@progbits
; Kernel info:
; codeLenInByte = 0
; TotalNumSgprs: 0
; NumVgprs: 0
; ScratchSize: 0
; MemoryBound: 0
; FloatMode: 240
; IeeeMode: 1
; LDSByteSize: 0 bytes/workgroup (compile time only)
; SGPRBlocks: 0
; VGPRBlocks: 0
; NumSGPRsForWavesPerEU: 1
; NumVGPRsForWavesPerEU: 1
; NamedBarCnt: 0
; Occupancy: 16
; WaveLimiterHint : 0
; COMPUTE_PGM_RSRC2:SCRATCH_EN: 0
; COMPUTE_PGM_RSRC2:USER_SGPR: 2
; COMPUTE_PGM_RSRC2:TRAP_HANDLER: 0
; COMPUTE_PGM_RSRC2:TGID_X_EN: 1
; COMPUTE_PGM_RSRC2:TGID_Y_EN: 0
; COMPUTE_PGM_RSRC2:TGID_Z_EN: 0
; COMPUTE_PGM_RSRC2:TIDIG_COMP_CNT: 0
	.section	.text._ZN7rocprim17ROCPRIM_400000_NS6detail17trampoline_kernelINS0_14default_configENS1_35radix_sort_onesweep_config_selectorIjN6thrust23THRUST_200600_302600_NS5tupleIffNS6_9null_typeES8_S8_S8_S8_S8_S8_S8_EEEEZZNS1_29radix_sort_onesweep_iterationIS3_Lb0ENS6_6detail15normal_iteratorINS6_10device_ptrIjEEEESG_NSD_INSE_IS9_EEEESI_jNS0_19identity_decomposerENS1_16block_id_wrapperIjLb1EEEEE10hipError_tT1_PNSt15iterator_traitsISN_E10value_typeET2_T3_PNSO_IST_E10value_typeET4_T5_PSY_SZ_PNS1_23onesweep_lookback_stateEbbT6_jjT7_P12ihipStream_tbENKUlT_T0_SN_SS_E_clISG_SG_SI_SI_EEDaS16_S17_SN_SS_EUlS16_E_NS1_11comp_targetILNS1_3genE10ELNS1_11target_archE1201ELNS1_3gpuE5ELNS1_3repE0EEENS1_47radix_sort_onesweep_sort_config_static_selectorELNS0_4arch9wavefront6targetE0EEEvSN_,"axG",@progbits,_ZN7rocprim17ROCPRIM_400000_NS6detail17trampoline_kernelINS0_14default_configENS1_35radix_sort_onesweep_config_selectorIjN6thrust23THRUST_200600_302600_NS5tupleIffNS6_9null_typeES8_S8_S8_S8_S8_S8_S8_EEEEZZNS1_29radix_sort_onesweep_iterationIS3_Lb0ENS6_6detail15normal_iteratorINS6_10device_ptrIjEEEESG_NSD_INSE_IS9_EEEESI_jNS0_19identity_decomposerENS1_16block_id_wrapperIjLb1EEEEE10hipError_tT1_PNSt15iterator_traitsISN_E10value_typeET2_T3_PNSO_IST_E10value_typeET4_T5_PSY_SZ_PNS1_23onesweep_lookback_stateEbbT6_jjT7_P12ihipStream_tbENKUlT_T0_SN_SS_E_clISG_SG_SI_SI_EEDaS16_S17_SN_SS_EUlS16_E_NS1_11comp_targetILNS1_3genE10ELNS1_11target_archE1201ELNS1_3gpuE5ELNS1_3repE0EEENS1_47radix_sort_onesweep_sort_config_static_selectorELNS0_4arch9wavefront6targetE0EEEvSN_,comdat
	.protected	_ZN7rocprim17ROCPRIM_400000_NS6detail17trampoline_kernelINS0_14default_configENS1_35radix_sort_onesweep_config_selectorIjN6thrust23THRUST_200600_302600_NS5tupleIffNS6_9null_typeES8_S8_S8_S8_S8_S8_S8_EEEEZZNS1_29radix_sort_onesweep_iterationIS3_Lb0ENS6_6detail15normal_iteratorINS6_10device_ptrIjEEEESG_NSD_INSE_IS9_EEEESI_jNS0_19identity_decomposerENS1_16block_id_wrapperIjLb1EEEEE10hipError_tT1_PNSt15iterator_traitsISN_E10value_typeET2_T3_PNSO_IST_E10value_typeET4_T5_PSY_SZ_PNS1_23onesweep_lookback_stateEbbT6_jjT7_P12ihipStream_tbENKUlT_T0_SN_SS_E_clISG_SG_SI_SI_EEDaS16_S17_SN_SS_EUlS16_E_NS1_11comp_targetILNS1_3genE10ELNS1_11target_archE1201ELNS1_3gpuE5ELNS1_3repE0EEENS1_47radix_sort_onesweep_sort_config_static_selectorELNS0_4arch9wavefront6targetE0EEEvSN_ ; -- Begin function _ZN7rocprim17ROCPRIM_400000_NS6detail17trampoline_kernelINS0_14default_configENS1_35radix_sort_onesweep_config_selectorIjN6thrust23THRUST_200600_302600_NS5tupleIffNS6_9null_typeES8_S8_S8_S8_S8_S8_S8_EEEEZZNS1_29radix_sort_onesweep_iterationIS3_Lb0ENS6_6detail15normal_iteratorINS6_10device_ptrIjEEEESG_NSD_INSE_IS9_EEEESI_jNS0_19identity_decomposerENS1_16block_id_wrapperIjLb1EEEEE10hipError_tT1_PNSt15iterator_traitsISN_E10value_typeET2_T3_PNSO_IST_E10value_typeET4_T5_PSY_SZ_PNS1_23onesweep_lookback_stateEbbT6_jjT7_P12ihipStream_tbENKUlT_T0_SN_SS_E_clISG_SG_SI_SI_EEDaS16_S17_SN_SS_EUlS16_E_NS1_11comp_targetILNS1_3genE10ELNS1_11target_archE1201ELNS1_3gpuE5ELNS1_3repE0EEENS1_47radix_sort_onesweep_sort_config_static_selectorELNS0_4arch9wavefront6targetE0EEEvSN_
	.globl	_ZN7rocprim17ROCPRIM_400000_NS6detail17trampoline_kernelINS0_14default_configENS1_35radix_sort_onesweep_config_selectorIjN6thrust23THRUST_200600_302600_NS5tupleIffNS6_9null_typeES8_S8_S8_S8_S8_S8_S8_EEEEZZNS1_29radix_sort_onesweep_iterationIS3_Lb0ENS6_6detail15normal_iteratorINS6_10device_ptrIjEEEESG_NSD_INSE_IS9_EEEESI_jNS0_19identity_decomposerENS1_16block_id_wrapperIjLb1EEEEE10hipError_tT1_PNSt15iterator_traitsISN_E10value_typeET2_T3_PNSO_IST_E10value_typeET4_T5_PSY_SZ_PNS1_23onesweep_lookback_stateEbbT6_jjT7_P12ihipStream_tbENKUlT_T0_SN_SS_E_clISG_SG_SI_SI_EEDaS16_S17_SN_SS_EUlS16_E_NS1_11comp_targetILNS1_3genE10ELNS1_11target_archE1201ELNS1_3gpuE5ELNS1_3repE0EEENS1_47radix_sort_onesweep_sort_config_static_selectorELNS0_4arch9wavefront6targetE0EEEvSN_
	.p2align	8
	.type	_ZN7rocprim17ROCPRIM_400000_NS6detail17trampoline_kernelINS0_14default_configENS1_35radix_sort_onesweep_config_selectorIjN6thrust23THRUST_200600_302600_NS5tupleIffNS6_9null_typeES8_S8_S8_S8_S8_S8_S8_EEEEZZNS1_29radix_sort_onesweep_iterationIS3_Lb0ENS6_6detail15normal_iteratorINS6_10device_ptrIjEEEESG_NSD_INSE_IS9_EEEESI_jNS0_19identity_decomposerENS1_16block_id_wrapperIjLb1EEEEE10hipError_tT1_PNSt15iterator_traitsISN_E10value_typeET2_T3_PNSO_IST_E10value_typeET4_T5_PSY_SZ_PNS1_23onesweep_lookback_stateEbbT6_jjT7_P12ihipStream_tbENKUlT_T0_SN_SS_E_clISG_SG_SI_SI_EEDaS16_S17_SN_SS_EUlS16_E_NS1_11comp_targetILNS1_3genE10ELNS1_11target_archE1201ELNS1_3gpuE5ELNS1_3repE0EEENS1_47radix_sort_onesweep_sort_config_static_selectorELNS0_4arch9wavefront6targetE0EEEvSN_,@function
_ZN7rocprim17ROCPRIM_400000_NS6detail17trampoline_kernelINS0_14default_configENS1_35radix_sort_onesweep_config_selectorIjN6thrust23THRUST_200600_302600_NS5tupleIffNS6_9null_typeES8_S8_S8_S8_S8_S8_S8_EEEEZZNS1_29radix_sort_onesweep_iterationIS3_Lb0ENS6_6detail15normal_iteratorINS6_10device_ptrIjEEEESG_NSD_INSE_IS9_EEEESI_jNS0_19identity_decomposerENS1_16block_id_wrapperIjLb1EEEEE10hipError_tT1_PNSt15iterator_traitsISN_E10value_typeET2_T3_PNSO_IST_E10value_typeET4_T5_PSY_SZ_PNS1_23onesweep_lookback_stateEbbT6_jjT7_P12ihipStream_tbENKUlT_T0_SN_SS_E_clISG_SG_SI_SI_EEDaS16_S17_SN_SS_EUlS16_E_NS1_11comp_targetILNS1_3genE10ELNS1_11target_archE1201ELNS1_3gpuE5ELNS1_3repE0EEENS1_47radix_sort_onesweep_sort_config_static_selectorELNS0_4arch9wavefront6targetE0EEEvSN_: ; @_ZN7rocprim17ROCPRIM_400000_NS6detail17trampoline_kernelINS0_14default_configENS1_35radix_sort_onesweep_config_selectorIjN6thrust23THRUST_200600_302600_NS5tupleIffNS6_9null_typeES8_S8_S8_S8_S8_S8_S8_EEEEZZNS1_29radix_sort_onesweep_iterationIS3_Lb0ENS6_6detail15normal_iteratorINS6_10device_ptrIjEEEESG_NSD_INSE_IS9_EEEESI_jNS0_19identity_decomposerENS1_16block_id_wrapperIjLb1EEEEE10hipError_tT1_PNSt15iterator_traitsISN_E10value_typeET2_T3_PNSO_IST_E10value_typeET4_T5_PSY_SZ_PNS1_23onesweep_lookback_stateEbbT6_jjT7_P12ihipStream_tbENKUlT_T0_SN_SS_E_clISG_SG_SI_SI_EEDaS16_S17_SN_SS_EUlS16_E_NS1_11comp_targetILNS1_3genE10ELNS1_11target_archE1201ELNS1_3gpuE5ELNS1_3repE0EEENS1_47radix_sort_onesweep_sort_config_static_selectorELNS0_4arch9wavefront6targetE0EEEvSN_
; %bb.0:
	.section	.rodata,"a",@progbits
	.p2align	6, 0x0
	.amdhsa_kernel _ZN7rocprim17ROCPRIM_400000_NS6detail17trampoline_kernelINS0_14default_configENS1_35radix_sort_onesweep_config_selectorIjN6thrust23THRUST_200600_302600_NS5tupleIffNS6_9null_typeES8_S8_S8_S8_S8_S8_S8_EEEEZZNS1_29radix_sort_onesweep_iterationIS3_Lb0ENS6_6detail15normal_iteratorINS6_10device_ptrIjEEEESG_NSD_INSE_IS9_EEEESI_jNS0_19identity_decomposerENS1_16block_id_wrapperIjLb1EEEEE10hipError_tT1_PNSt15iterator_traitsISN_E10value_typeET2_T3_PNSO_IST_E10value_typeET4_T5_PSY_SZ_PNS1_23onesweep_lookback_stateEbbT6_jjT7_P12ihipStream_tbENKUlT_T0_SN_SS_E_clISG_SG_SI_SI_EEDaS16_S17_SN_SS_EUlS16_E_NS1_11comp_targetILNS1_3genE10ELNS1_11target_archE1201ELNS1_3gpuE5ELNS1_3repE0EEENS1_47radix_sort_onesweep_sort_config_static_selectorELNS0_4arch9wavefront6targetE0EEEvSN_
		.amdhsa_group_segment_fixed_size 0
		.amdhsa_private_segment_fixed_size 0
		.amdhsa_kernarg_size 88
		.amdhsa_user_sgpr_count 2
		.amdhsa_user_sgpr_dispatch_ptr 0
		.amdhsa_user_sgpr_queue_ptr 0
		.amdhsa_user_sgpr_kernarg_segment_ptr 1
		.amdhsa_user_sgpr_dispatch_id 0
		.amdhsa_user_sgpr_kernarg_preload_length 0
		.amdhsa_user_sgpr_kernarg_preload_offset 0
		.amdhsa_user_sgpr_private_segment_size 0
		.amdhsa_wavefront_size32 1
		.amdhsa_uses_dynamic_stack 0
		.amdhsa_enable_private_segment 0
		.amdhsa_system_sgpr_workgroup_id_x 1
		.amdhsa_system_sgpr_workgroup_id_y 0
		.amdhsa_system_sgpr_workgroup_id_z 0
		.amdhsa_system_sgpr_workgroup_info 0
		.amdhsa_system_vgpr_workitem_id 0
		.amdhsa_next_free_vgpr 1
		.amdhsa_next_free_sgpr 1
		.amdhsa_named_barrier_count 0
		.amdhsa_reserve_vcc 0
		.amdhsa_float_round_mode_32 0
		.amdhsa_float_round_mode_16_64 0
		.amdhsa_float_denorm_mode_32 3
		.amdhsa_float_denorm_mode_16_64 3
		.amdhsa_fp16_overflow 0
		.amdhsa_memory_ordered 1
		.amdhsa_forward_progress 1
		.amdhsa_inst_pref_size 0
		.amdhsa_round_robin_scheduling 0
		.amdhsa_exception_fp_ieee_invalid_op 0
		.amdhsa_exception_fp_denorm_src 0
		.amdhsa_exception_fp_ieee_div_zero 0
		.amdhsa_exception_fp_ieee_overflow 0
		.amdhsa_exception_fp_ieee_underflow 0
		.amdhsa_exception_fp_ieee_inexact 0
		.amdhsa_exception_int_div_zero 0
	.end_amdhsa_kernel
	.section	.text._ZN7rocprim17ROCPRIM_400000_NS6detail17trampoline_kernelINS0_14default_configENS1_35radix_sort_onesweep_config_selectorIjN6thrust23THRUST_200600_302600_NS5tupleIffNS6_9null_typeES8_S8_S8_S8_S8_S8_S8_EEEEZZNS1_29radix_sort_onesweep_iterationIS3_Lb0ENS6_6detail15normal_iteratorINS6_10device_ptrIjEEEESG_NSD_INSE_IS9_EEEESI_jNS0_19identity_decomposerENS1_16block_id_wrapperIjLb1EEEEE10hipError_tT1_PNSt15iterator_traitsISN_E10value_typeET2_T3_PNSO_IST_E10value_typeET4_T5_PSY_SZ_PNS1_23onesweep_lookback_stateEbbT6_jjT7_P12ihipStream_tbENKUlT_T0_SN_SS_E_clISG_SG_SI_SI_EEDaS16_S17_SN_SS_EUlS16_E_NS1_11comp_targetILNS1_3genE10ELNS1_11target_archE1201ELNS1_3gpuE5ELNS1_3repE0EEENS1_47radix_sort_onesweep_sort_config_static_selectorELNS0_4arch9wavefront6targetE0EEEvSN_,"axG",@progbits,_ZN7rocprim17ROCPRIM_400000_NS6detail17trampoline_kernelINS0_14default_configENS1_35radix_sort_onesweep_config_selectorIjN6thrust23THRUST_200600_302600_NS5tupleIffNS6_9null_typeES8_S8_S8_S8_S8_S8_S8_EEEEZZNS1_29radix_sort_onesweep_iterationIS3_Lb0ENS6_6detail15normal_iteratorINS6_10device_ptrIjEEEESG_NSD_INSE_IS9_EEEESI_jNS0_19identity_decomposerENS1_16block_id_wrapperIjLb1EEEEE10hipError_tT1_PNSt15iterator_traitsISN_E10value_typeET2_T3_PNSO_IST_E10value_typeET4_T5_PSY_SZ_PNS1_23onesweep_lookback_stateEbbT6_jjT7_P12ihipStream_tbENKUlT_T0_SN_SS_E_clISG_SG_SI_SI_EEDaS16_S17_SN_SS_EUlS16_E_NS1_11comp_targetILNS1_3genE10ELNS1_11target_archE1201ELNS1_3gpuE5ELNS1_3repE0EEENS1_47radix_sort_onesweep_sort_config_static_selectorELNS0_4arch9wavefront6targetE0EEEvSN_,comdat
.Lfunc_end181:
	.size	_ZN7rocprim17ROCPRIM_400000_NS6detail17trampoline_kernelINS0_14default_configENS1_35radix_sort_onesweep_config_selectorIjN6thrust23THRUST_200600_302600_NS5tupleIffNS6_9null_typeES8_S8_S8_S8_S8_S8_S8_EEEEZZNS1_29radix_sort_onesweep_iterationIS3_Lb0ENS6_6detail15normal_iteratorINS6_10device_ptrIjEEEESG_NSD_INSE_IS9_EEEESI_jNS0_19identity_decomposerENS1_16block_id_wrapperIjLb1EEEEE10hipError_tT1_PNSt15iterator_traitsISN_E10value_typeET2_T3_PNSO_IST_E10value_typeET4_T5_PSY_SZ_PNS1_23onesweep_lookback_stateEbbT6_jjT7_P12ihipStream_tbENKUlT_T0_SN_SS_E_clISG_SG_SI_SI_EEDaS16_S17_SN_SS_EUlS16_E_NS1_11comp_targetILNS1_3genE10ELNS1_11target_archE1201ELNS1_3gpuE5ELNS1_3repE0EEENS1_47radix_sort_onesweep_sort_config_static_selectorELNS0_4arch9wavefront6targetE0EEEvSN_, .Lfunc_end181-_ZN7rocprim17ROCPRIM_400000_NS6detail17trampoline_kernelINS0_14default_configENS1_35radix_sort_onesweep_config_selectorIjN6thrust23THRUST_200600_302600_NS5tupleIffNS6_9null_typeES8_S8_S8_S8_S8_S8_S8_EEEEZZNS1_29radix_sort_onesweep_iterationIS3_Lb0ENS6_6detail15normal_iteratorINS6_10device_ptrIjEEEESG_NSD_INSE_IS9_EEEESI_jNS0_19identity_decomposerENS1_16block_id_wrapperIjLb1EEEEE10hipError_tT1_PNSt15iterator_traitsISN_E10value_typeET2_T3_PNSO_IST_E10value_typeET4_T5_PSY_SZ_PNS1_23onesweep_lookback_stateEbbT6_jjT7_P12ihipStream_tbENKUlT_T0_SN_SS_E_clISG_SG_SI_SI_EEDaS16_S17_SN_SS_EUlS16_E_NS1_11comp_targetILNS1_3genE10ELNS1_11target_archE1201ELNS1_3gpuE5ELNS1_3repE0EEENS1_47radix_sort_onesweep_sort_config_static_selectorELNS0_4arch9wavefront6targetE0EEEvSN_
                                        ; -- End function
	.set _ZN7rocprim17ROCPRIM_400000_NS6detail17trampoline_kernelINS0_14default_configENS1_35radix_sort_onesweep_config_selectorIjN6thrust23THRUST_200600_302600_NS5tupleIffNS6_9null_typeES8_S8_S8_S8_S8_S8_S8_EEEEZZNS1_29radix_sort_onesweep_iterationIS3_Lb0ENS6_6detail15normal_iteratorINS6_10device_ptrIjEEEESG_NSD_INSE_IS9_EEEESI_jNS0_19identity_decomposerENS1_16block_id_wrapperIjLb1EEEEE10hipError_tT1_PNSt15iterator_traitsISN_E10value_typeET2_T3_PNSO_IST_E10value_typeET4_T5_PSY_SZ_PNS1_23onesweep_lookback_stateEbbT6_jjT7_P12ihipStream_tbENKUlT_T0_SN_SS_E_clISG_SG_SI_SI_EEDaS16_S17_SN_SS_EUlS16_E_NS1_11comp_targetILNS1_3genE10ELNS1_11target_archE1201ELNS1_3gpuE5ELNS1_3repE0EEENS1_47radix_sort_onesweep_sort_config_static_selectorELNS0_4arch9wavefront6targetE0EEEvSN_.num_vgpr, 0
	.set _ZN7rocprim17ROCPRIM_400000_NS6detail17trampoline_kernelINS0_14default_configENS1_35radix_sort_onesweep_config_selectorIjN6thrust23THRUST_200600_302600_NS5tupleIffNS6_9null_typeES8_S8_S8_S8_S8_S8_S8_EEEEZZNS1_29radix_sort_onesweep_iterationIS3_Lb0ENS6_6detail15normal_iteratorINS6_10device_ptrIjEEEESG_NSD_INSE_IS9_EEEESI_jNS0_19identity_decomposerENS1_16block_id_wrapperIjLb1EEEEE10hipError_tT1_PNSt15iterator_traitsISN_E10value_typeET2_T3_PNSO_IST_E10value_typeET4_T5_PSY_SZ_PNS1_23onesweep_lookback_stateEbbT6_jjT7_P12ihipStream_tbENKUlT_T0_SN_SS_E_clISG_SG_SI_SI_EEDaS16_S17_SN_SS_EUlS16_E_NS1_11comp_targetILNS1_3genE10ELNS1_11target_archE1201ELNS1_3gpuE5ELNS1_3repE0EEENS1_47radix_sort_onesweep_sort_config_static_selectorELNS0_4arch9wavefront6targetE0EEEvSN_.num_agpr, 0
	.set _ZN7rocprim17ROCPRIM_400000_NS6detail17trampoline_kernelINS0_14default_configENS1_35radix_sort_onesweep_config_selectorIjN6thrust23THRUST_200600_302600_NS5tupleIffNS6_9null_typeES8_S8_S8_S8_S8_S8_S8_EEEEZZNS1_29radix_sort_onesweep_iterationIS3_Lb0ENS6_6detail15normal_iteratorINS6_10device_ptrIjEEEESG_NSD_INSE_IS9_EEEESI_jNS0_19identity_decomposerENS1_16block_id_wrapperIjLb1EEEEE10hipError_tT1_PNSt15iterator_traitsISN_E10value_typeET2_T3_PNSO_IST_E10value_typeET4_T5_PSY_SZ_PNS1_23onesweep_lookback_stateEbbT6_jjT7_P12ihipStream_tbENKUlT_T0_SN_SS_E_clISG_SG_SI_SI_EEDaS16_S17_SN_SS_EUlS16_E_NS1_11comp_targetILNS1_3genE10ELNS1_11target_archE1201ELNS1_3gpuE5ELNS1_3repE0EEENS1_47radix_sort_onesweep_sort_config_static_selectorELNS0_4arch9wavefront6targetE0EEEvSN_.numbered_sgpr, 0
	.set _ZN7rocprim17ROCPRIM_400000_NS6detail17trampoline_kernelINS0_14default_configENS1_35radix_sort_onesweep_config_selectorIjN6thrust23THRUST_200600_302600_NS5tupleIffNS6_9null_typeES8_S8_S8_S8_S8_S8_S8_EEEEZZNS1_29radix_sort_onesweep_iterationIS3_Lb0ENS6_6detail15normal_iteratorINS6_10device_ptrIjEEEESG_NSD_INSE_IS9_EEEESI_jNS0_19identity_decomposerENS1_16block_id_wrapperIjLb1EEEEE10hipError_tT1_PNSt15iterator_traitsISN_E10value_typeET2_T3_PNSO_IST_E10value_typeET4_T5_PSY_SZ_PNS1_23onesweep_lookback_stateEbbT6_jjT7_P12ihipStream_tbENKUlT_T0_SN_SS_E_clISG_SG_SI_SI_EEDaS16_S17_SN_SS_EUlS16_E_NS1_11comp_targetILNS1_3genE10ELNS1_11target_archE1201ELNS1_3gpuE5ELNS1_3repE0EEENS1_47radix_sort_onesweep_sort_config_static_selectorELNS0_4arch9wavefront6targetE0EEEvSN_.num_named_barrier, 0
	.set _ZN7rocprim17ROCPRIM_400000_NS6detail17trampoline_kernelINS0_14default_configENS1_35radix_sort_onesweep_config_selectorIjN6thrust23THRUST_200600_302600_NS5tupleIffNS6_9null_typeES8_S8_S8_S8_S8_S8_S8_EEEEZZNS1_29radix_sort_onesweep_iterationIS3_Lb0ENS6_6detail15normal_iteratorINS6_10device_ptrIjEEEESG_NSD_INSE_IS9_EEEESI_jNS0_19identity_decomposerENS1_16block_id_wrapperIjLb1EEEEE10hipError_tT1_PNSt15iterator_traitsISN_E10value_typeET2_T3_PNSO_IST_E10value_typeET4_T5_PSY_SZ_PNS1_23onesweep_lookback_stateEbbT6_jjT7_P12ihipStream_tbENKUlT_T0_SN_SS_E_clISG_SG_SI_SI_EEDaS16_S17_SN_SS_EUlS16_E_NS1_11comp_targetILNS1_3genE10ELNS1_11target_archE1201ELNS1_3gpuE5ELNS1_3repE0EEENS1_47radix_sort_onesweep_sort_config_static_selectorELNS0_4arch9wavefront6targetE0EEEvSN_.private_seg_size, 0
	.set _ZN7rocprim17ROCPRIM_400000_NS6detail17trampoline_kernelINS0_14default_configENS1_35radix_sort_onesweep_config_selectorIjN6thrust23THRUST_200600_302600_NS5tupleIffNS6_9null_typeES8_S8_S8_S8_S8_S8_S8_EEEEZZNS1_29radix_sort_onesweep_iterationIS3_Lb0ENS6_6detail15normal_iteratorINS6_10device_ptrIjEEEESG_NSD_INSE_IS9_EEEESI_jNS0_19identity_decomposerENS1_16block_id_wrapperIjLb1EEEEE10hipError_tT1_PNSt15iterator_traitsISN_E10value_typeET2_T3_PNSO_IST_E10value_typeET4_T5_PSY_SZ_PNS1_23onesweep_lookback_stateEbbT6_jjT7_P12ihipStream_tbENKUlT_T0_SN_SS_E_clISG_SG_SI_SI_EEDaS16_S17_SN_SS_EUlS16_E_NS1_11comp_targetILNS1_3genE10ELNS1_11target_archE1201ELNS1_3gpuE5ELNS1_3repE0EEENS1_47radix_sort_onesweep_sort_config_static_selectorELNS0_4arch9wavefront6targetE0EEEvSN_.uses_vcc, 0
	.set _ZN7rocprim17ROCPRIM_400000_NS6detail17trampoline_kernelINS0_14default_configENS1_35radix_sort_onesweep_config_selectorIjN6thrust23THRUST_200600_302600_NS5tupleIffNS6_9null_typeES8_S8_S8_S8_S8_S8_S8_EEEEZZNS1_29radix_sort_onesweep_iterationIS3_Lb0ENS6_6detail15normal_iteratorINS6_10device_ptrIjEEEESG_NSD_INSE_IS9_EEEESI_jNS0_19identity_decomposerENS1_16block_id_wrapperIjLb1EEEEE10hipError_tT1_PNSt15iterator_traitsISN_E10value_typeET2_T3_PNSO_IST_E10value_typeET4_T5_PSY_SZ_PNS1_23onesweep_lookback_stateEbbT6_jjT7_P12ihipStream_tbENKUlT_T0_SN_SS_E_clISG_SG_SI_SI_EEDaS16_S17_SN_SS_EUlS16_E_NS1_11comp_targetILNS1_3genE10ELNS1_11target_archE1201ELNS1_3gpuE5ELNS1_3repE0EEENS1_47radix_sort_onesweep_sort_config_static_selectorELNS0_4arch9wavefront6targetE0EEEvSN_.uses_flat_scratch, 0
	.set _ZN7rocprim17ROCPRIM_400000_NS6detail17trampoline_kernelINS0_14default_configENS1_35radix_sort_onesweep_config_selectorIjN6thrust23THRUST_200600_302600_NS5tupleIffNS6_9null_typeES8_S8_S8_S8_S8_S8_S8_EEEEZZNS1_29radix_sort_onesweep_iterationIS3_Lb0ENS6_6detail15normal_iteratorINS6_10device_ptrIjEEEESG_NSD_INSE_IS9_EEEESI_jNS0_19identity_decomposerENS1_16block_id_wrapperIjLb1EEEEE10hipError_tT1_PNSt15iterator_traitsISN_E10value_typeET2_T3_PNSO_IST_E10value_typeET4_T5_PSY_SZ_PNS1_23onesweep_lookback_stateEbbT6_jjT7_P12ihipStream_tbENKUlT_T0_SN_SS_E_clISG_SG_SI_SI_EEDaS16_S17_SN_SS_EUlS16_E_NS1_11comp_targetILNS1_3genE10ELNS1_11target_archE1201ELNS1_3gpuE5ELNS1_3repE0EEENS1_47radix_sort_onesweep_sort_config_static_selectorELNS0_4arch9wavefront6targetE0EEEvSN_.has_dyn_sized_stack, 0
	.set _ZN7rocprim17ROCPRIM_400000_NS6detail17trampoline_kernelINS0_14default_configENS1_35radix_sort_onesweep_config_selectorIjN6thrust23THRUST_200600_302600_NS5tupleIffNS6_9null_typeES8_S8_S8_S8_S8_S8_S8_EEEEZZNS1_29radix_sort_onesweep_iterationIS3_Lb0ENS6_6detail15normal_iteratorINS6_10device_ptrIjEEEESG_NSD_INSE_IS9_EEEESI_jNS0_19identity_decomposerENS1_16block_id_wrapperIjLb1EEEEE10hipError_tT1_PNSt15iterator_traitsISN_E10value_typeET2_T3_PNSO_IST_E10value_typeET4_T5_PSY_SZ_PNS1_23onesweep_lookback_stateEbbT6_jjT7_P12ihipStream_tbENKUlT_T0_SN_SS_E_clISG_SG_SI_SI_EEDaS16_S17_SN_SS_EUlS16_E_NS1_11comp_targetILNS1_3genE10ELNS1_11target_archE1201ELNS1_3gpuE5ELNS1_3repE0EEENS1_47radix_sort_onesweep_sort_config_static_selectorELNS0_4arch9wavefront6targetE0EEEvSN_.has_recursion, 0
	.set _ZN7rocprim17ROCPRIM_400000_NS6detail17trampoline_kernelINS0_14default_configENS1_35radix_sort_onesweep_config_selectorIjN6thrust23THRUST_200600_302600_NS5tupleIffNS6_9null_typeES8_S8_S8_S8_S8_S8_S8_EEEEZZNS1_29radix_sort_onesweep_iterationIS3_Lb0ENS6_6detail15normal_iteratorINS6_10device_ptrIjEEEESG_NSD_INSE_IS9_EEEESI_jNS0_19identity_decomposerENS1_16block_id_wrapperIjLb1EEEEE10hipError_tT1_PNSt15iterator_traitsISN_E10value_typeET2_T3_PNSO_IST_E10value_typeET4_T5_PSY_SZ_PNS1_23onesweep_lookback_stateEbbT6_jjT7_P12ihipStream_tbENKUlT_T0_SN_SS_E_clISG_SG_SI_SI_EEDaS16_S17_SN_SS_EUlS16_E_NS1_11comp_targetILNS1_3genE10ELNS1_11target_archE1201ELNS1_3gpuE5ELNS1_3repE0EEENS1_47radix_sort_onesweep_sort_config_static_selectorELNS0_4arch9wavefront6targetE0EEEvSN_.has_indirect_call, 0
	.section	.AMDGPU.csdata,"",@progbits
; Kernel info:
; codeLenInByte = 0
; TotalNumSgprs: 0
; NumVgprs: 0
; ScratchSize: 0
; MemoryBound: 0
; FloatMode: 240
; IeeeMode: 1
; LDSByteSize: 0 bytes/workgroup (compile time only)
; SGPRBlocks: 0
; VGPRBlocks: 0
; NumSGPRsForWavesPerEU: 1
; NumVGPRsForWavesPerEU: 1
; NamedBarCnt: 0
; Occupancy: 16
; WaveLimiterHint : 0
; COMPUTE_PGM_RSRC2:SCRATCH_EN: 0
; COMPUTE_PGM_RSRC2:USER_SGPR: 2
; COMPUTE_PGM_RSRC2:TRAP_HANDLER: 0
; COMPUTE_PGM_RSRC2:TGID_X_EN: 1
; COMPUTE_PGM_RSRC2:TGID_Y_EN: 0
; COMPUTE_PGM_RSRC2:TGID_Z_EN: 0
; COMPUTE_PGM_RSRC2:TIDIG_COMP_CNT: 0
	.section	.text._ZN7rocprim17ROCPRIM_400000_NS6detail17trampoline_kernelINS0_14default_configENS1_35radix_sort_onesweep_config_selectorIjN6thrust23THRUST_200600_302600_NS5tupleIffNS6_9null_typeES8_S8_S8_S8_S8_S8_S8_EEEEZZNS1_29radix_sort_onesweep_iterationIS3_Lb0ENS6_6detail15normal_iteratorINS6_10device_ptrIjEEEESG_NSD_INSE_IS9_EEEESI_jNS0_19identity_decomposerENS1_16block_id_wrapperIjLb1EEEEE10hipError_tT1_PNSt15iterator_traitsISN_E10value_typeET2_T3_PNSO_IST_E10value_typeET4_T5_PSY_SZ_PNS1_23onesweep_lookback_stateEbbT6_jjT7_P12ihipStream_tbENKUlT_T0_SN_SS_E_clISG_SG_SI_SI_EEDaS16_S17_SN_SS_EUlS16_E_NS1_11comp_targetILNS1_3genE9ELNS1_11target_archE1100ELNS1_3gpuE3ELNS1_3repE0EEENS1_47radix_sort_onesweep_sort_config_static_selectorELNS0_4arch9wavefront6targetE0EEEvSN_,"axG",@progbits,_ZN7rocprim17ROCPRIM_400000_NS6detail17trampoline_kernelINS0_14default_configENS1_35radix_sort_onesweep_config_selectorIjN6thrust23THRUST_200600_302600_NS5tupleIffNS6_9null_typeES8_S8_S8_S8_S8_S8_S8_EEEEZZNS1_29radix_sort_onesweep_iterationIS3_Lb0ENS6_6detail15normal_iteratorINS6_10device_ptrIjEEEESG_NSD_INSE_IS9_EEEESI_jNS0_19identity_decomposerENS1_16block_id_wrapperIjLb1EEEEE10hipError_tT1_PNSt15iterator_traitsISN_E10value_typeET2_T3_PNSO_IST_E10value_typeET4_T5_PSY_SZ_PNS1_23onesweep_lookback_stateEbbT6_jjT7_P12ihipStream_tbENKUlT_T0_SN_SS_E_clISG_SG_SI_SI_EEDaS16_S17_SN_SS_EUlS16_E_NS1_11comp_targetILNS1_3genE9ELNS1_11target_archE1100ELNS1_3gpuE3ELNS1_3repE0EEENS1_47radix_sort_onesweep_sort_config_static_selectorELNS0_4arch9wavefront6targetE0EEEvSN_,comdat
	.protected	_ZN7rocprim17ROCPRIM_400000_NS6detail17trampoline_kernelINS0_14default_configENS1_35radix_sort_onesweep_config_selectorIjN6thrust23THRUST_200600_302600_NS5tupleIffNS6_9null_typeES8_S8_S8_S8_S8_S8_S8_EEEEZZNS1_29radix_sort_onesweep_iterationIS3_Lb0ENS6_6detail15normal_iteratorINS6_10device_ptrIjEEEESG_NSD_INSE_IS9_EEEESI_jNS0_19identity_decomposerENS1_16block_id_wrapperIjLb1EEEEE10hipError_tT1_PNSt15iterator_traitsISN_E10value_typeET2_T3_PNSO_IST_E10value_typeET4_T5_PSY_SZ_PNS1_23onesweep_lookback_stateEbbT6_jjT7_P12ihipStream_tbENKUlT_T0_SN_SS_E_clISG_SG_SI_SI_EEDaS16_S17_SN_SS_EUlS16_E_NS1_11comp_targetILNS1_3genE9ELNS1_11target_archE1100ELNS1_3gpuE3ELNS1_3repE0EEENS1_47radix_sort_onesweep_sort_config_static_selectorELNS0_4arch9wavefront6targetE0EEEvSN_ ; -- Begin function _ZN7rocprim17ROCPRIM_400000_NS6detail17trampoline_kernelINS0_14default_configENS1_35radix_sort_onesweep_config_selectorIjN6thrust23THRUST_200600_302600_NS5tupleIffNS6_9null_typeES8_S8_S8_S8_S8_S8_S8_EEEEZZNS1_29radix_sort_onesweep_iterationIS3_Lb0ENS6_6detail15normal_iteratorINS6_10device_ptrIjEEEESG_NSD_INSE_IS9_EEEESI_jNS0_19identity_decomposerENS1_16block_id_wrapperIjLb1EEEEE10hipError_tT1_PNSt15iterator_traitsISN_E10value_typeET2_T3_PNSO_IST_E10value_typeET4_T5_PSY_SZ_PNS1_23onesweep_lookback_stateEbbT6_jjT7_P12ihipStream_tbENKUlT_T0_SN_SS_E_clISG_SG_SI_SI_EEDaS16_S17_SN_SS_EUlS16_E_NS1_11comp_targetILNS1_3genE9ELNS1_11target_archE1100ELNS1_3gpuE3ELNS1_3repE0EEENS1_47radix_sort_onesweep_sort_config_static_selectorELNS0_4arch9wavefront6targetE0EEEvSN_
	.globl	_ZN7rocprim17ROCPRIM_400000_NS6detail17trampoline_kernelINS0_14default_configENS1_35radix_sort_onesweep_config_selectorIjN6thrust23THRUST_200600_302600_NS5tupleIffNS6_9null_typeES8_S8_S8_S8_S8_S8_S8_EEEEZZNS1_29radix_sort_onesweep_iterationIS3_Lb0ENS6_6detail15normal_iteratorINS6_10device_ptrIjEEEESG_NSD_INSE_IS9_EEEESI_jNS0_19identity_decomposerENS1_16block_id_wrapperIjLb1EEEEE10hipError_tT1_PNSt15iterator_traitsISN_E10value_typeET2_T3_PNSO_IST_E10value_typeET4_T5_PSY_SZ_PNS1_23onesweep_lookback_stateEbbT6_jjT7_P12ihipStream_tbENKUlT_T0_SN_SS_E_clISG_SG_SI_SI_EEDaS16_S17_SN_SS_EUlS16_E_NS1_11comp_targetILNS1_3genE9ELNS1_11target_archE1100ELNS1_3gpuE3ELNS1_3repE0EEENS1_47radix_sort_onesweep_sort_config_static_selectorELNS0_4arch9wavefront6targetE0EEEvSN_
	.p2align	8
	.type	_ZN7rocprim17ROCPRIM_400000_NS6detail17trampoline_kernelINS0_14default_configENS1_35radix_sort_onesweep_config_selectorIjN6thrust23THRUST_200600_302600_NS5tupleIffNS6_9null_typeES8_S8_S8_S8_S8_S8_S8_EEEEZZNS1_29radix_sort_onesweep_iterationIS3_Lb0ENS6_6detail15normal_iteratorINS6_10device_ptrIjEEEESG_NSD_INSE_IS9_EEEESI_jNS0_19identity_decomposerENS1_16block_id_wrapperIjLb1EEEEE10hipError_tT1_PNSt15iterator_traitsISN_E10value_typeET2_T3_PNSO_IST_E10value_typeET4_T5_PSY_SZ_PNS1_23onesweep_lookback_stateEbbT6_jjT7_P12ihipStream_tbENKUlT_T0_SN_SS_E_clISG_SG_SI_SI_EEDaS16_S17_SN_SS_EUlS16_E_NS1_11comp_targetILNS1_3genE9ELNS1_11target_archE1100ELNS1_3gpuE3ELNS1_3repE0EEENS1_47radix_sort_onesweep_sort_config_static_selectorELNS0_4arch9wavefront6targetE0EEEvSN_,@function
_ZN7rocprim17ROCPRIM_400000_NS6detail17trampoline_kernelINS0_14default_configENS1_35radix_sort_onesweep_config_selectorIjN6thrust23THRUST_200600_302600_NS5tupleIffNS6_9null_typeES8_S8_S8_S8_S8_S8_S8_EEEEZZNS1_29radix_sort_onesweep_iterationIS3_Lb0ENS6_6detail15normal_iteratorINS6_10device_ptrIjEEEESG_NSD_INSE_IS9_EEEESI_jNS0_19identity_decomposerENS1_16block_id_wrapperIjLb1EEEEE10hipError_tT1_PNSt15iterator_traitsISN_E10value_typeET2_T3_PNSO_IST_E10value_typeET4_T5_PSY_SZ_PNS1_23onesweep_lookback_stateEbbT6_jjT7_P12ihipStream_tbENKUlT_T0_SN_SS_E_clISG_SG_SI_SI_EEDaS16_S17_SN_SS_EUlS16_E_NS1_11comp_targetILNS1_3genE9ELNS1_11target_archE1100ELNS1_3gpuE3ELNS1_3repE0EEENS1_47radix_sort_onesweep_sort_config_static_selectorELNS0_4arch9wavefront6targetE0EEEvSN_: ; @_ZN7rocprim17ROCPRIM_400000_NS6detail17trampoline_kernelINS0_14default_configENS1_35radix_sort_onesweep_config_selectorIjN6thrust23THRUST_200600_302600_NS5tupleIffNS6_9null_typeES8_S8_S8_S8_S8_S8_S8_EEEEZZNS1_29radix_sort_onesweep_iterationIS3_Lb0ENS6_6detail15normal_iteratorINS6_10device_ptrIjEEEESG_NSD_INSE_IS9_EEEESI_jNS0_19identity_decomposerENS1_16block_id_wrapperIjLb1EEEEE10hipError_tT1_PNSt15iterator_traitsISN_E10value_typeET2_T3_PNSO_IST_E10value_typeET4_T5_PSY_SZ_PNS1_23onesweep_lookback_stateEbbT6_jjT7_P12ihipStream_tbENKUlT_T0_SN_SS_E_clISG_SG_SI_SI_EEDaS16_S17_SN_SS_EUlS16_E_NS1_11comp_targetILNS1_3genE9ELNS1_11target_archE1100ELNS1_3gpuE3ELNS1_3repE0EEENS1_47radix_sort_onesweep_sort_config_static_selectorELNS0_4arch9wavefront6targetE0EEEvSN_
; %bb.0:
	.section	.rodata,"a",@progbits
	.p2align	6, 0x0
	.amdhsa_kernel _ZN7rocprim17ROCPRIM_400000_NS6detail17trampoline_kernelINS0_14default_configENS1_35radix_sort_onesweep_config_selectorIjN6thrust23THRUST_200600_302600_NS5tupleIffNS6_9null_typeES8_S8_S8_S8_S8_S8_S8_EEEEZZNS1_29radix_sort_onesweep_iterationIS3_Lb0ENS6_6detail15normal_iteratorINS6_10device_ptrIjEEEESG_NSD_INSE_IS9_EEEESI_jNS0_19identity_decomposerENS1_16block_id_wrapperIjLb1EEEEE10hipError_tT1_PNSt15iterator_traitsISN_E10value_typeET2_T3_PNSO_IST_E10value_typeET4_T5_PSY_SZ_PNS1_23onesweep_lookback_stateEbbT6_jjT7_P12ihipStream_tbENKUlT_T0_SN_SS_E_clISG_SG_SI_SI_EEDaS16_S17_SN_SS_EUlS16_E_NS1_11comp_targetILNS1_3genE9ELNS1_11target_archE1100ELNS1_3gpuE3ELNS1_3repE0EEENS1_47radix_sort_onesweep_sort_config_static_selectorELNS0_4arch9wavefront6targetE0EEEvSN_
		.amdhsa_group_segment_fixed_size 0
		.amdhsa_private_segment_fixed_size 0
		.amdhsa_kernarg_size 88
		.amdhsa_user_sgpr_count 2
		.amdhsa_user_sgpr_dispatch_ptr 0
		.amdhsa_user_sgpr_queue_ptr 0
		.amdhsa_user_sgpr_kernarg_segment_ptr 1
		.amdhsa_user_sgpr_dispatch_id 0
		.amdhsa_user_sgpr_kernarg_preload_length 0
		.amdhsa_user_sgpr_kernarg_preload_offset 0
		.amdhsa_user_sgpr_private_segment_size 0
		.amdhsa_wavefront_size32 1
		.amdhsa_uses_dynamic_stack 0
		.amdhsa_enable_private_segment 0
		.amdhsa_system_sgpr_workgroup_id_x 1
		.amdhsa_system_sgpr_workgroup_id_y 0
		.amdhsa_system_sgpr_workgroup_id_z 0
		.amdhsa_system_sgpr_workgroup_info 0
		.amdhsa_system_vgpr_workitem_id 0
		.amdhsa_next_free_vgpr 1
		.amdhsa_next_free_sgpr 1
		.amdhsa_named_barrier_count 0
		.amdhsa_reserve_vcc 0
		.amdhsa_float_round_mode_32 0
		.amdhsa_float_round_mode_16_64 0
		.amdhsa_float_denorm_mode_32 3
		.amdhsa_float_denorm_mode_16_64 3
		.amdhsa_fp16_overflow 0
		.amdhsa_memory_ordered 1
		.amdhsa_forward_progress 1
		.amdhsa_inst_pref_size 0
		.amdhsa_round_robin_scheduling 0
		.amdhsa_exception_fp_ieee_invalid_op 0
		.amdhsa_exception_fp_denorm_src 0
		.amdhsa_exception_fp_ieee_div_zero 0
		.amdhsa_exception_fp_ieee_overflow 0
		.amdhsa_exception_fp_ieee_underflow 0
		.amdhsa_exception_fp_ieee_inexact 0
		.amdhsa_exception_int_div_zero 0
	.end_amdhsa_kernel
	.section	.text._ZN7rocprim17ROCPRIM_400000_NS6detail17trampoline_kernelINS0_14default_configENS1_35radix_sort_onesweep_config_selectorIjN6thrust23THRUST_200600_302600_NS5tupleIffNS6_9null_typeES8_S8_S8_S8_S8_S8_S8_EEEEZZNS1_29radix_sort_onesweep_iterationIS3_Lb0ENS6_6detail15normal_iteratorINS6_10device_ptrIjEEEESG_NSD_INSE_IS9_EEEESI_jNS0_19identity_decomposerENS1_16block_id_wrapperIjLb1EEEEE10hipError_tT1_PNSt15iterator_traitsISN_E10value_typeET2_T3_PNSO_IST_E10value_typeET4_T5_PSY_SZ_PNS1_23onesweep_lookback_stateEbbT6_jjT7_P12ihipStream_tbENKUlT_T0_SN_SS_E_clISG_SG_SI_SI_EEDaS16_S17_SN_SS_EUlS16_E_NS1_11comp_targetILNS1_3genE9ELNS1_11target_archE1100ELNS1_3gpuE3ELNS1_3repE0EEENS1_47radix_sort_onesweep_sort_config_static_selectorELNS0_4arch9wavefront6targetE0EEEvSN_,"axG",@progbits,_ZN7rocprim17ROCPRIM_400000_NS6detail17trampoline_kernelINS0_14default_configENS1_35radix_sort_onesweep_config_selectorIjN6thrust23THRUST_200600_302600_NS5tupleIffNS6_9null_typeES8_S8_S8_S8_S8_S8_S8_EEEEZZNS1_29radix_sort_onesweep_iterationIS3_Lb0ENS6_6detail15normal_iteratorINS6_10device_ptrIjEEEESG_NSD_INSE_IS9_EEEESI_jNS0_19identity_decomposerENS1_16block_id_wrapperIjLb1EEEEE10hipError_tT1_PNSt15iterator_traitsISN_E10value_typeET2_T3_PNSO_IST_E10value_typeET4_T5_PSY_SZ_PNS1_23onesweep_lookback_stateEbbT6_jjT7_P12ihipStream_tbENKUlT_T0_SN_SS_E_clISG_SG_SI_SI_EEDaS16_S17_SN_SS_EUlS16_E_NS1_11comp_targetILNS1_3genE9ELNS1_11target_archE1100ELNS1_3gpuE3ELNS1_3repE0EEENS1_47radix_sort_onesweep_sort_config_static_selectorELNS0_4arch9wavefront6targetE0EEEvSN_,comdat
.Lfunc_end182:
	.size	_ZN7rocprim17ROCPRIM_400000_NS6detail17trampoline_kernelINS0_14default_configENS1_35radix_sort_onesweep_config_selectorIjN6thrust23THRUST_200600_302600_NS5tupleIffNS6_9null_typeES8_S8_S8_S8_S8_S8_S8_EEEEZZNS1_29radix_sort_onesweep_iterationIS3_Lb0ENS6_6detail15normal_iteratorINS6_10device_ptrIjEEEESG_NSD_INSE_IS9_EEEESI_jNS0_19identity_decomposerENS1_16block_id_wrapperIjLb1EEEEE10hipError_tT1_PNSt15iterator_traitsISN_E10value_typeET2_T3_PNSO_IST_E10value_typeET4_T5_PSY_SZ_PNS1_23onesweep_lookback_stateEbbT6_jjT7_P12ihipStream_tbENKUlT_T0_SN_SS_E_clISG_SG_SI_SI_EEDaS16_S17_SN_SS_EUlS16_E_NS1_11comp_targetILNS1_3genE9ELNS1_11target_archE1100ELNS1_3gpuE3ELNS1_3repE0EEENS1_47radix_sort_onesweep_sort_config_static_selectorELNS0_4arch9wavefront6targetE0EEEvSN_, .Lfunc_end182-_ZN7rocprim17ROCPRIM_400000_NS6detail17trampoline_kernelINS0_14default_configENS1_35radix_sort_onesweep_config_selectorIjN6thrust23THRUST_200600_302600_NS5tupleIffNS6_9null_typeES8_S8_S8_S8_S8_S8_S8_EEEEZZNS1_29radix_sort_onesweep_iterationIS3_Lb0ENS6_6detail15normal_iteratorINS6_10device_ptrIjEEEESG_NSD_INSE_IS9_EEEESI_jNS0_19identity_decomposerENS1_16block_id_wrapperIjLb1EEEEE10hipError_tT1_PNSt15iterator_traitsISN_E10value_typeET2_T3_PNSO_IST_E10value_typeET4_T5_PSY_SZ_PNS1_23onesweep_lookback_stateEbbT6_jjT7_P12ihipStream_tbENKUlT_T0_SN_SS_E_clISG_SG_SI_SI_EEDaS16_S17_SN_SS_EUlS16_E_NS1_11comp_targetILNS1_3genE9ELNS1_11target_archE1100ELNS1_3gpuE3ELNS1_3repE0EEENS1_47radix_sort_onesweep_sort_config_static_selectorELNS0_4arch9wavefront6targetE0EEEvSN_
                                        ; -- End function
	.set _ZN7rocprim17ROCPRIM_400000_NS6detail17trampoline_kernelINS0_14default_configENS1_35radix_sort_onesweep_config_selectorIjN6thrust23THRUST_200600_302600_NS5tupleIffNS6_9null_typeES8_S8_S8_S8_S8_S8_S8_EEEEZZNS1_29radix_sort_onesweep_iterationIS3_Lb0ENS6_6detail15normal_iteratorINS6_10device_ptrIjEEEESG_NSD_INSE_IS9_EEEESI_jNS0_19identity_decomposerENS1_16block_id_wrapperIjLb1EEEEE10hipError_tT1_PNSt15iterator_traitsISN_E10value_typeET2_T3_PNSO_IST_E10value_typeET4_T5_PSY_SZ_PNS1_23onesweep_lookback_stateEbbT6_jjT7_P12ihipStream_tbENKUlT_T0_SN_SS_E_clISG_SG_SI_SI_EEDaS16_S17_SN_SS_EUlS16_E_NS1_11comp_targetILNS1_3genE9ELNS1_11target_archE1100ELNS1_3gpuE3ELNS1_3repE0EEENS1_47radix_sort_onesweep_sort_config_static_selectorELNS0_4arch9wavefront6targetE0EEEvSN_.num_vgpr, 0
	.set _ZN7rocprim17ROCPRIM_400000_NS6detail17trampoline_kernelINS0_14default_configENS1_35radix_sort_onesweep_config_selectorIjN6thrust23THRUST_200600_302600_NS5tupleIffNS6_9null_typeES8_S8_S8_S8_S8_S8_S8_EEEEZZNS1_29radix_sort_onesweep_iterationIS3_Lb0ENS6_6detail15normal_iteratorINS6_10device_ptrIjEEEESG_NSD_INSE_IS9_EEEESI_jNS0_19identity_decomposerENS1_16block_id_wrapperIjLb1EEEEE10hipError_tT1_PNSt15iterator_traitsISN_E10value_typeET2_T3_PNSO_IST_E10value_typeET4_T5_PSY_SZ_PNS1_23onesweep_lookback_stateEbbT6_jjT7_P12ihipStream_tbENKUlT_T0_SN_SS_E_clISG_SG_SI_SI_EEDaS16_S17_SN_SS_EUlS16_E_NS1_11comp_targetILNS1_3genE9ELNS1_11target_archE1100ELNS1_3gpuE3ELNS1_3repE0EEENS1_47radix_sort_onesweep_sort_config_static_selectorELNS0_4arch9wavefront6targetE0EEEvSN_.num_agpr, 0
	.set _ZN7rocprim17ROCPRIM_400000_NS6detail17trampoline_kernelINS0_14default_configENS1_35radix_sort_onesweep_config_selectorIjN6thrust23THRUST_200600_302600_NS5tupleIffNS6_9null_typeES8_S8_S8_S8_S8_S8_S8_EEEEZZNS1_29radix_sort_onesweep_iterationIS3_Lb0ENS6_6detail15normal_iteratorINS6_10device_ptrIjEEEESG_NSD_INSE_IS9_EEEESI_jNS0_19identity_decomposerENS1_16block_id_wrapperIjLb1EEEEE10hipError_tT1_PNSt15iterator_traitsISN_E10value_typeET2_T3_PNSO_IST_E10value_typeET4_T5_PSY_SZ_PNS1_23onesweep_lookback_stateEbbT6_jjT7_P12ihipStream_tbENKUlT_T0_SN_SS_E_clISG_SG_SI_SI_EEDaS16_S17_SN_SS_EUlS16_E_NS1_11comp_targetILNS1_3genE9ELNS1_11target_archE1100ELNS1_3gpuE3ELNS1_3repE0EEENS1_47radix_sort_onesweep_sort_config_static_selectorELNS0_4arch9wavefront6targetE0EEEvSN_.numbered_sgpr, 0
	.set _ZN7rocprim17ROCPRIM_400000_NS6detail17trampoline_kernelINS0_14default_configENS1_35radix_sort_onesweep_config_selectorIjN6thrust23THRUST_200600_302600_NS5tupleIffNS6_9null_typeES8_S8_S8_S8_S8_S8_S8_EEEEZZNS1_29radix_sort_onesweep_iterationIS3_Lb0ENS6_6detail15normal_iteratorINS6_10device_ptrIjEEEESG_NSD_INSE_IS9_EEEESI_jNS0_19identity_decomposerENS1_16block_id_wrapperIjLb1EEEEE10hipError_tT1_PNSt15iterator_traitsISN_E10value_typeET2_T3_PNSO_IST_E10value_typeET4_T5_PSY_SZ_PNS1_23onesweep_lookback_stateEbbT6_jjT7_P12ihipStream_tbENKUlT_T0_SN_SS_E_clISG_SG_SI_SI_EEDaS16_S17_SN_SS_EUlS16_E_NS1_11comp_targetILNS1_3genE9ELNS1_11target_archE1100ELNS1_3gpuE3ELNS1_3repE0EEENS1_47radix_sort_onesweep_sort_config_static_selectorELNS0_4arch9wavefront6targetE0EEEvSN_.num_named_barrier, 0
	.set _ZN7rocprim17ROCPRIM_400000_NS6detail17trampoline_kernelINS0_14default_configENS1_35radix_sort_onesweep_config_selectorIjN6thrust23THRUST_200600_302600_NS5tupleIffNS6_9null_typeES8_S8_S8_S8_S8_S8_S8_EEEEZZNS1_29radix_sort_onesweep_iterationIS3_Lb0ENS6_6detail15normal_iteratorINS6_10device_ptrIjEEEESG_NSD_INSE_IS9_EEEESI_jNS0_19identity_decomposerENS1_16block_id_wrapperIjLb1EEEEE10hipError_tT1_PNSt15iterator_traitsISN_E10value_typeET2_T3_PNSO_IST_E10value_typeET4_T5_PSY_SZ_PNS1_23onesweep_lookback_stateEbbT6_jjT7_P12ihipStream_tbENKUlT_T0_SN_SS_E_clISG_SG_SI_SI_EEDaS16_S17_SN_SS_EUlS16_E_NS1_11comp_targetILNS1_3genE9ELNS1_11target_archE1100ELNS1_3gpuE3ELNS1_3repE0EEENS1_47radix_sort_onesweep_sort_config_static_selectorELNS0_4arch9wavefront6targetE0EEEvSN_.private_seg_size, 0
	.set _ZN7rocprim17ROCPRIM_400000_NS6detail17trampoline_kernelINS0_14default_configENS1_35radix_sort_onesweep_config_selectorIjN6thrust23THRUST_200600_302600_NS5tupleIffNS6_9null_typeES8_S8_S8_S8_S8_S8_S8_EEEEZZNS1_29radix_sort_onesweep_iterationIS3_Lb0ENS6_6detail15normal_iteratorINS6_10device_ptrIjEEEESG_NSD_INSE_IS9_EEEESI_jNS0_19identity_decomposerENS1_16block_id_wrapperIjLb1EEEEE10hipError_tT1_PNSt15iterator_traitsISN_E10value_typeET2_T3_PNSO_IST_E10value_typeET4_T5_PSY_SZ_PNS1_23onesweep_lookback_stateEbbT6_jjT7_P12ihipStream_tbENKUlT_T0_SN_SS_E_clISG_SG_SI_SI_EEDaS16_S17_SN_SS_EUlS16_E_NS1_11comp_targetILNS1_3genE9ELNS1_11target_archE1100ELNS1_3gpuE3ELNS1_3repE0EEENS1_47radix_sort_onesweep_sort_config_static_selectorELNS0_4arch9wavefront6targetE0EEEvSN_.uses_vcc, 0
	.set _ZN7rocprim17ROCPRIM_400000_NS6detail17trampoline_kernelINS0_14default_configENS1_35radix_sort_onesweep_config_selectorIjN6thrust23THRUST_200600_302600_NS5tupleIffNS6_9null_typeES8_S8_S8_S8_S8_S8_S8_EEEEZZNS1_29radix_sort_onesweep_iterationIS3_Lb0ENS6_6detail15normal_iteratorINS6_10device_ptrIjEEEESG_NSD_INSE_IS9_EEEESI_jNS0_19identity_decomposerENS1_16block_id_wrapperIjLb1EEEEE10hipError_tT1_PNSt15iterator_traitsISN_E10value_typeET2_T3_PNSO_IST_E10value_typeET4_T5_PSY_SZ_PNS1_23onesweep_lookback_stateEbbT6_jjT7_P12ihipStream_tbENKUlT_T0_SN_SS_E_clISG_SG_SI_SI_EEDaS16_S17_SN_SS_EUlS16_E_NS1_11comp_targetILNS1_3genE9ELNS1_11target_archE1100ELNS1_3gpuE3ELNS1_3repE0EEENS1_47radix_sort_onesweep_sort_config_static_selectorELNS0_4arch9wavefront6targetE0EEEvSN_.uses_flat_scratch, 0
	.set _ZN7rocprim17ROCPRIM_400000_NS6detail17trampoline_kernelINS0_14default_configENS1_35radix_sort_onesweep_config_selectorIjN6thrust23THRUST_200600_302600_NS5tupleIffNS6_9null_typeES8_S8_S8_S8_S8_S8_S8_EEEEZZNS1_29radix_sort_onesweep_iterationIS3_Lb0ENS6_6detail15normal_iteratorINS6_10device_ptrIjEEEESG_NSD_INSE_IS9_EEEESI_jNS0_19identity_decomposerENS1_16block_id_wrapperIjLb1EEEEE10hipError_tT1_PNSt15iterator_traitsISN_E10value_typeET2_T3_PNSO_IST_E10value_typeET4_T5_PSY_SZ_PNS1_23onesweep_lookback_stateEbbT6_jjT7_P12ihipStream_tbENKUlT_T0_SN_SS_E_clISG_SG_SI_SI_EEDaS16_S17_SN_SS_EUlS16_E_NS1_11comp_targetILNS1_3genE9ELNS1_11target_archE1100ELNS1_3gpuE3ELNS1_3repE0EEENS1_47radix_sort_onesweep_sort_config_static_selectorELNS0_4arch9wavefront6targetE0EEEvSN_.has_dyn_sized_stack, 0
	.set _ZN7rocprim17ROCPRIM_400000_NS6detail17trampoline_kernelINS0_14default_configENS1_35radix_sort_onesweep_config_selectorIjN6thrust23THRUST_200600_302600_NS5tupleIffNS6_9null_typeES8_S8_S8_S8_S8_S8_S8_EEEEZZNS1_29radix_sort_onesweep_iterationIS3_Lb0ENS6_6detail15normal_iteratorINS6_10device_ptrIjEEEESG_NSD_INSE_IS9_EEEESI_jNS0_19identity_decomposerENS1_16block_id_wrapperIjLb1EEEEE10hipError_tT1_PNSt15iterator_traitsISN_E10value_typeET2_T3_PNSO_IST_E10value_typeET4_T5_PSY_SZ_PNS1_23onesweep_lookback_stateEbbT6_jjT7_P12ihipStream_tbENKUlT_T0_SN_SS_E_clISG_SG_SI_SI_EEDaS16_S17_SN_SS_EUlS16_E_NS1_11comp_targetILNS1_3genE9ELNS1_11target_archE1100ELNS1_3gpuE3ELNS1_3repE0EEENS1_47radix_sort_onesweep_sort_config_static_selectorELNS0_4arch9wavefront6targetE0EEEvSN_.has_recursion, 0
	.set _ZN7rocprim17ROCPRIM_400000_NS6detail17trampoline_kernelINS0_14default_configENS1_35radix_sort_onesweep_config_selectorIjN6thrust23THRUST_200600_302600_NS5tupleIffNS6_9null_typeES8_S8_S8_S8_S8_S8_S8_EEEEZZNS1_29radix_sort_onesweep_iterationIS3_Lb0ENS6_6detail15normal_iteratorINS6_10device_ptrIjEEEESG_NSD_INSE_IS9_EEEESI_jNS0_19identity_decomposerENS1_16block_id_wrapperIjLb1EEEEE10hipError_tT1_PNSt15iterator_traitsISN_E10value_typeET2_T3_PNSO_IST_E10value_typeET4_T5_PSY_SZ_PNS1_23onesweep_lookback_stateEbbT6_jjT7_P12ihipStream_tbENKUlT_T0_SN_SS_E_clISG_SG_SI_SI_EEDaS16_S17_SN_SS_EUlS16_E_NS1_11comp_targetILNS1_3genE9ELNS1_11target_archE1100ELNS1_3gpuE3ELNS1_3repE0EEENS1_47radix_sort_onesweep_sort_config_static_selectorELNS0_4arch9wavefront6targetE0EEEvSN_.has_indirect_call, 0
	.section	.AMDGPU.csdata,"",@progbits
; Kernel info:
; codeLenInByte = 0
; TotalNumSgprs: 0
; NumVgprs: 0
; ScratchSize: 0
; MemoryBound: 0
; FloatMode: 240
; IeeeMode: 1
; LDSByteSize: 0 bytes/workgroup (compile time only)
; SGPRBlocks: 0
; VGPRBlocks: 0
; NumSGPRsForWavesPerEU: 1
; NumVGPRsForWavesPerEU: 1
; NamedBarCnt: 0
; Occupancy: 16
; WaveLimiterHint : 0
; COMPUTE_PGM_RSRC2:SCRATCH_EN: 0
; COMPUTE_PGM_RSRC2:USER_SGPR: 2
; COMPUTE_PGM_RSRC2:TRAP_HANDLER: 0
; COMPUTE_PGM_RSRC2:TGID_X_EN: 1
; COMPUTE_PGM_RSRC2:TGID_Y_EN: 0
; COMPUTE_PGM_RSRC2:TGID_Z_EN: 0
; COMPUTE_PGM_RSRC2:TIDIG_COMP_CNT: 0
	.section	.text._ZN7rocprim17ROCPRIM_400000_NS6detail17trampoline_kernelINS0_14default_configENS1_35radix_sort_onesweep_config_selectorIjN6thrust23THRUST_200600_302600_NS5tupleIffNS6_9null_typeES8_S8_S8_S8_S8_S8_S8_EEEEZZNS1_29radix_sort_onesweep_iterationIS3_Lb0ENS6_6detail15normal_iteratorINS6_10device_ptrIjEEEESG_NSD_INSE_IS9_EEEESI_jNS0_19identity_decomposerENS1_16block_id_wrapperIjLb1EEEEE10hipError_tT1_PNSt15iterator_traitsISN_E10value_typeET2_T3_PNSO_IST_E10value_typeET4_T5_PSY_SZ_PNS1_23onesweep_lookback_stateEbbT6_jjT7_P12ihipStream_tbENKUlT_T0_SN_SS_E_clISG_SG_SI_SI_EEDaS16_S17_SN_SS_EUlS16_E_NS1_11comp_targetILNS1_3genE8ELNS1_11target_archE1030ELNS1_3gpuE2ELNS1_3repE0EEENS1_47radix_sort_onesweep_sort_config_static_selectorELNS0_4arch9wavefront6targetE0EEEvSN_,"axG",@progbits,_ZN7rocprim17ROCPRIM_400000_NS6detail17trampoline_kernelINS0_14default_configENS1_35radix_sort_onesweep_config_selectorIjN6thrust23THRUST_200600_302600_NS5tupleIffNS6_9null_typeES8_S8_S8_S8_S8_S8_S8_EEEEZZNS1_29radix_sort_onesweep_iterationIS3_Lb0ENS6_6detail15normal_iteratorINS6_10device_ptrIjEEEESG_NSD_INSE_IS9_EEEESI_jNS0_19identity_decomposerENS1_16block_id_wrapperIjLb1EEEEE10hipError_tT1_PNSt15iterator_traitsISN_E10value_typeET2_T3_PNSO_IST_E10value_typeET4_T5_PSY_SZ_PNS1_23onesweep_lookback_stateEbbT6_jjT7_P12ihipStream_tbENKUlT_T0_SN_SS_E_clISG_SG_SI_SI_EEDaS16_S17_SN_SS_EUlS16_E_NS1_11comp_targetILNS1_3genE8ELNS1_11target_archE1030ELNS1_3gpuE2ELNS1_3repE0EEENS1_47radix_sort_onesweep_sort_config_static_selectorELNS0_4arch9wavefront6targetE0EEEvSN_,comdat
	.protected	_ZN7rocprim17ROCPRIM_400000_NS6detail17trampoline_kernelINS0_14default_configENS1_35radix_sort_onesweep_config_selectorIjN6thrust23THRUST_200600_302600_NS5tupleIffNS6_9null_typeES8_S8_S8_S8_S8_S8_S8_EEEEZZNS1_29radix_sort_onesweep_iterationIS3_Lb0ENS6_6detail15normal_iteratorINS6_10device_ptrIjEEEESG_NSD_INSE_IS9_EEEESI_jNS0_19identity_decomposerENS1_16block_id_wrapperIjLb1EEEEE10hipError_tT1_PNSt15iterator_traitsISN_E10value_typeET2_T3_PNSO_IST_E10value_typeET4_T5_PSY_SZ_PNS1_23onesweep_lookback_stateEbbT6_jjT7_P12ihipStream_tbENKUlT_T0_SN_SS_E_clISG_SG_SI_SI_EEDaS16_S17_SN_SS_EUlS16_E_NS1_11comp_targetILNS1_3genE8ELNS1_11target_archE1030ELNS1_3gpuE2ELNS1_3repE0EEENS1_47radix_sort_onesweep_sort_config_static_selectorELNS0_4arch9wavefront6targetE0EEEvSN_ ; -- Begin function _ZN7rocprim17ROCPRIM_400000_NS6detail17trampoline_kernelINS0_14default_configENS1_35radix_sort_onesweep_config_selectorIjN6thrust23THRUST_200600_302600_NS5tupleIffNS6_9null_typeES8_S8_S8_S8_S8_S8_S8_EEEEZZNS1_29radix_sort_onesweep_iterationIS3_Lb0ENS6_6detail15normal_iteratorINS6_10device_ptrIjEEEESG_NSD_INSE_IS9_EEEESI_jNS0_19identity_decomposerENS1_16block_id_wrapperIjLb1EEEEE10hipError_tT1_PNSt15iterator_traitsISN_E10value_typeET2_T3_PNSO_IST_E10value_typeET4_T5_PSY_SZ_PNS1_23onesweep_lookback_stateEbbT6_jjT7_P12ihipStream_tbENKUlT_T0_SN_SS_E_clISG_SG_SI_SI_EEDaS16_S17_SN_SS_EUlS16_E_NS1_11comp_targetILNS1_3genE8ELNS1_11target_archE1030ELNS1_3gpuE2ELNS1_3repE0EEENS1_47radix_sort_onesweep_sort_config_static_selectorELNS0_4arch9wavefront6targetE0EEEvSN_
	.globl	_ZN7rocprim17ROCPRIM_400000_NS6detail17trampoline_kernelINS0_14default_configENS1_35radix_sort_onesweep_config_selectorIjN6thrust23THRUST_200600_302600_NS5tupleIffNS6_9null_typeES8_S8_S8_S8_S8_S8_S8_EEEEZZNS1_29radix_sort_onesweep_iterationIS3_Lb0ENS6_6detail15normal_iteratorINS6_10device_ptrIjEEEESG_NSD_INSE_IS9_EEEESI_jNS0_19identity_decomposerENS1_16block_id_wrapperIjLb1EEEEE10hipError_tT1_PNSt15iterator_traitsISN_E10value_typeET2_T3_PNSO_IST_E10value_typeET4_T5_PSY_SZ_PNS1_23onesweep_lookback_stateEbbT6_jjT7_P12ihipStream_tbENKUlT_T0_SN_SS_E_clISG_SG_SI_SI_EEDaS16_S17_SN_SS_EUlS16_E_NS1_11comp_targetILNS1_3genE8ELNS1_11target_archE1030ELNS1_3gpuE2ELNS1_3repE0EEENS1_47radix_sort_onesweep_sort_config_static_selectorELNS0_4arch9wavefront6targetE0EEEvSN_
	.p2align	8
	.type	_ZN7rocprim17ROCPRIM_400000_NS6detail17trampoline_kernelINS0_14default_configENS1_35radix_sort_onesweep_config_selectorIjN6thrust23THRUST_200600_302600_NS5tupleIffNS6_9null_typeES8_S8_S8_S8_S8_S8_S8_EEEEZZNS1_29radix_sort_onesweep_iterationIS3_Lb0ENS6_6detail15normal_iteratorINS6_10device_ptrIjEEEESG_NSD_INSE_IS9_EEEESI_jNS0_19identity_decomposerENS1_16block_id_wrapperIjLb1EEEEE10hipError_tT1_PNSt15iterator_traitsISN_E10value_typeET2_T3_PNSO_IST_E10value_typeET4_T5_PSY_SZ_PNS1_23onesweep_lookback_stateEbbT6_jjT7_P12ihipStream_tbENKUlT_T0_SN_SS_E_clISG_SG_SI_SI_EEDaS16_S17_SN_SS_EUlS16_E_NS1_11comp_targetILNS1_3genE8ELNS1_11target_archE1030ELNS1_3gpuE2ELNS1_3repE0EEENS1_47radix_sort_onesweep_sort_config_static_selectorELNS0_4arch9wavefront6targetE0EEEvSN_,@function
_ZN7rocprim17ROCPRIM_400000_NS6detail17trampoline_kernelINS0_14default_configENS1_35radix_sort_onesweep_config_selectorIjN6thrust23THRUST_200600_302600_NS5tupleIffNS6_9null_typeES8_S8_S8_S8_S8_S8_S8_EEEEZZNS1_29radix_sort_onesweep_iterationIS3_Lb0ENS6_6detail15normal_iteratorINS6_10device_ptrIjEEEESG_NSD_INSE_IS9_EEEESI_jNS0_19identity_decomposerENS1_16block_id_wrapperIjLb1EEEEE10hipError_tT1_PNSt15iterator_traitsISN_E10value_typeET2_T3_PNSO_IST_E10value_typeET4_T5_PSY_SZ_PNS1_23onesweep_lookback_stateEbbT6_jjT7_P12ihipStream_tbENKUlT_T0_SN_SS_E_clISG_SG_SI_SI_EEDaS16_S17_SN_SS_EUlS16_E_NS1_11comp_targetILNS1_3genE8ELNS1_11target_archE1030ELNS1_3gpuE2ELNS1_3repE0EEENS1_47radix_sort_onesweep_sort_config_static_selectorELNS0_4arch9wavefront6targetE0EEEvSN_: ; @_ZN7rocprim17ROCPRIM_400000_NS6detail17trampoline_kernelINS0_14default_configENS1_35radix_sort_onesweep_config_selectorIjN6thrust23THRUST_200600_302600_NS5tupleIffNS6_9null_typeES8_S8_S8_S8_S8_S8_S8_EEEEZZNS1_29radix_sort_onesweep_iterationIS3_Lb0ENS6_6detail15normal_iteratorINS6_10device_ptrIjEEEESG_NSD_INSE_IS9_EEEESI_jNS0_19identity_decomposerENS1_16block_id_wrapperIjLb1EEEEE10hipError_tT1_PNSt15iterator_traitsISN_E10value_typeET2_T3_PNSO_IST_E10value_typeET4_T5_PSY_SZ_PNS1_23onesweep_lookback_stateEbbT6_jjT7_P12ihipStream_tbENKUlT_T0_SN_SS_E_clISG_SG_SI_SI_EEDaS16_S17_SN_SS_EUlS16_E_NS1_11comp_targetILNS1_3genE8ELNS1_11target_archE1030ELNS1_3gpuE2ELNS1_3repE0EEENS1_47radix_sort_onesweep_sort_config_static_selectorELNS0_4arch9wavefront6targetE0EEEvSN_
; %bb.0:
	.section	.rodata,"a",@progbits
	.p2align	6, 0x0
	.amdhsa_kernel _ZN7rocprim17ROCPRIM_400000_NS6detail17trampoline_kernelINS0_14default_configENS1_35radix_sort_onesweep_config_selectorIjN6thrust23THRUST_200600_302600_NS5tupleIffNS6_9null_typeES8_S8_S8_S8_S8_S8_S8_EEEEZZNS1_29radix_sort_onesweep_iterationIS3_Lb0ENS6_6detail15normal_iteratorINS6_10device_ptrIjEEEESG_NSD_INSE_IS9_EEEESI_jNS0_19identity_decomposerENS1_16block_id_wrapperIjLb1EEEEE10hipError_tT1_PNSt15iterator_traitsISN_E10value_typeET2_T3_PNSO_IST_E10value_typeET4_T5_PSY_SZ_PNS1_23onesweep_lookback_stateEbbT6_jjT7_P12ihipStream_tbENKUlT_T0_SN_SS_E_clISG_SG_SI_SI_EEDaS16_S17_SN_SS_EUlS16_E_NS1_11comp_targetILNS1_3genE8ELNS1_11target_archE1030ELNS1_3gpuE2ELNS1_3repE0EEENS1_47radix_sort_onesweep_sort_config_static_selectorELNS0_4arch9wavefront6targetE0EEEvSN_
		.amdhsa_group_segment_fixed_size 0
		.amdhsa_private_segment_fixed_size 0
		.amdhsa_kernarg_size 88
		.amdhsa_user_sgpr_count 2
		.amdhsa_user_sgpr_dispatch_ptr 0
		.amdhsa_user_sgpr_queue_ptr 0
		.amdhsa_user_sgpr_kernarg_segment_ptr 1
		.amdhsa_user_sgpr_dispatch_id 0
		.amdhsa_user_sgpr_kernarg_preload_length 0
		.amdhsa_user_sgpr_kernarg_preload_offset 0
		.amdhsa_user_sgpr_private_segment_size 0
		.amdhsa_wavefront_size32 1
		.amdhsa_uses_dynamic_stack 0
		.amdhsa_enable_private_segment 0
		.amdhsa_system_sgpr_workgroup_id_x 1
		.amdhsa_system_sgpr_workgroup_id_y 0
		.amdhsa_system_sgpr_workgroup_id_z 0
		.amdhsa_system_sgpr_workgroup_info 0
		.amdhsa_system_vgpr_workitem_id 0
		.amdhsa_next_free_vgpr 1
		.amdhsa_next_free_sgpr 1
		.amdhsa_named_barrier_count 0
		.amdhsa_reserve_vcc 0
		.amdhsa_float_round_mode_32 0
		.amdhsa_float_round_mode_16_64 0
		.amdhsa_float_denorm_mode_32 3
		.amdhsa_float_denorm_mode_16_64 3
		.amdhsa_fp16_overflow 0
		.amdhsa_memory_ordered 1
		.amdhsa_forward_progress 1
		.amdhsa_inst_pref_size 0
		.amdhsa_round_robin_scheduling 0
		.amdhsa_exception_fp_ieee_invalid_op 0
		.amdhsa_exception_fp_denorm_src 0
		.amdhsa_exception_fp_ieee_div_zero 0
		.amdhsa_exception_fp_ieee_overflow 0
		.amdhsa_exception_fp_ieee_underflow 0
		.amdhsa_exception_fp_ieee_inexact 0
		.amdhsa_exception_int_div_zero 0
	.end_amdhsa_kernel
	.section	.text._ZN7rocprim17ROCPRIM_400000_NS6detail17trampoline_kernelINS0_14default_configENS1_35radix_sort_onesweep_config_selectorIjN6thrust23THRUST_200600_302600_NS5tupleIffNS6_9null_typeES8_S8_S8_S8_S8_S8_S8_EEEEZZNS1_29radix_sort_onesweep_iterationIS3_Lb0ENS6_6detail15normal_iteratorINS6_10device_ptrIjEEEESG_NSD_INSE_IS9_EEEESI_jNS0_19identity_decomposerENS1_16block_id_wrapperIjLb1EEEEE10hipError_tT1_PNSt15iterator_traitsISN_E10value_typeET2_T3_PNSO_IST_E10value_typeET4_T5_PSY_SZ_PNS1_23onesweep_lookback_stateEbbT6_jjT7_P12ihipStream_tbENKUlT_T0_SN_SS_E_clISG_SG_SI_SI_EEDaS16_S17_SN_SS_EUlS16_E_NS1_11comp_targetILNS1_3genE8ELNS1_11target_archE1030ELNS1_3gpuE2ELNS1_3repE0EEENS1_47radix_sort_onesweep_sort_config_static_selectorELNS0_4arch9wavefront6targetE0EEEvSN_,"axG",@progbits,_ZN7rocprim17ROCPRIM_400000_NS6detail17trampoline_kernelINS0_14default_configENS1_35radix_sort_onesweep_config_selectorIjN6thrust23THRUST_200600_302600_NS5tupleIffNS6_9null_typeES8_S8_S8_S8_S8_S8_S8_EEEEZZNS1_29radix_sort_onesweep_iterationIS3_Lb0ENS6_6detail15normal_iteratorINS6_10device_ptrIjEEEESG_NSD_INSE_IS9_EEEESI_jNS0_19identity_decomposerENS1_16block_id_wrapperIjLb1EEEEE10hipError_tT1_PNSt15iterator_traitsISN_E10value_typeET2_T3_PNSO_IST_E10value_typeET4_T5_PSY_SZ_PNS1_23onesweep_lookback_stateEbbT6_jjT7_P12ihipStream_tbENKUlT_T0_SN_SS_E_clISG_SG_SI_SI_EEDaS16_S17_SN_SS_EUlS16_E_NS1_11comp_targetILNS1_3genE8ELNS1_11target_archE1030ELNS1_3gpuE2ELNS1_3repE0EEENS1_47radix_sort_onesweep_sort_config_static_selectorELNS0_4arch9wavefront6targetE0EEEvSN_,comdat
.Lfunc_end183:
	.size	_ZN7rocprim17ROCPRIM_400000_NS6detail17trampoline_kernelINS0_14default_configENS1_35radix_sort_onesweep_config_selectorIjN6thrust23THRUST_200600_302600_NS5tupleIffNS6_9null_typeES8_S8_S8_S8_S8_S8_S8_EEEEZZNS1_29radix_sort_onesweep_iterationIS3_Lb0ENS6_6detail15normal_iteratorINS6_10device_ptrIjEEEESG_NSD_INSE_IS9_EEEESI_jNS0_19identity_decomposerENS1_16block_id_wrapperIjLb1EEEEE10hipError_tT1_PNSt15iterator_traitsISN_E10value_typeET2_T3_PNSO_IST_E10value_typeET4_T5_PSY_SZ_PNS1_23onesweep_lookback_stateEbbT6_jjT7_P12ihipStream_tbENKUlT_T0_SN_SS_E_clISG_SG_SI_SI_EEDaS16_S17_SN_SS_EUlS16_E_NS1_11comp_targetILNS1_3genE8ELNS1_11target_archE1030ELNS1_3gpuE2ELNS1_3repE0EEENS1_47radix_sort_onesweep_sort_config_static_selectorELNS0_4arch9wavefront6targetE0EEEvSN_, .Lfunc_end183-_ZN7rocprim17ROCPRIM_400000_NS6detail17trampoline_kernelINS0_14default_configENS1_35radix_sort_onesweep_config_selectorIjN6thrust23THRUST_200600_302600_NS5tupleIffNS6_9null_typeES8_S8_S8_S8_S8_S8_S8_EEEEZZNS1_29radix_sort_onesweep_iterationIS3_Lb0ENS6_6detail15normal_iteratorINS6_10device_ptrIjEEEESG_NSD_INSE_IS9_EEEESI_jNS0_19identity_decomposerENS1_16block_id_wrapperIjLb1EEEEE10hipError_tT1_PNSt15iterator_traitsISN_E10value_typeET2_T3_PNSO_IST_E10value_typeET4_T5_PSY_SZ_PNS1_23onesweep_lookback_stateEbbT6_jjT7_P12ihipStream_tbENKUlT_T0_SN_SS_E_clISG_SG_SI_SI_EEDaS16_S17_SN_SS_EUlS16_E_NS1_11comp_targetILNS1_3genE8ELNS1_11target_archE1030ELNS1_3gpuE2ELNS1_3repE0EEENS1_47radix_sort_onesweep_sort_config_static_selectorELNS0_4arch9wavefront6targetE0EEEvSN_
                                        ; -- End function
	.set _ZN7rocprim17ROCPRIM_400000_NS6detail17trampoline_kernelINS0_14default_configENS1_35radix_sort_onesweep_config_selectorIjN6thrust23THRUST_200600_302600_NS5tupleIffNS6_9null_typeES8_S8_S8_S8_S8_S8_S8_EEEEZZNS1_29radix_sort_onesweep_iterationIS3_Lb0ENS6_6detail15normal_iteratorINS6_10device_ptrIjEEEESG_NSD_INSE_IS9_EEEESI_jNS0_19identity_decomposerENS1_16block_id_wrapperIjLb1EEEEE10hipError_tT1_PNSt15iterator_traitsISN_E10value_typeET2_T3_PNSO_IST_E10value_typeET4_T5_PSY_SZ_PNS1_23onesweep_lookback_stateEbbT6_jjT7_P12ihipStream_tbENKUlT_T0_SN_SS_E_clISG_SG_SI_SI_EEDaS16_S17_SN_SS_EUlS16_E_NS1_11comp_targetILNS1_3genE8ELNS1_11target_archE1030ELNS1_3gpuE2ELNS1_3repE0EEENS1_47radix_sort_onesweep_sort_config_static_selectorELNS0_4arch9wavefront6targetE0EEEvSN_.num_vgpr, 0
	.set _ZN7rocprim17ROCPRIM_400000_NS6detail17trampoline_kernelINS0_14default_configENS1_35radix_sort_onesweep_config_selectorIjN6thrust23THRUST_200600_302600_NS5tupleIffNS6_9null_typeES8_S8_S8_S8_S8_S8_S8_EEEEZZNS1_29radix_sort_onesweep_iterationIS3_Lb0ENS6_6detail15normal_iteratorINS6_10device_ptrIjEEEESG_NSD_INSE_IS9_EEEESI_jNS0_19identity_decomposerENS1_16block_id_wrapperIjLb1EEEEE10hipError_tT1_PNSt15iterator_traitsISN_E10value_typeET2_T3_PNSO_IST_E10value_typeET4_T5_PSY_SZ_PNS1_23onesweep_lookback_stateEbbT6_jjT7_P12ihipStream_tbENKUlT_T0_SN_SS_E_clISG_SG_SI_SI_EEDaS16_S17_SN_SS_EUlS16_E_NS1_11comp_targetILNS1_3genE8ELNS1_11target_archE1030ELNS1_3gpuE2ELNS1_3repE0EEENS1_47radix_sort_onesweep_sort_config_static_selectorELNS0_4arch9wavefront6targetE0EEEvSN_.num_agpr, 0
	.set _ZN7rocprim17ROCPRIM_400000_NS6detail17trampoline_kernelINS0_14default_configENS1_35radix_sort_onesweep_config_selectorIjN6thrust23THRUST_200600_302600_NS5tupleIffNS6_9null_typeES8_S8_S8_S8_S8_S8_S8_EEEEZZNS1_29radix_sort_onesweep_iterationIS3_Lb0ENS6_6detail15normal_iteratorINS6_10device_ptrIjEEEESG_NSD_INSE_IS9_EEEESI_jNS0_19identity_decomposerENS1_16block_id_wrapperIjLb1EEEEE10hipError_tT1_PNSt15iterator_traitsISN_E10value_typeET2_T3_PNSO_IST_E10value_typeET4_T5_PSY_SZ_PNS1_23onesweep_lookback_stateEbbT6_jjT7_P12ihipStream_tbENKUlT_T0_SN_SS_E_clISG_SG_SI_SI_EEDaS16_S17_SN_SS_EUlS16_E_NS1_11comp_targetILNS1_3genE8ELNS1_11target_archE1030ELNS1_3gpuE2ELNS1_3repE0EEENS1_47radix_sort_onesweep_sort_config_static_selectorELNS0_4arch9wavefront6targetE0EEEvSN_.numbered_sgpr, 0
	.set _ZN7rocprim17ROCPRIM_400000_NS6detail17trampoline_kernelINS0_14default_configENS1_35radix_sort_onesweep_config_selectorIjN6thrust23THRUST_200600_302600_NS5tupleIffNS6_9null_typeES8_S8_S8_S8_S8_S8_S8_EEEEZZNS1_29radix_sort_onesweep_iterationIS3_Lb0ENS6_6detail15normal_iteratorINS6_10device_ptrIjEEEESG_NSD_INSE_IS9_EEEESI_jNS0_19identity_decomposerENS1_16block_id_wrapperIjLb1EEEEE10hipError_tT1_PNSt15iterator_traitsISN_E10value_typeET2_T3_PNSO_IST_E10value_typeET4_T5_PSY_SZ_PNS1_23onesweep_lookback_stateEbbT6_jjT7_P12ihipStream_tbENKUlT_T0_SN_SS_E_clISG_SG_SI_SI_EEDaS16_S17_SN_SS_EUlS16_E_NS1_11comp_targetILNS1_3genE8ELNS1_11target_archE1030ELNS1_3gpuE2ELNS1_3repE0EEENS1_47radix_sort_onesweep_sort_config_static_selectorELNS0_4arch9wavefront6targetE0EEEvSN_.num_named_barrier, 0
	.set _ZN7rocprim17ROCPRIM_400000_NS6detail17trampoline_kernelINS0_14default_configENS1_35radix_sort_onesweep_config_selectorIjN6thrust23THRUST_200600_302600_NS5tupleIffNS6_9null_typeES8_S8_S8_S8_S8_S8_S8_EEEEZZNS1_29radix_sort_onesweep_iterationIS3_Lb0ENS6_6detail15normal_iteratorINS6_10device_ptrIjEEEESG_NSD_INSE_IS9_EEEESI_jNS0_19identity_decomposerENS1_16block_id_wrapperIjLb1EEEEE10hipError_tT1_PNSt15iterator_traitsISN_E10value_typeET2_T3_PNSO_IST_E10value_typeET4_T5_PSY_SZ_PNS1_23onesweep_lookback_stateEbbT6_jjT7_P12ihipStream_tbENKUlT_T0_SN_SS_E_clISG_SG_SI_SI_EEDaS16_S17_SN_SS_EUlS16_E_NS1_11comp_targetILNS1_3genE8ELNS1_11target_archE1030ELNS1_3gpuE2ELNS1_3repE0EEENS1_47radix_sort_onesweep_sort_config_static_selectorELNS0_4arch9wavefront6targetE0EEEvSN_.private_seg_size, 0
	.set _ZN7rocprim17ROCPRIM_400000_NS6detail17trampoline_kernelINS0_14default_configENS1_35radix_sort_onesweep_config_selectorIjN6thrust23THRUST_200600_302600_NS5tupleIffNS6_9null_typeES8_S8_S8_S8_S8_S8_S8_EEEEZZNS1_29radix_sort_onesweep_iterationIS3_Lb0ENS6_6detail15normal_iteratorINS6_10device_ptrIjEEEESG_NSD_INSE_IS9_EEEESI_jNS0_19identity_decomposerENS1_16block_id_wrapperIjLb1EEEEE10hipError_tT1_PNSt15iterator_traitsISN_E10value_typeET2_T3_PNSO_IST_E10value_typeET4_T5_PSY_SZ_PNS1_23onesweep_lookback_stateEbbT6_jjT7_P12ihipStream_tbENKUlT_T0_SN_SS_E_clISG_SG_SI_SI_EEDaS16_S17_SN_SS_EUlS16_E_NS1_11comp_targetILNS1_3genE8ELNS1_11target_archE1030ELNS1_3gpuE2ELNS1_3repE0EEENS1_47radix_sort_onesweep_sort_config_static_selectorELNS0_4arch9wavefront6targetE0EEEvSN_.uses_vcc, 0
	.set _ZN7rocprim17ROCPRIM_400000_NS6detail17trampoline_kernelINS0_14default_configENS1_35radix_sort_onesweep_config_selectorIjN6thrust23THRUST_200600_302600_NS5tupleIffNS6_9null_typeES8_S8_S8_S8_S8_S8_S8_EEEEZZNS1_29radix_sort_onesweep_iterationIS3_Lb0ENS6_6detail15normal_iteratorINS6_10device_ptrIjEEEESG_NSD_INSE_IS9_EEEESI_jNS0_19identity_decomposerENS1_16block_id_wrapperIjLb1EEEEE10hipError_tT1_PNSt15iterator_traitsISN_E10value_typeET2_T3_PNSO_IST_E10value_typeET4_T5_PSY_SZ_PNS1_23onesweep_lookback_stateEbbT6_jjT7_P12ihipStream_tbENKUlT_T0_SN_SS_E_clISG_SG_SI_SI_EEDaS16_S17_SN_SS_EUlS16_E_NS1_11comp_targetILNS1_3genE8ELNS1_11target_archE1030ELNS1_3gpuE2ELNS1_3repE0EEENS1_47radix_sort_onesweep_sort_config_static_selectorELNS0_4arch9wavefront6targetE0EEEvSN_.uses_flat_scratch, 0
	.set _ZN7rocprim17ROCPRIM_400000_NS6detail17trampoline_kernelINS0_14default_configENS1_35radix_sort_onesweep_config_selectorIjN6thrust23THRUST_200600_302600_NS5tupleIffNS6_9null_typeES8_S8_S8_S8_S8_S8_S8_EEEEZZNS1_29radix_sort_onesweep_iterationIS3_Lb0ENS6_6detail15normal_iteratorINS6_10device_ptrIjEEEESG_NSD_INSE_IS9_EEEESI_jNS0_19identity_decomposerENS1_16block_id_wrapperIjLb1EEEEE10hipError_tT1_PNSt15iterator_traitsISN_E10value_typeET2_T3_PNSO_IST_E10value_typeET4_T5_PSY_SZ_PNS1_23onesweep_lookback_stateEbbT6_jjT7_P12ihipStream_tbENKUlT_T0_SN_SS_E_clISG_SG_SI_SI_EEDaS16_S17_SN_SS_EUlS16_E_NS1_11comp_targetILNS1_3genE8ELNS1_11target_archE1030ELNS1_3gpuE2ELNS1_3repE0EEENS1_47radix_sort_onesweep_sort_config_static_selectorELNS0_4arch9wavefront6targetE0EEEvSN_.has_dyn_sized_stack, 0
	.set _ZN7rocprim17ROCPRIM_400000_NS6detail17trampoline_kernelINS0_14default_configENS1_35radix_sort_onesweep_config_selectorIjN6thrust23THRUST_200600_302600_NS5tupleIffNS6_9null_typeES8_S8_S8_S8_S8_S8_S8_EEEEZZNS1_29radix_sort_onesweep_iterationIS3_Lb0ENS6_6detail15normal_iteratorINS6_10device_ptrIjEEEESG_NSD_INSE_IS9_EEEESI_jNS0_19identity_decomposerENS1_16block_id_wrapperIjLb1EEEEE10hipError_tT1_PNSt15iterator_traitsISN_E10value_typeET2_T3_PNSO_IST_E10value_typeET4_T5_PSY_SZ_PNS1_23onesweep_lookback_stateEbbT6_jjT7_P12ihipStream_tbENKUlT_T0_SN_SS_E_clISG_SG_SI_SI_EEDaS16_S17_SN_SS_EUlS16_E_NS1_11comp_targetILNS1_3genE8ELNS1_11target_archE1030ELNS1_3gpuE2ELNS1_3repE0EEENS1_47radix_sort_onesweep_sort_config_static_selectorELNS0_4arch9wavefront6targetE0EEEvSN_.has_recursion, 0
	.set _ZN7rocprim17ROCPRIM_400000_NS6detail17trampoline_kernelINS0_14default_configENS1_35radix_sort_onesweep_config_selectorIjN6thrust23THRUST_200600_302600_NS5tupleIffNS6_9null_typeES8_S8_S8_S8_S8_S8_S8_EEEEZZNS1_29radix_sort_onesweep_iterationIS3_Lb0ENS6_6detail15normal_iteratorINS6_10device_ptrIjEEEESG_NSD_INSE_IS9_EEEESI_jNS0_19identity_decomposerENS1_16block_id_wrapperIjLb1EEEEE10hipError_tT1_PNSt15iterator_traitsISN_E10value_typeET2_T3_PNSO_IST_E10value_typeET4_T5_PSY_SZ_PNS1_23onesweep_lookback_stateEbbT6_jjT7_P12ihipStream_tbENKUlT_T0_SN_SS_E_clISG_SG_SI_SI_EEDaS16_S17_SN_SS_EUlS16_E_NS1_11comp_targetILNS1_3genE8ELNS1_11target_archE1030ELNS1_3gpuE2ELNS1_3repE0EEENS1_47radix_sort_onesweep_sort_config_static_selectorELNS0_4arch9wavefront6targetE0EEEvSN_.has_indirect_call, 0
	.section	.AMDGPU.csdata,"",@progbits
; Kernel info:
; codeLenInByte = 0
; TotalNumSgprs: 0
; NumVgprs: 0
; ScratchSize: 0
; MemoryBound: 0
; FloatMode: 240
; IeeeMode: 1
; LDSByteSize: 0 bytes/workgroup (compile time only)
; SGPRBlocks: 0
; VGPRBlocks: 0
; NumSGPRsForWavesPerEU: 1
; NumVGPRsForWavesPerEU: 1
; NamedBarCnt: 0
; Occupancy: 16
; WaveLimiterHint : 0
; COMPUTE_PGM_RSRC2:SCRATCH_EN: 0
; COMPUTE_PGM_RSRC2:USER_SGPR: 2
; COMPUTE_PGM_RSRC2:TRAP_HANDLER: 0
; COMPUTE_PGM_RSRC2:TGID_X_EN: 1
; COMPUTE_PGM_RSRC2:TGID_Y_EN: 0
; COMPUTE_PGM_RSRC2:TGID_Z_EN: 0
; COMPUTE_PGM_RSRC2:TIDIG_COMP_CNT: 0
	.section	.text._ZN7rocprim17ROCPRIM_400000_NS6detail17trampoline_kernelINS0_14default_configENS1_35radix_sort_onesweep_config_selectorIjN6thrust23THRUST_200600_302600_NS5tupleIffNS6_9null_typeES8_S8_S8_S8_S8_S8_S8_EEEEZZNS1_29radix_sort_onesweep_iterationIS3_Lb0ENS6_6detail15normal_iteratorINS6_10device_ptrIjEEEESG_NSD_INSE_IS9_EEEESI_jNS0_19identity_decomposerENS1_16block_id_wrapperIjLb1EEEEE10hipError_tT1_PNSt15iterator_traitsISN_E10value_typeET2_T3_PNSO_IST_E10value_typeET4_T5_PSY_SZ_PNS1_23onesweep_lookback_stateEbbT6_jjT7_P12ihipStream_tbENKUlT_T0_SN_SS_E_clISG_PjSI_PS9_EEDaS16_S17_SN_SS_EUlS16_E_NS1_11comp_targetILNS1_3genE0ELNS1_11target_archE4294967295ELNS1_3gpuE0ELNS1_3repE0EEENS1_47radix_sort_onesweep_sort_config_static_selectorELNS0_4arch9wavefront6targetE0EEEvSN_,"axG",@progbits,_ZN7rocprim17ROCPRIM_400000_NS6detail17trampoline_kernelINS0_14default_configENS1_35radix_sort_onesweep_config_selectorIjN6thrust23THRUST_200600_302600_NS5tupleIffNS6_9null_typeES8_S8_S8_S8_S8_S8_S8_EEEEZZNS1_29radix_sort_onesweep_iterationIS3_Lb0ENS6_6detail15normal_iteratorINS6_10device_ptrIjEEEESG_NSD_INSE_IS9_EEEESI_jNS0_19identity_decomposerENS1_16block_id_wrapperIjLb1EEEEE10hipError_tT1_PNSt15iterator_traitsISN_E10value_typeET2_T3_PNSO_IST_E10value_typeET4_T5_PSY_SZ_PNS1_23onesweep_lookback_stateEbbT6_jjT7_P12ihipStream_tbENKUlT_T0_SN_SS_E_clISG_PjSI_PS9_EEDaS16_S17_SN_SS_EUlS16_E_NS1_11comp_targetILNS1_3genE0ELNS1_11target_archE4294967295ELNS1_3gpuE0ELNS1_3repE0EEENS1_47radix_sort_onesweep_sort_config_static_selectorELNS0_4arch9wavefront6targetE0EEEvSN_,comdat
	.protected	_ZN7rocprim17ROCPRIM_400000_NS6detail17trampoline_kernelINS0_14default_configENS1_35radix_sort_onesweep_config_selectorIjN6thrust23THRUST_200600_302600_NS5tupleIffNS6_9null_typeES8_S8_S8_S8_S8_S8_S8_EEEEZZNS1_29radix_sort_onesweep_iterationIS3_Lb0ENS6_6detail15normal_iteratorINS6_10device_ptrIjEEEESG_NSD_INSE_IS9_EEEESI_jNS0_19identity_decomposerENS1_16block_id_wrapperIjLb1EEEEE10hipError_tT1_PNSt15iterator_traitsISN_E10value_typeET2_T3_PNSO_IST_E10value_typeET4_T5_PSY_SZ_PNS1_23onesweep_lookback_stateEbbT6_jjT7_P12ihipStream_tbENKUlT_T0_SN_SS_E_clISG_PjSI_PS9_EEDaS16_S17_SN_SS_EUlS16_E_NS1_11comp_targetILNS1_3genE0ELNS1_11target_archE4294967295ELNS1_3gpuE0ELNS1_3repE0EEENS1_47radix_sort_onesweep_sort_config_static_selectorELNS0_4arch9wavefront6targetE0EEEvSN_ ; -- Begin function _ZN7rocprim17ROCPRIM_400000_NS6detail17trampoline_kernelINS0_14default_configENS1_35radix_sort_onesweep_config_selectorIjN6thrust23THRUST_200600_302600_NS5tupleIffNS6_9null_typeES8_S8_S8_S8_S8_S8_S8_EEEEZZNS1_29radix_sort_onesweep_iterationIS3_Lb0ENS6_6detail15normal_iteratorINS6_10device_ptrIjEEEESG_NSD_INSE_IS9_EEEESI_jNS0_19identity_decomposerENS1_16block_id_wrapperIjLb1EEEEE10hipError_tT1_PNSt15iterator_traitsISN_E10value_typeET2_T3_PNSO_IST_E10value_typeET4_T5_PSY_SZ_PNS1_23onesweep_lookback_stateEbbT6_jjT7_P12ihipStream_tbENKUlT_T0_SN_SS_E_clISG_PjSI_PS9_EEDaS16_S17_SN_SS_EUlS16_E_NS1_11comp_targetILNS1_3genE0ELNS1_11target_archE4294967295ELNS1_3gpuE0ELNS1_3repE0EEENS1_47radix_sort_onesweep_sort_config_static_selectorELNS0_4arch9wavefront6targetE0EEEvSN_
	.globl	_ZN7rocprim17ROCPRIM_400000_NS6detail17trampoline_kernelINS0_14default_configENS1_35radix_sort_onesweep_config_selectorIjN6thrust23THRUST_200600_302600_NS5tupleIffNS6_9null_typeES8_S8_S8_S8_S8_S8_S8_EEEEZZNS1_29radix_sort_onesweep_iterationIS3_Lb0ENS6_6detail15normal_iteratorINS6_10device_ptrIjEEEESG_NSD_INSE_IS9_EEEESI_jNS0_19identity_decomposerENS1_16block_id_wrapperIjLb1EEEEE10hipError_tT1_PNSt15iterator_traitsISN_E10value_typeET2_T3_PNSO_IST_E10value_typeET4_T5_PSY_SZ_PNS1_23onesweep_lookback_stateEbbT6_jjT7_P12ihipStream_tbENKUlT_T0_SN_SS_E_clISG_PjSI_PS9_EEDaS16_S17_SN_SS_EUlS16_E_NS1_11comp_targetILNS1_3genE0ELNS1_11target_archE4294967295ELNS1_3gpuE0ELNS1_3repE0EEENS1_47radix_sort_onesweep_sort_config_static_selectorELNS0_4arch9wavefront6targetE0EEEvSN_
	.p2align	8
	.type	_ZN7rocprim17ROCPRIM_400000_NS6detail17trampoline_kernelINS0_14default_configENS1_35radix_sort_onesweep_config_selectorIjN6thrust23THRUST_200600_302600_NS5tupleIffNS6_9null_typeES8_S8_S8_S8_S8_S8_S8_EEEEZZNS1_29radix_sort_onesweep_iterationIS3_Lb0ENS6_6detail15normal_iteratorINS6_10device_ptrIjEEEESG_NSD_INSE_IS9_EEEESI_jNS0_19identity_decomposerENS1_16block_id_wrapperIjLb1EEEEE10hipError_tT1_PNSt15iterator_traitsISN_E10value_typeET2_T3_PNSO_IST_E10value_typeET4_T5_PSY_SZ_PNS1_23onesweep_lookback_stateEbbT6_jjT7_P12ihipStream_tbENKUlT_T0_SN_SS_E_clISG_PjSI_PS9_EEDaS16_S17_SN_SS_EUlS16_E_NS1_11comp_targetILNS1_3genE0ELNS1_11target_archE4294967295ELNS1_3gpuE0ELNS1_3repE0EEENS1_47radix_sort_onesweep_sort_config_static_selectorELNS0_4arch9wavefront6targetE0EEEvSN_,@function
_ZN7rocprim17ROCPRIM_400000_NS6detail17trampoline_kernelINS0_14default_configENS1_35radix_sort_onesweep_config_selectorIjN6thrust23THRUST_200600_302600_NS5tupleIffNS6_9null_typeES8_S8_S8_S8_S8_S8_S8_EEEEZZNS1_29radix_sort_onesweep_iterationIS3_Lb0ENS6_6detail15normal_iteratorINS6_10device_ptrIjEEEESG_NSD_INSE_IS9_EEEESI_jNS0_19identity_decomposerENS1_16block_id_wrapperIjLb1EEEEE10hipError_tT1_PNSt15iterator_traitsISN_E10value_typeET2_T3_PNSO_IST_E10value_typeET4_T5_PSY_SZ_PNS1_23onesweep_lookback_stateEbbT6_jjT7_P12ihipStream_tbENKUlT_T0_SN_SS_E_clISG_PjSI_PS9_EEDaS16_S17_SN_SS_EUlS16_E_NS1_11comp_targetILNS1_3genE0ELNS1_11target_archE4294967295ELNS1_3gpuE0ELNS1_3repE0EEENS1_47radix_sort_onesweep_sort_config_static_selectorELNS0_4arch9wavefront6targetE0EEEvSN_: ; @_ZN7rocprim17ROCPRIM_400000_NS6detail17trampoline_kernelINS0_14default_configENS1_35radix_sort_onesweep_config_selectorIjN6thrust23THRUST_200600_302600_NS5tupleIffNS6_9null_typeES8_S8_S8_S8_S8_S8_S8_EEEEZZNS1_29radix_sort_onesweep_iterationIS3_Lb0ENS6_6detail15normal_iteratorINS6_10device_ptrIjEEEESG_NSD_INSE_IS9_EEEESI_jNS0_19identity_decomposerENS1_16block_id_wrapperIjLb1EEEEE10hipError_tT1_PNSt15iterator_traitsISN_E10value_typeET2_T3_PNSO_IST_E10value_typeET4_T5_PSY_SZ_PNS1_23onesweep_lookback_stateEbbT6_jjT7_P12ihipStream_tbENKUlT_T0_SN_SS_E_clISG_PjSI_PS9_EEDaS16_S17_SN_SS_EUlS16_E_NS1_11comp_targetILNS1_3genE0ELNS1_11target_archE4294967295ELNS1_3gpuE0ELNS1_3repE0EEENS1_47radix_sort_onesweep_sort_config_static_selectorELNS0_4arch9wavefront6targetE0EEEvSN_
; %bb.0:
	s_clause 0x1
	s_load_b128 s[24:27], s[2:3], 0x28
	s_load_b64 s[34:35], s[2:3], 0x38
	v_and_b32_e32 v18, 0x3ff, v0
	s_delay_alu instid0(VALU_DEP_1)
	v_cmp_eq_u32_e64 s4, 0, v18
	s_and_saveexec_b32 s5, s4
	s_cbranch_execz .LBB184_4
; %bb.1:
	s_mov_b32 s7, exec_lo
	s_mov_b32 s6, exec_lo
	v_mbcnt_lo_u32_b32 v1, s7, 0
                                        ; implicit-def: $vgpr2
	s_delay_alu instid0(VALU_DEP_1)
	v_cmpx_eq_u32_e32 0, v1
	s_cbranch_execz .LBB184_3
; %bb.2:
	s_load_b64 s[8:9], s[2:3], 0x50
	s_bcnt1_i32_b32 s7, s7
	s_delay_alu instid0(SALU_CYCLE_1)
	v_dual_mov_b32 v2, 0 :: v_dual_mov_b32 v3, s7
	s_wait_xcnt 0x0
	s_wait_kmcnt 0x0
	global_atomic_add_u32 v2, v2, v3, s[8:9] th:TH_ATOMIC_RETURN scope:SCOPE_DEV
.LBB184_3:
	s_wait_xcnt 0x0
	s_or_b32 exec_lo, exec_lo, s6
	s_wait_loadcnt 0x0
	v_readfirstlane_b32 s6, v2
	s_delay_alu instid0(VALU_DEP_1)
	v_dual_mov_b32 v2, 0 :: v_dual_add_nc_u32 v1, s6, v1
	ds_store_b32 v2, v1 offset:18496
.LBB184_4:
	s_or_b32 exec_lo, exec_lo, s5
	s_clause 0x2
	s_load_b256 s[16:23], s[2:3], 0x0
	s_load_b32 s5, s[2:3], 0x20
	s_load_b96 s[28:30], s[2:3], 0x44
	s_load_b64 s[6:7], s[0:1], 0x4
	v_dual_mov_b32 v1, 0 :: v_dual_lshlrev_b32 v23, 3, v18
	s_wait_dscnt 0x0
	s_barrier_signal -1
	s_barrier_wait -1
	ds_load_b32 v2, v1 offset:18496
	v_bfe_u32 v21, v0, 10, 10
	v_bfe_u32 v22, v0, 20, 10
	v_mbcnt_lo_u32_b32 v20, -1, 0
	s_add_nc_u64 s[36:37], s[2:3], 0x58
	s_getreg_b32 s33, hwreg(HW_REG_IB_STS2, 6, 4)
	s_wait_dscnt 0x0
	s_barrier_signal -1
	s_barrier_wait -1
	s_wait_kmcnt 0x0
	s_lshr_b32 s0, s6, 16
	v_mul_u32_u24_e32 v0, s7, v21
	s_mul_i32 s0, s0, s7
	s_delay_alu instid0(SALU_CYCLE_1) | instskip(SKIP_3) | instid1(VALU_DEP_3)
	v_mul_lo_u32 v3, s0, v18
	s_mov_b32 s0, -1
	v_cmp_le_u32_e32 vcc_lo, s30, v2
	v_readfirstlane_b32 s31, v2
	v_add3_u32 v19, v3, v0, v22
	s_cbranch_vccz .LBB184_102
; %bb.5:
	s_lshl_b32 s38, s31, 12
	s_mov_b32 s39, 0
	v_dual_mov_b32 v9, -1 :: v_dual_lshlrev_b32 v0, 2, v20
	s_lshl_b64 s[0:1], s[38:39], 2
	v_and_b32_e32 v8, 0x1f00, v23
	s_add_nc_u64 s[0:1], s[16:17], s[0:1]
	v_mov_b32_e32 v10, -1
	v_add_nc_u64_e32 v[4:5], s[0:1], v[0:1]
	s_lshl_b32 s0, s30, 12
	v_dual_lshlrev_b32 v0, 2, v8 :: v_dual_bitop2_b32 v2, v20, v8 bitop3:0x54
	s_sub_co_i32 s30, s5, s0
	s_delay_alu instid0(VALU_DEP_1) | instskip(NEXT) | instid1(VALU_DEP_2)
	v_add_nc_u64_e32 v[0:1], v[4:5], v[0:1]
	v_cmp_gt_u32_e64 s9, s30, v2
	s_and_saveexec_b32 s0, s9
	s_cbranch_execz .LBB184_7
; %bb.6:
	global_load_b32 v10, v[0:1], off
.LBB184_7:
	s_wait_xcnt 0x0
	s_or_b32 exec_lo, exec_lo, s0
	v_or_b32_e32 v3, 32, v2
	s_delay_alu instid0(VALU_DEP_1)
	v_cmp_gt_u32_e64 s8, s30, v3
	s_and_saveexec_b32 s0, s8
	s_cbranch_execz .LBB184_9
; %bb.8:
	global_load_b32 v9, v[0:1], off offset:128
.LBB184_9:
	s_wait_xcnt 0x0
	s_or_b32 exec_lo, exec_lo, s0
	v_dual_mov_b32 v11, -1 :: v_dual_bitop2_b32 v3, 64, v2 bitop3:0x54
	v_mov_b32_e32 v12, -1
	s_delay_alu instid0(VALU_DEP_2)
	v_cmp_gt_u32_e64 s7, s30, v3
	s_and_saveexec_b32 s0, s7
	s_cbranch_execz .LBB184_11
; %bb.10:
	global_load_b32 v12, v[0:1], off offset:256
.LBB184_11:
	s_wait_xcnt 0x0
	s_or_b32 exec_lo, exec_lo, s0
	v_or_b32_e32 v3, 0x60, v2
	s_delay_alu instid0(VALU_DEP_1)
	v_cmp_gt_u32_e64 s6, s30, v3
	s_and_saveexec_b32 s0, s6
	s_cbranch_execz .LBB184_13
; %bb.12:
	global_load_b32 v11, v[0:1], off offset:384
.LBB184_13:
	s_wait_xcnt 0x0
	s_or_b32 exec_lo, exec_lo, s0
	v_or_b32_e32 v3, 0x80, v2
	v_dual_mov_b32 v13, -1 :: v_dual_mov_b32 v14, -1
	s_delay_alu instid0(VALU_DEP_2)
	v_cmp_gt_u32_e64 s5, s30, v3
	s_and_saveexec_b32 s0, s5
	s_cbranch_execz .LBB184_15
; %bb.14:
	global_load_b32 v14, v[0:1], off offset:512
.LBB184_15:
	s_wait_xcnt 0x0
	s_or_b32 exec_lo, exec_lo, s0
	v_or_b32_e32 v3, 0xa0, v2
	s_delay_alu instid0(VALU_DEP_1)
	v_cmp_gt_u32_e64 s1, s30, v3
	s_and_saveexec_b32 s0, s1
	s_cbranch_execz .LBB184_17
; %bb.16:
	global_load_b32 v13, v[0:1], off offset:640
.LBB184_17:
	s_wait_xcnt 0x0
	s_or_b32 exec_lo, exec_lo, s0
	v_or_b32_e32 v3, 0xc0, v2
	v_dual_mov_b32 v15, -1 :: v_dual_mov_b32 v16, -1
	s_delay_alu instid0(VALU_DEP_2)
	v_cmp_gt_u32_e64 s0, s30, v3
	s_and_saveexec_b32 s10, s0
	s_cbranch_execz .LBB184_19
; %bb.18:
	global_load_b32 v16, v[0:1], off offset:768
.LBB184_19:
	s_wait_xcnt 0x0
	s_or_b32 exec_lo, exec_lo, s10
	v_or_b32_e32 v2, 0xe0, v2
	s_delay_alu instid0(VALU_DEP_1)
	v_cmp_gt_u32_e32 vcc_lo, s30, v2
	s_and_saveexec_b32 s10, vcc_lo
	s_cbranch_execz .LBB184_21
; %bb.20:
	global_load_b32 v15, v[0:1], off offset:896
.LBB184_21:
	s_wait_xcnt 0x0
	s_or_b32 exec_lo, exec_lo, s10
	s_clause 0x1
	s_load_b32 s40, s[2:3], 0x58
	s_load_u16 s12, s[2:3], 0x66
	s_bfe_u32 s10, ttmp6, 0x4000c
	s_and_b32 s11, ttmp6, 15
	s_add_co_i32 s10, s10, 1
	s_wait_loadcnt 0x0
	v_lshrrev_b32_e32 v0, s28, v10
	s_mul_i32 s10, ttmp9, s10
	s_delay_alu instid0(SALU_CYCLE_1)
	s_add_co_i32 s11, s11, s10
	s_cmp_eq_u32 s33, 0
	s_cselect_b32 s10, ttmp9, s11
	s_mov_b32 s11, 0
	s_wait_kmcnt 0x0
	s_cmp_lt_u32 s10, s40
	v_mad_u32_u24 v1, v22, s12, v21
	s_cselect_b32 s10, 12, 18
	s_lshl_b32 s41, -1, s29
	s_add_nc_u64 s[10:11], s[36:37], s[10:11]
	v_bitop3_b32 v2, v0, 1, s41 bitop3:0x40
	v_bitop3_b32 v0, v0, s41, v0 bitop3:0x30
	s_load_u16 s42, s[10:11], 0x0
	s_wait_xcnt 0x0
	s_delay_alu instid0(VALU_DEP_2) | instskip(NEXT) | instid1(VALU_DEP_1)
	v_add_co_u32 v2, s10, v2, -1
	v_cndmask_b32_e64 v3, 0, 1, s10
	v_dual_lshlrev_b32 v4, 30, v0 :: v_dual_lshlrev_b32 v5, 29, v0
	v_dual_lshlrev_b32 v6, 28, v0 :: v_dual_lshlrev_b32 v7, 27, v0
	s_delay_alu instid0(VALU_DEP_3) | instskip(NEXT) | instid1(VALU_DEP_3)
	v_cmp_ne_u32_e64 s10, 0, v3
	v_not_b32_e32 v3, v4
	v_dual_lshlrev_b32 v17, 26, v0 :: v_dual_lshlrev_b32 v24, 25, v0
	v_cmp_gt_i32_e64 s11, 0, v4
	v_cmp_gt_i32_e64 s12, 0, v5
	v_not_b32_e32 v4, v5
	v_not_b32_e32 v5, v6
	v_dual_ashrrev_i32 v3, 31, v3 :: v_dual_lshlrev_b32 v25, 24, v0
	v_xor_b32_e32 v2, s10, v2
	v_cmp_gt_i32_e64 s13, 0, v6
	v_cmp_gt_i32_e64 s14, 0, v7
	v_not_b32_e32 v6, v7
	v_not_b32_e32 v7, v17
	v_dual_ashrrev_i32 v4, 31, v4 :: v_dual_ashrrev_i32 v5, 31, v5
	s_delay_alu instid0(VALU_DEP_3) | instskip(SKIP_1) | instid1(VALU_DEP_3)
	v_dual_ashrrev_i32 v6, 31, v6 :: v_dual_bitop2_b32 v3, s11, v3 bitop3:0x14
	v_cmp_gt_i32_e64 s15, 0, v17
	v_dual_ashrrev_i32 v7, 31, v7 :: v_dual_bitop2_b32 v4, s12, v4 bitop3:0x14
	s_delay_alu instid0(VALU_DEP_3)
	v_bitop3_b32 v2, v2, v3, exec_lo bitop3:0x80
	v_not_b32_e32 v3, v24
	v_xor_b32_e32 v5, s13, v5
	v_not_b32_e32 v17, v25
	v_xor_b32_e32 v6, s14, v6
	v_xor_b32_e32 v7, s15, v7
	v_cmp_gt_i32_e64 s10, 0, v24
	v_ashrrev_i32_e32 v3, 31, v3
	v_bitop3_b32 v2, v2, v5, v4 bitop3:0x80
	v_cmp_gt_i32_e64 s11, 0, v25
	v_ashrrev_i32_e32 v4, 31, v17
	s_wait_kmcnt 0x0
	v_mad_u32 v5, v1, s42, v18
	v_mul_u32_u24_e32 v24, 36, v18
	v_bitop3_b32 v1, v2, v7, v6 bitop3:0x80
	v_xor_b32_e32 v2, s10, v3
	v_dual_mov_b32 v4, 0 :: v_dual_bitop2_b32 v3, s11, v4 bitop3:0x14
	s_not_b32 s15, s41
	ds_store_2addr_b32 v24, v4, v4 offset0:16 offset1:17
	ds_store_2addr_b32 v24, v4, v4 offset0:18 offset1:19
	;; [unrolled: 1-line block ×4, first 2 shown]
	v_bitop3_b32 v1, v1, v3, v2 bitop3:0x80
	v_mul_lo_u32 v2, 0x44, v0
	v_lshrrev_b32_e32 v0, 3, v5
	ds_store_b32 v24, v4 offset:96
	s_wait_dscnt 0x0
	v_mbcnt_lo_u32_b32 v17, v1, 0
	v_cmp_ne_u32_e64 s11, 0, v1
	v_and_b32_e32 v0, 0x1ffffffc, v0
	s_barrier_signal -1
	s_barrier_wait -1
	v_cmp_eq_u32_e64 s10, 0, v17
	s_delay_alu instid0(VALU_DEP_2) | instskip(SKIP_1) | instid1(SALU_CYCLE_1)
	v_add_nc_u32_e32 v25, v0, v2
	; wave barrier
	s_and_b32 s11, s11, s10
	s_and_saveexec_b32 s10, s11
; %bb.22:
	v_bcnt_u32_b32 v1, v1, 0
	ds_store_b32 v25, v1 offset:64
; %bb.23:
	s_or_b32 exec_lo, exec_lo, s10
	v_lshrrev_b32_e32 v1, s28, v9
	; wave barrier
	s_delay_alu instid0(VALU_DEP_1) | instskip(NEXT) | instid1(VALU_DEP_1)
	v_and_b32_e32 v2, s15, v1
	v_lshlrev_b32_e32 v5, 30, v2
	v_bitop3_b32 v1, v1, 1, s15 bitop3:0x80
	s_delay_alu instid0(VALU_DEP_2) | instskip(NEXT) | instid1(VALU_DEP_2)
	v_cmp_gt_i32_e64 s11, 0, v5
	v_add_co_u32 v1, s10, v1, -1
	s_delay_alu instid0(VALU_DEP_1) | instskip(NEXT) | instid1(VALU_DEP_1)
	v_cndmask_b32_e64 v4, 0, 1, s10
	v_cmp_ne_u32_e64 s10, 0, v4
	v_not_b32_e32 v4, v5
	s_delay_alu instid0(VALU_DEP_1) | instskip(SKIP_3) | instid1(VALU_DEP_4)
	v_dual_ashrrev_i32 v4, 31, v4 :: v_dual_lshlrev_b32 v6, 29, v2
	v_dual_lshlrev_b32 v7, 28, v2 :: v_dual_lshlrev_b32 v26, 27, v2
	v_lshlrev_b32_e32 v27, 26, v2
	v_mul_lo_u32 v3, 0x44, v2
	v_cmp_gt_i32_e64 s12, 0, v6
	v_not_b32_e32 v5, v6
	v_not_b32_e32 v6, v7
	v_cmp_gt_i32_e64 s13, 0, v7
	v_xor_b32_e32 v1, s10, v1
	s_delay_alu instid0(VALU_DEP_4) | instskip(NEXT) | instid1(VALU_DEP_4)
	v_dual_ashrrev_i32 v5, 31, v5 :: v_dual_bitop2_b32 v4, s11, v4 bitop3:0x14
	v_ashrrev_i32_e32 v6, 31, v6
	v_dual_lshlrev_b32 v28, 25, v2 :: v_dual_lshlrev_b32 v2, 24, v2
	v_not_b32_e32 v7, v26
	v_not_b32_e32 v29, v27
	v_xor_b32_e32 v5, s12, v5
	v_xor_b32_e32 v6, s13, v6
	v_bitop3_b32 v1, v1, v4, exec_lo bitop3:0x80
	v_cmp_gt_i32_e64 s10, 0, v26
	v_ashrrev_i32_e32 v4, 31, v7
	v_cmp_gt_i32_e64 s11, 0, v27
	v_ashrrev_i32_e32 v7, 31, v29
	v_bitop3_b32 v1, v1, v6, v5 bitop3:0x80
	v_not_b32_e32 v5, v28
	v_not_b32_e32 v6, v2
	v_xor_b32_e32 v4, s10, v4
	v_xor_b32_e32 v7, s11, v7
	v_cmp_gt_i32_e64 s10, 0, v28
	v_ashrrev_i32_e32 v5, 31, v5
	v_cmp_gt_i32_e64 s11, 0, v2
	v_dual_ashrrev_i32 v2, 31, v6 :: v_dual_add_nc_u32 v28, v0, v3
	v_bitop3_b32 v1, v1, v7, v4 bitop3:0x80
	s_delay_alu instid0(VALU_DEP_4) | instskip(NEXT) | instid1(VALU_DEP_3)
	v_xor_b32_e32 v3, s10, v5
	v_xor_b32_e32 v2, s11, v2
	ds_load_b32 v26, v28 offset:64
	; wave barrier
	v_bitop3_b32 v1, v1, v2, v3 bitop3:0x80
	s_delay_alu instid0(VALU_DEP_1) | instskip(SKIP_1) | instid1(VALU_DEP_2)
	v_mbcnt_lo_u32_b32 v27, v1, 0
	v_cmp_ne_u32_e64 s11, 0, v1
	v_cmp_eq_u32_e64 s10, 0, v27
	s_and_b32 s11, s11, s10
	s_delay_alu instid0(SALU_CYCLE_1)
	s_and_saveexec_b32 s10, s11
	s_cbranch_execz .LBB184_25
; %bb.24:
	s_wait_dscnt 0x0
	v_bcnt_u32_b32 v1, v1, v26
	ds_store_b32 v28, v1 offset:64
.LBB184_25:
	s_or_b32 exec_lo, exec_lo, s10
	v_lshrrev_b32_e32 v1, s28, v12
	; wave barrier
	s_delay_alu instid0(VALU_DEP_1) | instskip(NEXT) | instid1(VALU_DEP_1)
	v_and_b32_e32 v2, s15, v1
	v_lshlrev_b32_e32 v5, 30, v2
	v_bitop3_b32 v1, v1, 1, s15 bitop3:0x80
	s_delay_alu instid0(VALU_DEP_2) | instskip(NEXT) | instid1(VALU_DEP_2)
	v_cmp_gt_i32_e64 s11, 0, v5
	v_add_co_u32 v1, s10, v1, -1
	s_delay_alu instid0(VALU_DEP_1) | instskip(NEXT) | instid1(VALU_DEP_1)
	v_cndmask_b32_e64 v4, 0, 1, s10
	v_cmp_ne_u32_e64 s10, 0, v4
	v_not_b32_e32 v4, v5
	s_delay_alu instid0(VALU_DEP_1) | instskip(SKIP_3) | instid1(VALU_DEP_4)
	v_dual_ashrrev_i32 v4, 31, v4 :: v_dual_lshlrev_b32 v6, 29, v2
	v_dual_lshlrev_b32 v7, 28, v2 :: v_dual_lshlrev_b32 v29, 27, v2
	v_lshlrev_b32_e32 v30, 26, v2
	v_mul_lo_u32 v3, 0x44, v2
	v_cmp_gt_i32_e64 s12, 0, v6
	v_not_b32_e32 v5, v6
	v_not_b32_e32 v6, v7
	v_cmp_gt_i32_e64 s13, 0, v7
	v_xor_b32_e32 v1, s10, v1
	s_delay_alu instid0(VALU_DEP_4) | instskip(NEXT) | instid1(VALU_DEP_4)
	v_dual_ashrrev_i32 v5, 31, v5 :: v_dual_bitop2_b32 v4, s11, v4 bitop3:0x14
	v_ashrrev_i32_e32 v6, 31, v6
	v_dual_lshlrev_b32 v31, 25, v2 :: v_dual_lshlrev_b32 v2, 24, v2
	v_not_b32_e32 v7, v29
	v_not_b32_e32 v32, v30
	v_xor_b32_e32 v5, s12, v5
	v_xor_b32_e32 v6, s13, v6
	v_bitop3_b32 v1, v1, v4, exec_lo bitop3:0x80
	v_cmp_gt_i32_e64 s10, 0, v29
	v_ashrrev_i32_e32 v4, 31, v7
	v_cmp_gt_i32_e64 s11, 0, v30
	v_ashrrev_i32_e32 v7, 31, v32
	v_bitop3_b32 v1, v1, v6, v5 bitop3:0x80
	v_not_b32_e32 v5, v31
	v_not_b32_e32 v6, v2
	v_xor_b32_e32 v4, s10, v4
	v_xor_b32_e32 v7, s11, v7
	v_cmp_gt_i32_e64 s10, 0, v31
	v_ashrrev_i32_e32 v5, 31, v5
	v_cmp_gt_i32_e64 s11, 0, v2
	v_dual_ashrrev_i32 v2, 31, v6 :: v_dual_add_nc_u32 v31, v0, v3
	v_bitop3_b32 v1, v1, v7, v4 bitop3:0x80
	s_delay_alu instid0(VALU_DEP_4) | instskip(NEXT) | instid1(VALU_DEP_3)
	v_xor_b32_e32 v3, s10, v5
	v_xor_b32_e32 v2, s11, v2
	ds_load_b32 v29, v31 offset:64
	; wave barrier
	v_bitop3_b32 v1, v1, v2, v3 bitop3:0x80
	s_delay_alu instid0(VALU_DEP_1) | instskip(SKIP_1) | instid1(VALU_DEP_2)
	v_mbcnt_lo_u32_b32 v30, v1, 0
	v_cmp_ne_u32_e64 s11, 0, v1
	v_cmp_eq_u32_e64 s10, 0, v30
	s_and_b32 s11, s11, s10
	s_delay_alu instid0(SALU_CYCLE_1)
	s_and_saveexec_b32 s10, s11
	s_cbranch_execz .LBB184_27
; %bb.26:
	s_wait_dscnt 0x0
	v_bcnt_u32_b32 v1, v1, v29
	ds_store_b32 v31, v1 offset:64
.LBB184_27:
	s_or_b32 exec_lo, exec_lo, s10
	v_lshrrev_b32_e32 v1, s28, v11
	; wave barrier
	s_delay_alu instid0(VALU_DEP_1) | instskip(NEXT) | instid1(VALU_DEP_1)
	v_and_b32_e32 v2, s15, v1
	v_lshlrev_b32_e32 v5, 30, v2
	v_bitop3_b32 v1, v1, 1, s15 bitop3:0x80
	s_delay_alu instid0(VALU_DEP_2) | instskip(NEXT) | instid1(VALU_DEP_2)
	v_cmp_gt_i32_e64 s11, 0, v5
	v_add_co_u32 v1, s10, v1, -1
	s_delay_alu instid0(VALU_DEP_1) | instskip(NEXT) | instid1(VALU_DEP_1)
	v_cndmask_b32_e64 v4, 0, 1, s10
	v_cmp_ne_u32_e64 s10, 0, v4
	v_not_b32_e32 v4, v5
	s_delay_alu instid0(VALU_DEP_1) | instskip(SKIP_3) | instid1(VALU_DEP_4)
	v_dual_ashrrev_i32 v4, 31, v4 :: v_dual_lshlrev_b32 v6, 29, v2
	v_dual_lshlrev_b32 v7, 28, v2 :: v_dual_lshlrev_b32 v32, 27, v2
	v_lshlrev_b32_e32 v33, 26, v2
	v_mul_lo_u32 v3, 0x44, v2
	v_cmp_gt_i32_e64 s12, 0, v6
	v_not_b32_e32 v5, v6
	v_not_b32_e32 v6, v7
	v_cmp_gt_i32_e64 s13, 0, v7
	v_xor_b32_e32 v1, s10, v1
	s_delay_alu instid0(VALU_DEP_4) | instskip(NEXT) | instid1(VALU_DEP_4)
	v_dual_ashrrev_i32 v5, 31, v5 :: v_dual_bitop2_b32 v4, s11, v4 bitop3:0x14
	v_ashrrev_i32_e32 v6, 31, v6
	v_dual_lshlrev_b32 v34, 25, v2 :: v_dual_lshlrev_b32 v2, 24, v2
	v_not_b32_e32 v7, v32
	v_not_b32_e32 v35, v33
	v_xor_b32_e32 v5, s12, v5
	v_xor_b32_e32 v6, s13, v6
	v_bitop3_b32 v1, v1, v4, exec_lo bitop3:0x80
	v_cmp_gt_i32_e64 s10, 0, v32
	v_ashrrev_i32_e32 v4, 31, v7
	v_cmp_gt_i32_e64 s11, 0, v33
	v_ashrrev_i32_e32 v7, 31, v35
	v_bitop3_b32 v1, v1, v6, v5 bitop3:0x80
	v_not_b32_e32 v5, v34
	v_not_b32_e32 v6, v2
	v_xor_b32_e32 v4, s10, v4
	v_xor_b32_e32 v7, s11, v7
	v_cmp_gt_i32_e64 s10, 0, v34
	v_ashrrev_i32_e32 v5, 31, v5
	v_cmp_gt_i32_e64 s11, 0, v2
	v_dual_ashrrev_i32 v2, 31, v6 :: v_dual_add_nc_u32 v34, v0, v3
	v_bitop3_b32 v1, v1, v7, v4 bitop3:0x80
	s_delay_alu instid0(VALU_DEP_4) | instskip(NEXT) | instid1(VALU_DEP_3)
	v_xor_b32_e32 v3, s10, v5
	v_xor_b32_e32 v2, s11, v2
	ds_load_b32 v32, v34 offset:64
	; wave barrier
	v_bitop3_b32 v1, v1, v2, v3 bitop3:0x80
	s_delay_alu instid0(VALU_DEP_1) | instskip(SKIP_1) | instid1(VALU_DEP_2)
	v_mbcnt_lo_u32_b32 v33, v1, 0
	v_cmp_ne_u32_e64 s11, 0, v1
	v_cmp_eq_u32_e64 s10, 0, v33
	s_and_b32 s11, s11, s10
	s_delay_alu instid0(SALU_CYCLE_1)
	s_and_saveexec_b32 s10, s11
	s_cbranch_execz .LBB184_29
; %bb.28:
	s_wait_dscnt 0x0
	v_bcnt_u32_b32 v1, v1, v32
	ds_store_b32 v34, v1 offset:64
.LBB184_29:
	s_or_b32 exec_lo, exec_lo, s10
	v_lshrrev_b32_e32 v1, s28, v14
	; wave barrier
	s_delay_alu instid0(VALU_DEP_1) | instskip(SKIP_1) | instid1(VALU_DEP_2)
	v_and_b32_e32 v2, s15, v1
	v_bitop3_b32 v1, v1, 1, s15 bitop3:0x80
	v_dual_lshlrev_b32 v5, 30, v2 :: v_dual_lshlrev_b32 v6, 29, v2
	s_delay_alu instid0(VALU_DEP_2) | instskip(NEXT) | instid1(VALU_DEP_1)
	v_add_co_u32 v1, s10, v1, -1
	v_cndmask_b32_e64 v4, 0, 1, s10
	v_lshlrev_b32_e32 v7, 28, v2
	s_delay_alu instid0(VALU_DEP_4) | instskip(SKIP_1) | instid1(VALU_DEP_4)
	v_cmp_gt_i32_e64 s11, 0, v5
	v_cmp_gt_i32_e64 s12, 0, v6
	v_cmp_ne_u32_e64 s10, 0, v4
	v_not_b32_e32 v4, v5
	v_not_b32_e32 v5, v6
	;; [unrolled: 1-line block ×3, first 2 shown]
	s_delay_alu instid0(VALU_DEP_3) | instskip(NEXT) | instid1(VALU_DEP_2)
	v_dual_ashrrev_i32 v4, 31, v4 :: v_dual_bitop2_b32 v1, s10, v1 bitop3:0x14
	v_dual_ashrrev_i32 v5, 31, v5 :: v_dual_ashrrev_i32 v6, 31, v6
	v_mul_lo_u32 v3, 0x44, v2
	v_dual_lshlrev_b32 v35, 27, v2 :: v_dual_lshlrev_b32 v36, 26, v2
	v_dual_lshlrev_b32 v37, 25, v2 :: v_dual_lshlrev_b32 v2, 24, v2
	v_cmp_gt_i32_e64 s13, 0, v7
	v_xor_b32_e32 v4, s11, v4
	s_delay_alu instid0(VALU_DEP_4)
	v_not_b32_e32 v7, v35
	v_not_b32_e32 v38, v36
	v_xor_b32_e32 v5, s12, v5
	v_xor_b32_e32 v6, s13, v6
	v_bitop3_b32 v1, v1, v4, exec_lo bitop3:0x80
	v_cmp_gt_i32_e64 s10, 0, v35
	v_ashrrev_i32_e32 v4, 31, v7
	v_cmp_gt_i32_e64 s11, 0, v36
	v_ashrrev_i32_e32 v7, 31, v38
	v_bitop3_b32 v1, v1, v6, v5 bitop3:0x80
	v_not_b32_e32 v5, v37
	v_not_b32_e32 v6, v2
	v_xor_b32_e32 v4, s10, v4
	v_xor_b32_e32 v7, s11, v7
	v_cmp_gt_i32_e64 s10, 0, v37
	v_ashrrev_i32_e32 v5, 31, v5
	v_cmp_gt_i32_e64 s11, 0, v2
	v_dual_ashrrev_i32 v2, 31, v6 :: v_dual_add_nc_u32 v37, v0, v3
	v_bitop3_b32 v1, v1, v7, v4 bitop3:0x80
	s_delay_alu instid0(VALU_DEP_4) | instskip(NEXT) | instid1(VALU_DEP_3)
	v_xor_b32_e32 v3, s10, v5
	v_xor_b32_e32 v2, s11, v2
	ds_load_b32 v35, v37 offset:64
	; wave barrier
	v_bitop3_b32 v1, v1, v2, v3 bitop3:0x80
	s_delay_alu instid0(VALU_DEP_1) | instskip(SKIP_1) | instid1(VALU_DEP_2)
	v_mbcnt_lo_u32_b32 v36, v1, 0
	v_cmp_ne_u32_e64 s11, 0, v1
	v_cmp_eq_u32_e64 s10, 0, v36
	s_and_b32 s11, s11, s10
	s_delay_alu instid0(SALU_CYCLE_1)
	s_and_saveexec_b32 s10, s11
	s_cbranch_execz .LBB184_31
; %bb.30:
	s_wait_dscnt 0x0
	v_bcnt_u32_b32 v1, v1, v35
	ds_store_b32 v37, v1 offset:64
.LBB184_31:
	s_or_b32 exec_lo, exec_lo, s10
	v_lshrrev_b32_e32 v1, s28, v13
	; wave barrier
	s_delay_alu instid0(VALU_DEP_1) | instskip(NEXT) | instid1(VALU_DEP_1)
	v_and_b32_e32 v2, s15, v1
	v_lshlrev_b32_e32 v5, 30, v2
	v_bitop3_b32 v1, v1, 1, s15 bitop3:0x80
	s_delay_alu instid0(VALU_DEP_2) | instskip(NEXT) | instid1(VALU_DEP_2)
	v_cmp_gt_i32_e64 s11, 0, v5
	v_add_co_u32 v1, s10, v1, -1
	s_delay_alu instid0(VALU_DEP_1) | instskip(NEXT) | instid1(VALU_DEP_1)
	v_cndmask_b32_e64 v4, 0, 1, s10
	v_cmp_ne_u32_e64 s10, 0, v4
	v_not_b32_e32 v4, v5
	s_delay_alu instid0(VALU_DEP_1) | instskip(SKIP_3) | instid1(VALU_DEP_4)
	v_dual_ashrrev_i32 v4, 31, v4 :: v_dual_lshlrev_b32 v6, 29, v2
	v_dual_lshlrev_b32 v7, 28, v2 :: v_dual_lshlrev_b32 v38, 27, v2
	v_lshlrev_b32_e32 v39, 26, v2
	v_mul_lo_u32 v3, 0x44, v2
	v_cmp_gt_i32_e64 s12, 0, v6
	v_not_b32_e32 v5, v6
	v_not_b32_e32 v6, v7
	v_cmp_gt_i32_e64 s13, 0, v7
	v_xor_b32_e32 v1, s10, v1
	s_delay_alu instid0(VALU_DEP_4) | instskip(NEXT) | instid1(VALU_DEP_4)
	v_dual_ashrrev_i32 v5, 31, v5 :: v_dual_bitop2_b32 v4, s11, v4 bitop3:0x14
	v_ashrrev_i32_e32 v6, 31, v6
	v_dual_lshlrev_b32 v40, 25, v2 :: v_dual_lshlrev_b32 v2, 24, v2
	v_not_b32_e32 v7, v38
	v_not_b32_e32 v41, v39
	v_xor_b32_e32 v5, s12, v5
	v_xor_b32_e32 v6, s13, v6
	v_bitop3_b32 v1, v1, v4, exec_lo bitop3:0x80
	v_cmp_gt_i32_e64 s10, 0, v38
	v_ashrrev_i32_e32 v4, 31, v7
	v_cmp_gt_i32_e64 s11, 0, v39
	v_ashrrev_i32_e32 v7, 31, v41
	v_bitop3_b32 v1, v1, v6, v5 bitop3:0x80
	v_not_b32_e32 v5, v40
	v_not_b32_e32 v6, v2
	v_xor_b32_e32 v4, s10, v4
	v_xor_b32_e32 v7, s11, v7
	v_cmp_gt_i32_e64 s10, 0, v40
	v_ashrrev_i32_e32 v5, 31, v5
	v_cmp_gt_i32_e64 s11, 0, v2
	v_dual_ashrrev_i32 v2, 31, v6 :: v_dual_add_nc_u32 v40, v0, v3
	v_bitop3_b32 v1, v1, v7, v4 bitop3:0x80
	s_delay_alu instid0(VALU_DEP_4) | instskip(NEXT) | instid1(VALU_DEP_3)
	v_xor_b32_e32 v3, s10, v5
	v_xor_b32_e32 v2, s11, v2
	ds_load_b32 v38, v40 offset:64
	; wave barrier
	v_bitop3_b32 v1, v1, v2, v3 bitop3:0x80
	s_delay_alu instid0(VALU_DEP_1) | instskip(SKIP_1) | instid1(VALU_DEP_2)
	v_mbcnt_lo_u32_b32 v39, v1, 0
	v_cmp_ne_u32_e64 s11, 0, v1
	v_cmp_eq_u32_e64 s10, 0, v39
	s_and_b32 s11, s11, s10
	s_delay_alu instid0(SALU_CYCLE_1)
	s_and_saveexec_b32 s10, s11
	s_cbranch_execz .LBB184_33
; %bb.32:
	s_wait_dscnt 0x0
	v_bcnt_u32_b32 v1, v1, v38
	ds_store_b32 v40, v1 offset:64
.LBB184_33:
	s_or_b32 exec_lo, exec_lo, s10
	v_lshrrev_b32_e32 v1, s28, v16
	; wave barrier
	s_delay_alu instid0(VALU_DEP_1) | instskip(NEXT) | instid1(VALU_DEP_1)
	v_and_b32_e32 v2, s15, v1
	v_lshlrev_b32_e32 v5, 30, v2
	v_bitop3_b32 v1, v1, 1, s15 bitop3:0x80
	s_delay_alu instid0(VALU_DEP_2) | instskip(NEXT) | instid1(VALU_DEP_2)
	v_cmp_gt_i32_e64 s11, 0, v5
	v_add_co_u32 v1, s10, v1, -1
	s_delay_alu instid0(VALU_DEP_1) | instskip(NEXT) | instid1(VALU_DEP_1)
	v_cndmask_b32_e64 v4, 0, 1, s10
	v_cmp_ne_u32_e64 s10, 0, v4
	v_not_b32_e32 v4, v5
	s_delay_alu instid0(VALU_DEP_1) | instskip(SKIP_3) | instid1(VALU_DEP_4)
	v_dual_ashrrev_i32 v4, 31, v4 :: v_dual_lshlrev_b32 v6, 29, v2
	v_dual_lshlrev_b32 v7, 28, v2 :: v_dual_lshlrev_b32 v41, 27, v2
	v_lshlrev_b32_e32 v42, 26, v2
	v_mul_lo_u32 v3, 0x44, v2
	v_cmp_gt_i32_e64 s12, 0, v6
	v_not_b32_e32 v5, v6
	v_not_b32_e32 v6, v7
	v_cmp_gt_i32_e64 s13, 0, v7
	v_xor_b32_e32 v1, s10, v1
	s_delay_alu instid0(VALU_DEP_4) | instskip(NEXT) | instid1(VALU_DEP_4)
	v_dual_ashrrev_i32 v5, 31, v5 :: v_dual_bitop2_b32 v4, s11, v4 bitop3:0x14
	v_ashrrev_i32_e32 v6, 31, v6
	v_dual_lshlrev_b32 v43, 25, v2 :: v_dual_lshlrev_b32 v2, 24, v2
	v_not_b32_e32 v7, v41
	v_not_b32_e32 v44, v42
	v_xor_b32_e32 v5, s12, v5
	v_xor_b32_e32 v6, s13, v6
	v_bitop3_b32 v1, v1, v4, exec_lo bitop3:0x80
	v_cmp_gt_i32_e64 s10, 0, v41
	v_ashrrev_i32_e32 v4, 31, v7
	v_cmp_gt_i32_e64 s11, 0, v42
	v_ashrrev_i32_e32 v7, 31, v44
	v_bitop3_b32 v1, v1, v6, v5 bitop3:0x80
	v_not_b32_e32 v5, v43
	v_not_b32_e32 v6, v2
	v_xor_b32_e32 v4, s10, v4
	v_xor_b32_e32 v7, s11, v7
	v_cmp_gt_i32_e64 s10, 0, v43
	v_ashrrev_i32_e32 v5, 31, v5
	v_cmp_gt_i32_e64 s11, 0, v2
	v_dual_ashrrev_i32 v2, 31, v6 :: v_dual_add_nc_u32 v43, v0, v3
	v_bitop3_b32 v1, v1, v7, v4 bitop3:0x80
	s_delay_alu instid0(VALU_DEP_4) | instskip(NEXT) | instid1(VALU_DEP_3)
	v_xor_b32_e32 v3, s10, v5
	v_xor_b32_e32 v2, s11, v2
	ds_load_b32 v41, v43 offset:64
	; wave barrier
	v_bitop3_b32 v1, v1, v2, v3 bitop3:0x80
	s_delay_alu instid0(VALU_DEP_1) | instskip(SKIP_1) | instid1(VALU_DEP_2)
	v_mbcnt_lo_u32_b32 v42, v1, 0
	v_cmp_ne_u32_e64 s11, 0, v1
	v_cmp_eq_u32_e64 s10, 0, v42
	s_and_b32 s11, s11, s10
	s_delay_alu instid0(SALU_CYCLE_1)
	s_and_saveexec_b32 s10, s11
	s_cbranch_execz .LBB184_35
; %bb.34:
	s_wait_dscnt 0x0
	v_bcnt_u32_b32 v1, v1, v41
	ds_store_b32 v43, v1 offset:64
.LBB184_35:
	s_or_b32 exec_lo, exec_lo, s10
	v_lshrrev_b32_e32 v1, s28, v15
	; wave barrier
	s_delay_alu instid0(VALU_DEP_1) | instskip(NEXT) | instid1(VALU_DEP_1)
	v_and_b32_e32 v2, s15, v1
	v_lshlrev_b32_e32 v5, 30, v2
	v_bitop3_b32 v1, v1, 1, s15 bitop3:0x80
	s_delay_alu instid0(VALU_DEP_2) | instskip(NEXT) | instid1(VALU_DEP_2)
	v_cmp_gt_i32_e64 s11, 0, v5
	v_add_co_u32 v1, s10, v1, -1
	s_delay_alu instid0(VALU_DEP_1) | instskip(NEXT) | instid1(VALU_DEP_1)
	v_cndmask_b32_e64 v4, 0, 1, s10
	v_cmp_ne_u32_e64 s10, 0, v4
	v_not_b32_e32 v4, v5
	s_delay_alu instid0(VALU_DEP_1) | instskip(SKIP_3) | instid1(VALU_DEP_4)
	v_dual_ashrrev_i32 v4, 31, v4 :: v_dual_lshlrev_b32 v6, 29, v2
	v_dual_lshlrev_b32 v7, 28, v2 :: v_dual_lshlrev_b32 v44, 27, v2
	v_lshlrev_b32_e32 v45, 26, v2
	v_mul_lo_u32 v3, 0x44, v2
	v_cmp_gt_i32_e64 s12, 0, v6
	v_not_b32_e32 v5, v6
	v_not_b32_e32 v6, v7
	v_cmp_gt_i32_e64 s13, 0, v7
	v_xor_b32_e32 v1, s10, v1
	s_delay_alu instid0(VALU_DEP_4) | instskip(NEXT) | instid1(VALU_DEP_4)
	v_dual_ashrrev_i32 v5, 31, v5 :: v_dual_bitop2_b32 v4, s11, v4 bitop3:0x14
	v_ashrrev_i32_e32 v6, 31, v6
	v_dual_lshlrev_b32 v46, 25, v2 :: v_dual_lshlrev_b32 v2, 24, v2
	v_not_b32_e32 v7, v44
	v_not_b32_e32 v47, v45
	v_xor_b32_e32 v5, s12, v5
	v_xor_b32_e32 v6, s13, v6
	v_bitop3_b32 v1, v1, v4, exec_lo bitop3:0x80
	v_cmp_gt_i32_e64 s10, 0, v44
	v_ashrrev_i32_e32 v4, 31, v7
	v_cmp_gt_i32_e64 s11, 0, v45
	v_ashrrev_i32_e32 v7, 31, v47
	v_bitop3_b32 v1, v1, v6, v5 bitop3:0x80
	v_not_b32_e32 v5, v46
	v_not_b32_e32 v6, v2
	v_xor_b32_e32 v4, s10, v4
	v_xor_b32_e32 v7, s11, v7
	v_cmp_gt_i32_e64 s10, 0, v46
	v_ashrrev_i32_e32 v5, 31, v5
	v_cmp_gt_i32_e64 s11, 0, v2
	v_dual_ashrrev_i32 v2, 31, v6 :: v_dual_add_nc_u32 v46, v0, v3
	v_bitop3_b32 v0, v1, v7, v4 bitop3:0x80
	s_delay_alu instid0(VALU_DEP_4) | instskip(NEXT) | instid1(VALU_DEP_3)
	v_xor_b32_e32 v1, s10, v5
	v_xor_b32_e32 v2, s11, v2
	ds_load_b32 v44, v46 offset:64
	; wave barrier
	v_bitop3_b32 v0, v0, v2, v1 bitop3:0x80
	s_delay_alu instid0(VALU_DEP_1) | instskip(SKIP_1) | instid1(VALU_DEP_2)
	v_mbcnt_lo_u32_b32 v45, v0, 0
	v_cmp_ne_u32_e64 s11, 0, v0
	v_cmp_eq_u32_e64 s10, 0, v45
	s_and_b32 s11, s11, s10
	s_delay_alu instid0(SALU_CYCLE_1)
	s_and_saveexec_b32 s10, s11
	s_cbranch_execz .LBB184_37
; %bb.36:
	s_wait_dscnt 0x0
	v_bcnt_u32_b32 v0, v0, v44
	ds_store_b32 v46, v0 offset:64
.LBB184_37:
	s_or_b32 exec_lo, exec_lo, s10
	; wave barrier
	s_wait_dscnt 0x0
	s_barrier_signal -1
	s_barrier_wait -1
	ds_load_2addr_b32 v[6:7], v24 offset0:16 offset1:17
	ds_load_2addr_b32 v[4:5], v24 offset0:18 offset1:19
	;; [unrolled: 1-line block ×4, first 2 shown]
	ds_load_b32 v47, v24 offset:96
	v_bfe_i32 v50, v20, 4, 1
	s_mov_b32 s41, exec_lo
	s_wait_dscnt 0x3
	v_add3_u32 v48, v7, v6, v4
	s_wait_dscnt 0x2
	s_delay_alu instid0(VALU_DEP_1) | instskip(SKIP_1) | instid1(VALU_DEP_1)
	v_add3_u32 v48, v48, v5, v2
	s_wait_dscnt 0x1
	v_add3_u32 v48, v48, v3, v0
	s_wait_dscnt 0x0
	s_delay_alu instid0(VALU_DEP_1) | instskip(SKIP_1) | instid1(VALU_DEP_2)
	v_add3_u32 v47, v48, v1, v47
	v_and_b32_e32 v48, 15, v20
	v_mov_b32_dpp v49, v47 row_shr:1 row_mask:0xf bank_mask:0xf
	s_delay_alu instid0(VALU_DEP_2) | instskip(NEXT) | instid1(VALU_DEP_1)
	v_cmp_eq_u32_e64 s10, 0, v48
	v_cndmask_b32_e64 v49, v49, 0, s10
	s_delay_alu instid0(VALU_DEP_1) | instskip(SKIP_3) | instid1(VALU_DEP_4)
	v_add_nc_u32_e32 v47, v49, v47
	v_cmp_lt_u32_e64 s11, 1, v48
	v_cmp_lt_u32_e64 s12, 3, v48
	;; [unrolled: 1-line block ×3, first 2 shown]
	v_mov_b32_dpp v49, v47 row_shr:2 row_mask:0xf bank_mask:0xf
	s_delay_alu instid0(VALU_DEP_1) | instskip(NEXT) | instid1(VALU_DEP_1)
	v_cndmask_b32_e64 v49, 0, v49, s11
	v_add_nc_u32_e32 v47, v47, v49
	s_delay_alu instid0(VALU_DEP_1) | instskip(NEXT) | instid1(VALU_DEP_1)
	v_mov_b32_dpp v49, v47 row_shr:4 row_mask:0xf bank_mask:0xf
	v_cndmask_b32_e64 v49, 0, v49, s12
	s_delay_alu instid0(VALU_DEP_1) | instskip(NEXT) | instid1(VALU_DEP_1)
	v_add_nc_u32_e32 v47, v47, v49
	v_mov_b32_dpp v49, v47 row_shr:8 row_mask:0xf bank_mask:0xf
	s_delay_alu instid0(VALU_DEP_1) | instskip(SKIP_1) | instid1(VALU_DEP_2)
	v_cndmask_b32_e64 v48, 0, v49, s13
	v_and_b32_e32 v49, 0x3e0, v18
	v_add_nc_u32_e32 v47, v47, v48
	s_delay_alu instid0(VALU_DEP_2) | instskip(SKIP_3) | instid1(VALU_DEP_1)
	v_min_u32_e32 v49, 0x1e0, v49
	ds_swizzle_b32 v48, v47 offset:swizzle(BROADCAST,32,15)
	s_wait_dscnt 0x0
	v_dual_lshrrev_b32 v48, 5, v18 :: v_dual_bitop2_b32 v50, v50, v48 bitop3:0x40
	v_dual_add_nc_u32 v47, v47, v50 :: v_dual_bitop2_b32 v49, 31, v49 bitop3:0x54
	s_delay_alu instid0(VALU_DEP_1)
	v_cmpx_eq_u32_e64 v18, v49
; %bb.38:
	s_delay_alu instid0(VALU_DEP_3)
	v_lshlrev_b32_e32 v49, 2, v48
	ds_store_b32 v49, v47
; %bb.39:
	s_or_b32 exec_lo, exec_lo, s41
	s_delay_alu instid0(SALU_CYCLE_1)
	s_mov_b32 s41, exec_lo
	s_wait_dscnt 0x0
	s_barrier_signal -1
	s_barrier_wait -1
	v_cmpx_gt_u32_e32 16, v18
	s_cbranch_execz .LBB184_41
; %bb.40:
	v_lshlrev_b32_e32 v49, 2, v18
	ds_load_b32 v50, v49
	s_wait_dscnt 0x0
	v_mov_b32_dpp v51, v50 row_shr:1 row_mask:0xf bank_mask:0xf
	s_delay_alu instid0(VALU_DEP_1) | instskip(NEXT) | instid1(VALU_DEP_1)
	v_cndmask_b32_e64 v51, v51, 0, s10
	v_add_nc_u32_e32 v50, v51, v50
	s_delay_alu instid0(VALU_DEP_1) | instskip(NEXT) | instid1(VALU_DEP_1)
	v_mov_b32_dpp v51, v50 row_shr:2 row_mask:0xf bank_mask:0xf
	v_cndmask_b32_e64 v51, 0, v51, s11
	s_delay_alu instid0(VALU_DEP_1) | instskip(NEXT) | instid1(VALU_DEP_1)
	v_add_nc_u32_e32 v50, v50, v51
	v_mov_b32_dpp v51, v50 row_shr:4 row_mask:0xf bank_mask:0xf
	s_delay_alu instid0(VALU_DEP_1) | instskip(NEXT) | instid1(VALU_DEP_1)
	v_cndmask_b32_e64 v51, 0, v51, s12
	v_add_nc_u32_e32 v50, v50, v51
	s_delay_alu instid0(VALU_DEP_1) | instskip(NEXT) | instid1(VALU_DEP_1)
	v_mov_b32_dpp v51, v50 row_shr:8 row_mask:0xf bank_mask:0xf
	v_cndmask_b32_e64 v51, 0, v51, s13
	s_delay_alu instid0(VALU_DEP_1)
	v_add_nc_u32_e32 v50, v50, v51
	ds_store_b32 v49, v50
.LBB184_41:
	s_or_b32 exec_lo, exec_lo, s41
	v_mov_b32_e32 v49, 0
	s_mov_b32 s11, exec_lo
	s_wait_dscnt 0x0
	s_barrier_signal -1
	s_barrier_wait -1
	v_cmpx_lt_u32_e32 31, v18
; %bb.42:
	v_lshl_add_u32 v48, v48, 2, -4
	ds_load_b32 v49, v48
; %bb.43:
	s_or_b32 exec_lo, exec_lo, s11
	v_sub_co_u32 v48, s10, v20, 1
	s_wait_dscnt 0x0
	v_add_nc_u32_e32 v47, v49, v47
	s_delay_alu instid0(VALU_DEP_2) | instskip(NEXT) | instid1(VALU_DEP_1)
	v_cmp_gt_i32_e64 s11, 0, v48
	v_cndmask_b32_e64 v48, v48, v20, s11
	v_cmp_gt_u32_e64 s11, 0x100, v18
	s_delay_alu instid0(VALU_DEP_2) | instskip(SKIP_4) | instid1(VALU_DEP_2)
	v_lshlrev_b32_e32 v48, 2, v48
	ds_bpermute_b32 v47, v48, v47
	s_wait_dscnt 0x0
	v_cndmask_b32_e64 v47, v47, v49, s10
	v_cmp_lt_u32_e64 s10, 0xff, v18
	v_cndmask_b32_e64 v47, v47, 0, s4
	s_delay_alu instid0(VALU_DEP_1) | instskip(NEXT) | instid1(VALU_DEP_1)
	v_add_nc_u32_e32 v6, v47, v6
	v_add_nc_u32_e32 v7, v6, v7
	s_delay_alu instid0(VALU_DEP_1) | instskip(NEXT) | instid1(VALU_DEP_1)
	v_add_nc_u32_e32 v4, v7, v4
	v_add_nc_u32_e32 v5, v4, v5
	;; [unrolled: 3-line block ×4, first 2 shown]
	ds_store_2addr_b32 v24, v47, v6 offset0:16 offset1:17
	ds_store_2addr_b32 v24, v7, v4 offset0:18 offset1:19
	;; [unrolled: 1-line block ×4, first 2 shown]
	ds_store_b32 v24, v1 offset:96
	s_wait_dscnt 0x0
	s_barrier_signal -1
	s_barrier_wait -1
	ds_load_b32 v0, v25 offset:64
	ds_load_b32 v1, v28 offset:64
	;; [unrolled: 1-line block ×8, first 2 shown]
                                        ; implicit-def: $vgpr24
                                        ; implicit-def: $vgpr25
	s_and_saveexec_b32 s13, s11
	s_cbranch_execz .LBB184_47
; %bb.44:
	v_mul_u32_u24_e32 v24, 0x44, v18
	v_dual_mov_b32 v25, 0x1000 :: v_dual_add_nc_u32 v28, 1, v18
	s_mov_b32 s14, exec_lo
	ds_load_b32 v24, v24 offset:64
	v_cmpx_ne_u32_e32 0x100, v28
; %bb.45:
	v_mul_u32_u24_e32 v25, 0x44, v28
	ds_load_b32 v25, v25 offset:64
; %bb.46:
	s_or_b32 exec_lo, exec_lo, s14
	s_wait_dscnt 0x0
	v_sub_nc_u32_e32 v25, v25, v24
.LBB184_47:
	s_or_b32 exec_lo, exec_lo, s13
	s_wait_dscnt 0x6
	v_add3_u32 v26, v27, v26, v1
	v_add_nc_u32_e32 v28, v0, v17
	s_wait_dscnt 0x5
	v_add3_u32 v27, v30, v29, v2
	s_wait_dscnt 0x4
	v_add3_u32 v29, v33, v32, v3
	s_wait_dscnt 0x3
	v_add3_u32 v30, v36, v35, v4
	s_wait_dscnt 0x0
	v_add3_u32 v33, v45, v44, v7
	v_dual_lshlrev_b32 v1, 2, v26 :: v_dual_lshlrev_b32 v0, 2, v28
	v_lshlrev_b32_e32 v2, 2, v27
	v_add3_u32 v31, v39, v38, v5
	v_add3_u32 v32, v42, v41, v6
	v_lshlrev_b32_e32 v3, 2, v29
	s_barrier_signal -1
	s_barrier_wait -1
	ds_store_b32 v0, v10 offset:1024
	ds_store_b32 v1, v9 offset:1024
	;; [unrolled: 1-line block ×4, first 2 shown]
	v_dual_lshlrev_b32 v0, 2, v30 :: v_dual_lshlrev_b32 v4, 2, v33
	v_dual_mov_b32 v1, 0 :: v_dual_lshlrev_b32 v34, 2, v18
	v_dual_lshlrev_b32 v2, 2, v31 :: v_dual_lshlrev_b32 v3, 2, v32
	ds_store_b32 v0, v14 offset:1024
	ds_store_b32 v2, v13 offset:1024
	;; [unrolled: 1-line block ×4, first 2 shown]
	s_and_saveexec_b32 s12, s11
	s_cbranch_execz .LBB184_57
; %bb.48:
	v_lshl_add_u32 v0, s31, 8, v18
	v_dual_mov_b32 v6, 0 :: v_dual_bitop2_b32 v4, 2.0, v25 bitop3:0x54
	s_mov_b32 s13, 0
	s_mov_b32 s14, s31
	s_delay_alu instid0(VALU_DEP_2)
	v_lshl_add_u64 v[2:3], v[0:1], 2, s[34:35]
	global_store_b32 v0, v4, s[34:35] scale_offset scope:SCOPE_DEV
                                        ; implicit-def: $sgpr11
	s_branch .LBB184_51
.LBB184_49:                             ;   in Loop: Header=BB184_51 Depth=1
	s_or_b32 exec_lo, exec_lo, s42
.LBB184_50:                             ;   in Loop: Header=BB184_51 Depth=1
	s_delay_alu instid0(SALU_CYCLE_1) | instskip(SKIP_2) | instid1(VALU_DEP_2)
	s_or_b32 exec_lo, exec_lo, s41
	v_and_b32_e32 v0, 0x3fffffff, v7
	v_cmp_gt_i32_e64 s11, -2.0, v7
	v_add_nc_u32_e32 v6, v0, v6
	s_and_b32 s41, exec_lo, s11
	s_delay_alu instid0(SALU_CYCLE_1) | instskip(NEXT) | instid1(SALU_CYCLE_1)
	s_or_b32 s13, s41, s13
	s_and_not1_b32 exec_lo, exec_lo, s13
	s_cbranch_execz .LBB184_56
.LBB184_51:                             ; =>This Loop Header: Depth=1
                                        ;     Child Loop BB184_54 Depth 2
	s_or_b32 s11, s11, exec_lo
	s_cmp_eq_u32 s14, 0
	s_cbranch_scc1 .LBB184_55
; %bb.52:                               ;   in Loop: Header=BB184_51 Depth=1
	s_add_co_i32 s14, s14, -1
	s_mov_b32 s41, exec_lo
	s_wait_xcnt 0x0
	v_lshl_or_b32 v0, s14, 8, v18
	global_load_b32 v7, v0, s[34:35] scale_offset scope:SCOPE_DEV
	s_wait_loadcnt 0x0
	v_cmpx_gt_u32_e32 2.0, v7
	s_cbranch_execz .LBB184_50
; %bb.53:                               ;   in Loop: Header=BB184_51 Depth=1
	v_lshl_add_u64 v[4:5], v[0:1], 2, s[34:35]
	s_mov_b32 s42, 0
.LBB184_54:                             ;   Parent Loop BB184_51 Depth=1
                                        ; =>  This Inner Loop Header: Depth=2
	global_load_b32 v7, v[4:5], off scope:SCOPE_DEV
	s_wait_loadcnt 0x0
	v_cmp_lt_u32_e64 s11, 0x3fffffff, v7
	s_or_b32 s42, s11, s42
	s_wait_xcnt 0x0
	s_and_not1_b32 exec_lo, exec_lo, s42
	s_cbranch_execnz .LBB184_54
	s_branch .LBB184_49
.LBB184_55:                             ;   in Loop: Header=BB184_51 Depth=1
                                        ; implicit-def: $sgpr14
	s_and_b32 s41, exec_lo, s11
	s_delay_alu instid0(SALU_CYCLE_1)
	s_or_b32 s13, s41, s13
	s_wait_xcnt 0x0
	s_and_not1_b32 exec_lo, exec_lo, s13
	s_cbranch_execnz .LBB184_51
.LBB184_56:
	s_or_b32 exec_lo, exec_lo, s13
	v_dual_add_nc_u32 v0, v6, v25 :: v_dual_sub_nc_u32 v1, v6, v24
	s_delay_alu instid0(VALU_DEP_1)
	v_or_b32_e32 v0, 0x80000000, v0
	global_store_b32 v[2:3], v0, off scope:SCOPE_DEV
	global_load_b32 v0, v18, s[24:25] scale_offset
	s_wait_loadcnt 0x0
	v_add_nc_u32_e32 v0, v1, v0
	ds_store_b32 v34, v0
.LBB184_57:
	s_wait_xcnt 0x0
	s_or_b32 exec_lo, exec_lo, s12
	v_lshl_add_u32 v35, v19, 5, 0x4850
	s_mov_b32 s12, exec_lo
	s_wait_storecnt_dscnt 0x0
	s_barrier_signal -1
	s_barrier_wait -1
	v_cmpx_gt_u32_e64 s30, v18
	s_cbranch_execz .LBB184_59
; %bb.58:
	ds_load_b32 v0, v34 offset:1024
	s_wait_dscnt 0x0
	v_lshrrev_b32_e32 v1, s28, v0
	s_delay_alu instid0(VALU_DEP_1) | instskip(NEXT) | instid1(VALU_DEP_1)
	v_and_b32_e32 v1, s15, v1
	v_lshlrev_b32_e32 v2, 2, v1
	ds_store_b32 v35, v1
	ds_load_b32 v2, v2
	s_wait_dscnt 0x0
	v_add_nc_u32_e32 v2, v2, v18
	global_store_b32 v2, v0, s[18:19] scale_offset
.LBB184_59:
	s_wait_xcnt 0x0
	s_or_b32 exec_lo, exec_lo, s12
	v_add_nc_u32_e32 v0, 0x200, v18
	s_mov_b32 s12, exec_lo
	s_delay_alu instid0(VALU_DEP_1)
	v_cmpx_gt_u32_e64 s30, v0
	s_cbranch_execz .LBB184_61
; %bb.60:
	ds_load_b32 v1, v34 offset:3072
	s_wait_dscnt 0x0
	v_lshrrev_b32_e32 v2, s28, v1
	s_delay_alu instid0(VALU_DEP_1) | instskip(NEXT) | instid1(VALU_DEP_1)
	v_and_b32_e32 v2, s15, v2
	v_lshlrev_b32_e32 v3, 2, v2
	ds_store_b32 v35, v2 offset:4
	ds_load_b32 v3, v3
	s_wait_dscnt 0x0
	v_add_nc_u32_e32 v0, v3, v0
	global_store_b32 v0, v1, s[18:19] scale_offset
.LBB184_61:
	s_wait_xcnt 0x0
	s_or_b32 exec_lo, exec_lo, s12
	v_or_b32_e32 v0, 0x400, v18
	s_mov_b32 s12, exec_lo
	s_delay_alu instid0(VALU_DEP_1)
	v_cmpx_gt_u32_e64 s30, v0
	s_cbranch_execz .LBB184_63
; %bb.62:
	ds_load_b32 v1, v34 offset:5120
	s_wait_dscnt 0x0
	v_lshrrev_b32_e32 v2, s28, v1
	s_delay_alu instid0(VALU_DEP_1) | instskip(NEXT) | instid1(VALU_DEP_1)
	v_and_b32_e32 v2, s15, v2
	v_lshlrev_b32_e32 v3, 2, v2
	ds_store_b32 v35, v2 offset:8
	ds_load_b32 v3, v3
	s_wait_dscnt 0x0
	v_add_nc_u32_e32 v0, v3, v0
	global_store_b32 v0, v1, s[18:19] scale_offset
.LBB184_63:
	s_wait_xcnt 0x0
	s_or_b32 exec_lo, exec_lo, s12
	v_add_nc_u32_e32 v0, 0x600, v18
	s_mov_b32 s12, exec_lo
	s_delay_alu instid0(VALU_DEP_1)
	v_cmpx_gt_u32_e64 s30, v0
	s_cbranch_execz .LBB184_65
; %bb.64:
	ds_load_b32 v1, v34 offset:7168
	s_wait_dscnt 0x0
	v_lshrrev_b32_e32 v2, s28, v1
	s_delay_alu instid0(VALU_DEP_1) | instskip(NEXT) | instid1(VALU_DEP_1)
	v_and_b32_e32 v2, s15, v2
	v_lshlrev_b32_e32 v3, 2, v2
	ds_store_b32 v35, v2 offset:12
	ds_load_b32 v3, v3
	s_wait_dscnt 0x0
	v_add_nc_u32_e32 v0, v3, v0
	global_store_b32 v0, v1, s[18:19] scale_offset
.LBB184_65:
	s_wait_xcnt 0x0
	s_or_b32 exec_lo, exec_lo, s12
	v_or_b32_e32 v0, 0x800, v18
	v_add_nc_u32_e32 v36, 16, v35
	s_mov_b32 s12, exec_lo
	s_delay_alu instid0(VALU_DEP_2)
	v_cmpx_gt_u32_e64 s30, v0
	s_cbranch_execz .LBB184_67
; %bb.66:
	ds_load_b32 v1, v34 offset:9216
	s_wait_dscnt 0x0
	v_lshrrev_b32_e32 v2, s28, v1
	s_delay_alu instid0(VALU_DEP_1) | instskip(NEXT) | instid1(VALU_DEP_1)
	v_and_b32_e32 v2, s15, v2
	v_lshlrev_b32_e32 v3, 2, v2
	ds_store_b32 v36, v2
	ds_load_b32 v3, v3
	s_wait_dscnt 0x0
	v_add_nc_u32_e32 v0, v3, v0
	global_store_b32 v0, v1, s[18:19] scale_offset
.LBB184_67:
	s_wait_xcnt 0x0
	s_or_b32 exec_lo, exec_lo, s12
	v_add_nc_u32_e32 v0, 0xa00, v18
	s_mov_b32 s12, exec_lo
	s_delay_alu instid0(VALU_DEP_1)
	v_cmpx_gt_u32_e64 s30, v0
	s_cbranch_execz .LBB184_69
; %bb.68:
	ds_load_b32 v1, v34 offset:11264
	s_wait_dscnt 0x0
	v_lshrrev_b32_e32 v2, s28, v1
	s_delay_alu instid0(VALU_DEP_1) | instskip(NEXT) | instid1(VALU_DEP_1)
	v_and_b32_e32 v2, s15, v2
	v_lshlrev_b32_e32 v3, 2, v2
	ds_store_b32 v35, v2 offset:20
	ds_load_b32 v3, v3
	s_wait_dscnt 0x0
	v_add_nc_u32_e32 v0, v3, v0
	global_store_b32 v0, v1, s[18:19] scale_offset
.LBB184_69:
	s_wait_xcnt 0x0
	s_or_b32 exec_lo, exec_lo, s12
	v_or_b32_e32 v0, 0xc00, v18
	s_mov_b32 s12, exec_lo
	s_delay_alu instid0(VALU_DEP_1)
	v_cmpx_gt_u32_e64 s30, v0
	s_cbranch_execz .LBB184_71
; %bb.70:
	ds_load_b32 v1, v34 offset:13312
	s_wait_dscnt 0x0
	v_lshrrev_b32_e32 v2, s28, v1
	s_delay_alu instid0(VALU_DEP_1) | instskip(NEXT) | instid1(VALU_DEP_1)
	v_and_b32_e32 v2, s15, v2
	v_lshlrev_b32_e32 v3, 2, v2
	ds_store_b32 v35, v2 offset:24
	ds_load_b32 v3, v3
	s_wait_dscnt 0x0
	v_add_nc_u32_e32 v0, v3, v0
	global_store_b32 v0, v1, s[18:19] scale_offset
.LBB184_71:
	s_wait_xcnt 0x0
	s_or_b32 exec_lo, exec_lo, s12
	v_add_nc_u32_e32 v0, 0xe00, v18
	s_mov_b32 s12, exec_lo
	s_delay_alu instid0(VALU_DEP_1)
	v_cmpx_gt_u32_e64 s30, v0
	s_cbranch_execz .LBB184_73
; %bb.72:
	ds_load_b32 v1, v34 offset:15360
	s_wait_dscnt 0x0
	v_lshrrev_b32_e32 v2, s28, v1
	s_delay_alu instid0(VALU_DEP_1) | instskip(NEXT) | instid1(VALU_DEP_1)
	v_and_b32_e32 v2, s15, v2
	v_lshlrev_b32_e32 v3, 2, v2
	ds_store_b32 v35, v2 offset:28
	ds_load_b32 v3, v3
	s_wait_dscnt 0x0
	v_add_nc_u32_e32 v0, v3, v0
	global_store_b32 v0, v1, s[18:19] scale_offset
.LBB184_73:
	s_wait_xcnt 0x0
	s_or_b32 exec_lo, exec_lo, s12
	v_dual_mov_b32 v0, 0 :: v_dual_lshlrev_b32 v2, 3, v20
	s_lshl_b64 s[12:13], s[38:39], 3
	v_lshlrev_b32_e32 v4, 3, v8
	s_add_nc_u64 s[12:13], s[20:21], s[12:13]
	s_delay_alu instid0(VALU_DEP_2) | instskip(NEXT) | instid1(VALU_DEP_1)
	v_dual_mov_b32 v3, v0 :: v_dual_mov_b32 v5, v0
	v_add_nc_u64_e32 v[2:3], s[12:13], v[2:3]
	s_delay_alu instid0(VALU_DEP_1)
	v_add_nc_u64_e32 v[16:17], v[2:3], v[4:5]
	v_dual_mov_b32 v2, 0 :: v_dual_mov_b32 v3, 0
	s_and_saveexec_b32 s11, s9
	s_cbranch_execz .LBB184_75
; %bb.74:
	global_load_b64 v[2:3], v[16:17], off
.LBB184_75:
	s_wait_xcnt 0x0
	s_or_b32 exec_lo, exec_lo, s11
	v_mov_b32_e32 v1, 0
	s_and_saveexec_b32 s9, s8
	s_cbranch_execz .LBB184_77
; %bb.76:
	global_load_b64 v[0:1], v[16:17], off offset:256
.LBB184_77:
	s_wait_xcnt 0x0
	s_or_b32 exec_lo, exec_lo, s9
	v_dual_mov_b32 v4, 0 :: v_dual_mov_b32 v6, 0
	v_mov_b32_e32 v7, 0
	s_and_saveexec_b32 s8, s7
	s_cbranch_execz .LBB184_79
; %bb.78:
	global_load_b64 v[6:7], v[16:17], off offset:512
.LBB184_79:
	s_wait_xcnt 0x0
	s_or_b32 exec_lo, exec_lo, s8
	v_mov_b32_e32 v5, 0
	s_and_saveexec_b32 s7, s6
	s_cbranch_execz .LBB184_81
; %bb.80:
	global_load_b64 v[4:5], v[16:17], off offset:768
.LBB184_81:
	s_wait_xcnt 0x0
	s_or_b32 exec_lo, exec_lo, s7
	v_dual_mov_b32 v8, 0 :: v_dual_mov_b32 v10, 0
	v_mov_b32_e32 v11, 0
	s_and_saveexec_b32 s6, s5
	s_cbranch_execz .LBB184_83
; %bb.82:
	global_load_b64 v[10:11], v[16:17], off offset:1024
.LBB184_83:
	;; [unrolled: 17-line block ×3, first 2 shown]
	s_wait_xcnt 0x0
	s_or_b32 exec_lo, exec_lo, s1
	v_mov_b32_e32 v13, 0
	s_and_saveexec_b32 s0, vcc_lo
	s_cbranch_execz .LBB184_89
; %bb.88:
	global_load_b64 v[12:13], v[16:17], off offset:1792
.LBB184_89:
	s_wait_xcnt 0x0
	s_or_b32 exec_lo, exec_lo, s0
	v_mov_b32_e32 v16, v18
	s_mov_b32 s0, -1
	s_wait_loadcnt 0x0
	s_wait_storecnt 0x0
	s_barrier_signal -1
	s_barrier_wait -1
	s_branch .LBB184_91
.LBB184_90:                             ;   in Loop: Header=BB184_91 Depth=1
	s_wait_xcnt 0x0
	s_or_b32 exec_lo, exec_lo, s1
	v_dual_mov_b32 v35, v36 :: v_dual_add_nc_u32 v16, 0x800, v16
	v_add_nc_u32_e32 v33, 0xfffff800, v33
	v_add_nc_u32_e32 v32, 0xfffff800, v32
	;; [unrolled: 1-line block ×8, first 2 shown]
	s_xor_b32 s0, s0, -1
	s_wait_storecnt 0x0
	s_and_b32 vcc_lo, exec_lo, s0
	s_mov_b32 s0, 0
	s_barrier_signal -1
	s_barrier_wait -1
	s_cbranch_vccnz .LBB184_99
.LBB184_91:                             ; =>This Inner Loop Header: Depth=1
	v_min_u32_e32 v17, 0x800, v28
	v_min_u32_e32 v37, 0x800, v26
	;; [unrolled: 1-line block ×5, first 2 shown]
	v_lshlrev_b32_e32 v17, 3, v17
	s_delay_alu instid0(VALU_DEP_4) | instskip(NEXT) | instid1(VALU_DEP_4)
	v_dual_lshlrev_b32 v37, 3, v37 :: v_dual_lshlrev_b32 v38, 3, v38
	v_lshlrev_b32_e32 v39, 3, v39
	s_mov_b32 s1, exec_lo
	ds_store_b64 v17, v[2:3] offset:1024
	ds_store_b64 v37, v[0:1] offset:1024
	;; [unrolled: 1-line block ×3, first 2 shown]
	v_min_u32_e32 v17, 0x800, v31
	v_min_u32_e32 v37, 0x800, v32
	;; [unrolled: 1-line block ×3, first 2 shown]
	s_delay_alu instid0(VALU_DEP_3) | instskip(NEXT) | instid1(VALU_DEP_2)
	v_dual_lshlrev_b32 v40, 3, v40 :: v_dual_lshlrev_b32 v17, 3, v17
	v_dual_lshlrev_b32 v37, 3, v37 :: v_dual_lshlrev_b32 v38, 3, v38
	ds_store_b64 v39, v[4:5] offset:1024
	ds_store_b64 v40, v[10:11] offset:1024
	;; [unrolled: 1-line block ×5, first 2 shown]
	s_wait_dscnt 0x0
	s_barrier_signal -1
	s_barrier_wait -1
	v_cmpx_gt_u32_e64 s30, v16
	s_cbranch_execz .LBB184_93
; %bb.92:                               ;   in Loop: Header=BB184_91 Depth=1
	ds_load_b32 v17, v35
	s_wait_dscnt 0x0
	v_lshlrev_b32_e32 v17, 2, v17
	ds_load_b32 v17, v17
	ds_load_b64 v[38:39], v23 offset:1024
	s_wait_dscnt 0x1
	v_add_nc_u32_e32 v17, v16, v17
	s_wait_dscnt 0x0
	global_store_b64 v17, v[38:39], s[22:23] scale_offset
.LBB184_93:                             ;   in Loop: Header=BB184_91 Depth=1
	s_wait_xcnt 0x0
	s_or_b32 exec_lo, exec_lo, s1
	v_add_nc_u32_e32 v17, 0x200, v16
	s_mov_b32 s1, exec_lo
	s_delay_alu instid0(VALU_DEP_1)
	v_cmpx_gt_u32_e64 s30, v17
	s_cbranch_execz .LBB184_95
; %bb.94:                               ;   in Loop: Header=BB184_91 Depth=1
	ds_load_b32 v17, v35 offset:4
	s_wait_dscnt 0x0
	v_lshlrev_b32_e32 v17, 2, v17
	ds_load_b32 v17, v17
	ds_load_b64 v[38:39], v23 offset:5120
	s_wait_dscnt 0x1
	v_add3_u32 v17, v16, v17, 0x200
	s_wait_dscnt 0x0
	global_store_b64 v17, v[38:39], s[22:23] scale_offset
.LBB184_95:                             ;   in Loop: Header=BB184_91 Depth=1
	s_wait_xcnt 0x0
	s_or_b32 exec_lo, exec_lo, s1
	v_add_nc_u32_e32 v17, 0x400, v16
	s_mov_b32 s1, exec_lo
	s_delay_alu instid0(VALU_DEP_1)
	v_cmpx_gt_u32_e64 s30, v17
	s_cbranch_execz .LBB184_97
; %bb.96:                               ;   in Loop: Header=BB184_91 Depth=1
	ds_load_b32 v17, v35 offset:8
	s_wait_dscnt 0x0
	v_lshlrev_b32_e32 v17, 2, v17
	ds_load_b32 v17, v17
	ds_load_b64 v[38:39], v23 offset:9216
	s_wait_dscnt 0x1
	v_add3_u32 v17, v16, v17, 0x400
	s_wait_dscnt 0x0
	global_store_b64 v17, v[38:39], s[22:23] scale_offset
.LBB184_97:                             ;   in Loop: Header=BB184_91 Depth=1
	s_wait_xcnt 0x0
	s_or_b32 exec_lo, exec_lo, s1
	v_add_nc_u32_e32 v17, 0x600, v16
	s_mov_b32 s1, exec_lo
	s_delay_alu instid0(VALU_DEP_1)
	v_cmpx_gt_u32_e64 s30, v17
	s_cbranch_execz .LBB184_90
; %bb.98:                               ;   in Loop: Header=BB184_91 Depth=1
	ds_load_b32 v17, v35 offset:12
	s_wait_dscnt 0x0
	v_lshlrev_b32_e32 v17, 2, v17
	ds_load_b32 v17, v17
	ds_load_b64 v[38:39], v23 offset:13312
	s_wait_dscnt 0x1
	v_add3_u32 v17, v16, v17, 0x600
	s_wait_dscnt 0x0
	global_store_b64 v17, v[38:39], s[22:23] scale_offset
	s_branch .LBB184_90
.LBB184_99:
	s_add_co_i32 s40, s40, -1
	s_delay_alu instid0(SALU_CYCLE_1) | instskip(SKIP_2) | instid1(SALU_CYCLE_1)
	s_cmp_eq_u32 s31, s40
	s_cselect_b32 s0, -1, 0
	s_xor_b32 s1, s10, -1
	s_and_b32 s1, s1, s0
	s_delay_alu instid0(SALU_CYCLE_1)
	s_and_saveexec_b32 s0, s1
	s_cbranch_execz .LBB184_101
; %bb.100:
	ds_load_b32 v0, v34
	s_wait_dscnt 0x0
	v_add3_u32 v0, v24, v25, v0
	global_store_b32 v18, v0, s[26:27] scale_offset
.LBB184_101:
	s_wait_xcnt 0x0
	s_or_b32 exec_lo, exec_lo, s0
	s_mov_b32 s0, 0
.LBB184_102:
	s_delay_alu instid0(SALU_CYCLE_1)
	s_and_b32 vcc_lo, exec_lo, s0
	s_cbranch_vccz .LBB184_143
; %bb.103:
	s_lshl_b32 s8, s31, 12
	s_mov_b32 s9, 0
	v_dual_mov_b32 v3, 0 :: v_dual_lshlrev_b32 v2, 2, v20
	s_lshl_b64 s[0:1], s[8:9], 2
	v_and_b32_e32 v8, 0x1f00, v23
	s_add_nc_u64 s[0:1], s[16:17], s[0:1]
	v_mul_u32_u24_e32 v27, 36, v18
	v_add_nc_u64_e32 v[0:1], s[0:1], v[2:3]
	s_bfe_u32 s0, ttmp6, 0x4000c
	v_lshlrev_b32_e32 v2, 2, v8
	s_add_co_i32 s0, s0, 1
	s_and_b32 s1, ttmp6, 15
	s_mul_i32 s0, ttmp9, s0
	s_delay_alu instid0(VALU_DEP_1)
	v_add_nc_u64_e32 v[0:1], v[0:1], v[2:3]
	s_add_co_i32 s1, s1, s0
	s_cmp_eq_u32 s33, 0
	s_clause 0x7
	global_load_b32 v13, v[0:1], off
	global_load_b32 v14, v[0:1], off offset:128
	global_load_b32 v15, v[0:1], off offset:256
	;; [unrolled: 1-line block ×7, first 2 shown]
	s_clause 0x1
	s_load_b32 s10, s[2:3], 0x58
	s_load_u16 s5, s[2:3], 0x66
	s_cselect_b32 s0, ttmp9, s1
	s_mov_b32 s1, s9
	s_wait_kmcnt 0x0
	s_cmp_lt_u32 s0, s10
	v_mad_u32_u24 v1, v22, s5, v21
	s_cselect_b32 s0, 12, 18
	s_lshl_b32 s11, -1, s29
	s_add_nc_u64 s[0:1], s[36:37], s[0:1]
	s_load_u16 s12, s[0:1], 0x0
	ds_store_2addr_b32 v27, v3, v3 offset0:16 offset1:17
	ds_store_2addr_b32 v27, v3, v3 offset0:18 offset1:19
	;; [unrolled: 1-line block ×4, first 2 shown]
	ds_store_b32 v27, v3 offset:96
	s_wait_storecnt 0x0
	s_wait_loadcnt_dscnt 0x0
	s_barrier_signal -1
	s_barrier_wait -1
	; wave barrier
	v_lshrrev_b32_e32 v0, s28, v13
	s_delay_alu instid0(VALU_DEP_1) | instskip(SKIP_2) | instid1(VALU_DEP_2)
	v_bitop3_b32 v2, v0, 1, s11 bitop3:0x40
	v_bitop3_b32 v0, v0, s11, v0 bitop3:0x30
	s_wait_xcnt 0x0
	v_add_co_u32 v2, s0, v2, -1
	s_delay_alu instid0(VALU_DEP_1) | instskip(NEXT) | instid1(VALU_DEP_3)
	v_cndmask_b32_e64 v4, 0, 1, s0
	v_dual_lshlrev_b32 v5, 30, v0 :: v_dual_lshlrev_b32 v6, 29, v0
	v_dual_lshlrev_b32 v7, 28, v0 :: v_dual_lshlrev_b32 v16, 27, v0
	s_delay_alu instid0(VALU_DEP_3) | instskip(NEXT) | instid1(VALU_DEP_3)
	v_cmp_ne_u32_e32 vcc_lo, 0, v4
	v_not_b32_e32 v4, v5
	v_dual_lshlrev_b32 v17, 26, v0 :: v_dual_lshlrev_b32 v21, 25, v0
	v_cmp_gt_i32_e64 s0, 0, v5
	v_cmp_gt_i32_e64 s1, 0, v6
	v_not_b32_e32 v5, v6
	v_not_b32_e32 v6, v7
	v_ashrrev_i32_e32 v4, 31, v4
	v_dual_lshlrev_b32 v22, 24, v0 :: v_dual_bitop2_b32 v2, vcc_lo, v2 bitop3:0x14
	v_cmp_gt_i32_e64 s2, 0, v7
	v_cmp_gt_i32_e64 s3, 0, v16
	v_not_b32_e32 v7, v16
	v_not_b32_e32 v16, v17
	v_dual_ashrrev_i32 v5, 31, v5 :: v_dual_ashrrev_i32 v6, 31, v6
	v_xor_b32_e32 v4, s0, v4
	v_cmp_gt_i32_e64 s5, 0, v17
	v_cmp_gt_i32_e64 s6, 0, v21
	v_not_b32_e32 v17, v21
	v_not_b32_e32 v21, v22
	v_dual_ashrrev_i32 v7, 31, v7 :: v_dual_ashrrev_i32 v16, 31, v16
	v_xor_b32_e32 v5, s1, v5
	v_xor_b32_e32 v6, s2, v6
	v_bitop3_b32 v2, v2, v4, exec_lo bitop3:0x80
	v_cmp_gt_i32_e64 s7, 0, v22
	v_ashrrev_i32_e32 v4, 31, v17
	v_dual_ashrrev_i32 v17, 31, v21 :: v_dual_bitop2_b32 v7, s3, v7 bitop3:0x14
	s_delay_alu instid0(VALU_DEP_4)
	v_bitop3_b32 v2, v2, v6, v5 bitop3:0x80
	s_wait_kmcnt 0x0
	v_mad_u32 v5, v1, s12, v18
	v_xor_b32_e32 v16, s5, v16
	v_xor_b32_e32 v1, s6, v4
	;; [unrolled: 1-line block ×3, first 2 shown]
	s_not_b32 s5, s11
	s_delay_alu instid0(VALU_DEP_3) | instskip(NEXT) | instid1(VALU_DEP_1)
	v_bitop3_b32 v2, v2, v16, v7 bitop3:0x80
	v_bitop3_b32 v1, v2, v4, v1 bitop3:0x80
	v_mul_lo_u32 v2, 0x44, v0
	v_lshrrev_b32_e32 v0, 3, v5
	s_delay_alu instid0(VALU_DEP_3) | instskip(SKIP_1) | instid1(VALU_DEP_3)
	v_mbcnt_lo_u32_b32 v24, v1, 0
	v_cmp_ne_u32_e64 s0, 0, v1
	v_and_b32_e32 v0, 0x1ffffffc, v0
	s_delay_alu instid0(VALU_DEP_3) | instskip(NEXT) | instid1(VALU_DEP_2)
	v_cmp_eq_u32_e32 vcc_lo, 0, v24
	v_add_nc_u32_e32 v28, v0, v2
	s_and_b32 s1, s0, vcc_lo
	s_delay_alu instid0(SALU_CYCLE_1)
	s_and_saveexec_b32 s0, s1
; %bb.104:
	v_bcnt_u32_b32 v1, v1, 0
	ds_store_b32 v28, v1 offset:64
; %bb.105:
	s_or_b32 exec_lo, exec_lo, s0
	v_lshrrev_b32_e32 v1, s28, v14
	; wave barrier
	s_delay_alu instid0(VALU_DEP_1) | instskip(SKIP_1) | instid1(VALU_DEP_2)
	v_and_b32_e32 v2, s5, v1
	v_bitop3_b32 v1, v1, 1, s5 bitop3:0x80
	v_dual_lshlrev_b32 v5, 30, v2 :: v_dual_lshlrev_b32 v6, 29, v2
	s_delay_alu instid0(VALU_DEP_2) | instskip(NEXT) | instid1(VALU_DEP_1)
	v_add_co_u32 v1, s0, v1, -1
	v_cndmask_b32_e64 v4, 0, 1, s0
	v_lshlrev_b32_e32 v7, 28, v2
	s_delay_alu instid0(VALU_DEP_4) | instskip(SKIP_1) | instid1(VALU_DEP_4)
	v_cmp_gt_i32_e64 s0, 0, v5
	v_cmp_gt_i32_e64 s1, 0, v6
	v_cmp_ne_u32_e32 vcc_lo, 0, v4
	v_not_b32_e32 v4, v5
	v_not_b32_e32 v5, v6
	;; [unrolled: 1-line block ×3, first 2 shown]
	s_delay_alu instid0(VALU_DEP_3) | instskip(NEXT) | instid1(VALU_DEP_2)
	v_dual_ashrrev_i32 v4, 31, v4 :: v_dual_bitop2_b32 v1, vcc_lo, v1 bitop3:0x14
	v_dual_ashrrev_i32 v5, 31, v5 :: v_dual_ashrrev_i32 v6, 31, v6
	v_mul_lo_u32 v3, 0x44, v2
	v_dual_lshlrev_b32 v16, 27, v2 :: v_dual_lshlrev_b32 v17, 26, v2
	v_dual_lshlrev_b32 v21, 25, v2 :: v_dual_lshlrev_b32 v2, 24, v2
	v_cmp_gt_i32_e64 s2, 0, v7
	v_xor_b32_e32 v4, s0, v4
	s_delay_alu instid0(VALU_DEP_4)
	v_not_b32_e32 v7, v16
	v_not_b32_e32 v22, v17
	v_xor_b32_e32 v5, s1, v5
	v_xor_b32_e32 v6, s2, v6
	v_bitop3_b32 v1, v1, v4, exec_lo bitop3:0x80
	v_cmp_gt_i32_e32 vcc_lo, 0, v16
	v_ashrrev_i32_e32 v4, 31, v7
	v_cmp_gt_i32_e64 s0, 0, v17
	v_ashrrev_i32_e32 v7, 31, v22
	v_bitop3_b32 v1, v1, v6, v5 bitop3:0x80
	v_not_b32_e32 v5, v21
	v_not_b32_e32 v6, v2
	v_xor_b32_e32 v4, vcc_lo, v4
	v_xor_b32_e32 v7, s0, v7
	v_cmp_gt_i32_e32 vcc_lo, 0, v21
	v_ashrrev_i32_e32 v5, 31, v5
	v_cmp_gt_i32_e64 s0, 0, v2
	v_dual_ashrrev_i32 v2, 31, v6 :: v_dual_add_nc_u32 v31, v0, v3
	v_bitop3_b32 v1, v1, v7, v4 bitop3:0x80
	s_delay_alu instid0(VALU_DEP_4) | instskip(NEXT) | instid1(VALU_DEP_3)
	v_xor_b32_e32 v3, vcc_lo, v5
	v_xor_b32_e32 v2, s0, v2
	ds_load_b32 v16, v31 offset:64
	; wave barrier
	v_bitop3_b32 v1, v1, v2, v3 bitop3:0x80
	s_delay_alu instid0(VALU_DEP_1) | instskip(SKIP_1) | instid1(VALU_DEP_2)
	v_mbcnt_lo_u32_b32 v17, v1, 0
	v_cmp_ne_u32_e64 s0, 0, v1
	v_cmp_eq_u32_e32 vcc_lo, 0, v17
	s_and_b32 s1, s0, vcc_lo
	s_delay_alu instid0(SALU_CYCLE_1)
	s_and_saveexec_b32 s0, s1
	s_cbranch_execz .LBB184_107
; %bb.106:
	s_wait_dscnt 0x0
	v_bcnt_u32_b32 v1, v1, v16
	ds_store_b32 v31, v1 offset:64
.LBB184_107:
	s_or_b32 exec_lo, exec_lo, s0
	v_lshrrev_b32_e32 v1, s28, v15
	; wave barrier
	s_delay_alu instid0(VALU_DEP_1) | instskip(NEXT) | instid1(VALU_DEP_1)
	v_and_b32_e32 v2, s5, v1
	v_lshlrev_b32_e32 v5, 30, v2
	v_bitop3_b32 v1, v1, 1, s5 bitop3:0x80
	s_delay_alu instid0(VALU_DEP_1) | instskip(NEXT) | instid1(VALU_DEP_1)
	v_add_co_u32 v1, s0, v1, -1
	v_cndmask_b32_e64 v4, 0, 1, s0
	s_delay_alu instid0(VALU_DEP_4) | instskip(NEXT) | instid1(VALU_DEP_2)
	v_cmp_gt_i32_e64 s0, 0, v5
	v_cmp_ne_u32_e32 vcc_lo, 0, v4
	v_not_b32_e32 v4, v5
	s_delay_alu instid0(VALU_DEP_1) | instskip(SKIP_3) | instid1(VALU_DEP_4)
	v_dual_ashrrev_i32 v4, 31, v4 :: v_dual_lshlrev_b32 v6, 29, v2
	v_dual_lshlrev_b32 v7, 28, v2 :: v_dual_lshlrev_b32 v21, 27, v2
	v_lshlrev_b32_e32 v22, 26, v2
	v_mul_lo_u32 v3, 0x44, v2
	v_cmp_gt_i32_e64 s1, 0, v6
	v_not_b32_e32 v5, v6
	v_not_b32_e32 v6, v7
	v_cmp_gt_i32_e64 s2, 0, v7
	v_xor_b32_e32 v1, vcc_lo, v1
	s_delay_alu instid0(VALU_DEP_4) | instskip(NEXT) | instid1(VALU_DEP_4)
	v_dual_ashrrev_i32 v5, 31, v5 :: v_dual_bitop2_b32 v4, s0, v4 bitop3:0x14
	v_ashrrev_i32_e32 v6, 31, v6
	v_dual_lshlrev_b32 v25, 25, v2 :: v_dual_lshlrev_b32 v2, 24, v2
	v_not_b32_e32 v7, v21
	v_not_b32_e32 v26, v22
	v_xor_b32_e32 v5, s1, v5
	v_xor_b32_e32 v6, s2, v6
	v_bitop3_b32 v1, v1, v4, exec_lo bitop3:0x80
	v_cmp_gt_i32_e32 vcc_lo, 0, v21
	v_ashrrev_i32_e32 v4, 31, v7
	v_cmp_gt_i32_e64 s0, 0, v22
	v_ashrrev_i32_e32 v7, 31, v26
	v_bitop3_b32 v1, v1, v6, v5 bitop3:0x80
	v_not_b32_e32 v5, v25
	v_not_b32_e32 v6, v2
	v_xor_b32_e32 v4, vcc_lo, v4
	v_xor_b32_e32 v7, s0, v7
	v_cmp_gt_i32_e32 vcc_lo, 0, v25
	v_ashrrev_i32_e32 v5, 31, v5
	v_cmp_gt_i32_e64 s0, 0, v2
	v_dual_ashrrev_i32 v2, 31, v6 :: v_dual_add_nc_u32 v34, v0, v3
	v_bitop3_b32 v1, v1, v7, v4 bitop3:0x80
	s_delay_alu instid0(VALU_DEP_4) | instskip(NEXT) | instid1(VALU_DEP_3)
	v_xor_b32_e32 v3, vcc_lo, v5
	v_xor_b32_e32 v2, s0, v2
	ds_load_b32 v21, v34 offset:64
	; wave barrier
	v_bitop3_b32 v1, v1, v2, v3 bitop3:0x80
	s_delay_alu instid0(VALU_DEP_1) | instskip(SKIP_1) | instid1(VALU_DEP_2)
	v_mbcnt_lo_u32_b32 v22, v1, 0
	v_cmp_ne_u32_e64 s0, 0, v1
	v_cmp_eq_u32_e32 vcc_lo, 0, v22
	s_and_b32 s1, s0, vcc_lo
	s_delay_alu instid0(SALU_CYCLE_1)
	s_and_saveexec_b32 s0, s1
	s_cbranch_execz .LBB184_109
; %bb.108:
	s_wait_dscnt 0x0
	v_bcnt_u32_b32 v1, v1, v21
	ds_store_b32 v34, v1 offset:64
.LBB184_109:
	s_or_b32 exec_lo, exec_lo, s0
	v_lshrrev_b32_e32 v1, s28, v23
	; wave barrier
	s_delay_alu instid0(VALU_DEP_1) | instskip(NEXT) | instid1(VALU_DEP_1)
	v_and_b32_e32 v2, s5, v1
	v_lshlrev_b32_e32 v5, 30, v2
	v_bitop3_b32 v1, v1, 1, s5 bitop3:0x80
	s_delay_alu instid0(VALU_DEP_1) | instskip(NEXT) | instid1(VALU_DEP_1)
	v_add_co_u32 v1, s0, v1, -1
	v_cndmask_b32_e64 v4, 0, 1, s0
	s_delay_alu instid0(VALU_DEP_4) | instskip(NEXT) | instid1(VALU_DEP_2)
	v_cmp_gt_i32_e64 s0, 0, v5
	v_cmp_ne_u32_e32 vcc_lo, 0, v4
	v_not_b32_e32 v4, v5
	s_delay_alu instid0(VALU_DEP_1) | instskip(SKIP_3) | instid1(VALU_DEP_4)
	v_dual_ashrrev_i32 v4, 31, v4 :: v_dual_lshlrev_b32 v6, 29, v2
	v_dual_lshlrev_b32 v7, 28, v2 :: v_dual_lshlrev_b32 v25, 27, v2
	v_lshlrev_b32_e32 v26, 26, v2
	v_mul_lo_u32 v3, 0x44, v2
	v_cmp_gt_i32_e64 s1, 0, v6
	v_not_b32_e32 v5, v6
	v_not_b32_e32 v6, v7
	v_cmp_gt_i32_e64 s2, 0, v7
	v_xor_b32_e32 v1, vcc_lo, v1
	s_delay_alu instid0(VALU_DEP_4) | instskip(NEXT) | instid1(VALU_DEP_4)
	v_dual_ashrrev_i32 v5, 31, v5 :: v_dual_bitop2_b32 v4, s0, v4 bitop3:0x14
	v_ashrrev_i32_e32 v6, 31, v6
	v_dual_lshlrev_b32 v29, 25, v2 :: v_dual_lshlrev_b32 v2, 24, v2
	v_not_b32_e32 v7, v25
	v_not_b32_e32 v30, v26
	v_xor_b32_e32 v5, s1, v5
	v_xor_b32_e32 v6, s2, v6
	v_bitop3_b32 v1, v1, v4, exec_lo bitop3:0x80
	v_cmp_gt_i32_e32 vcc_lo, 0, v25
	v_ashrrev_i32_e32 v4, 31, v7
	v_cmp_gt_i32_e64 s0, 0, v26
	v_ashrrev_i32_e32 v7, 31, v30
	v_bitop3_b32 v1, v1, v6, v5 bitop3:0x80
	v_not_b32_e32 v5, v29
	v_not_b32_e32 v6, v2
	v_xor_b32_e32 v4, vcc_lo, v4
	v_xor_b32_e32 v7, s0, v7
	v_cmp_gt_i32_e32 vcc_lo, 0, v29
	v_ashrrev_i32_e32 v5, 31, v5
	v_cmp_gt_i32_e64 s0, 0, v2
	v_dual_ashrrev_i32 v2, 31, v6 :: v_dual_add_nc_u32 v37, v0, v3
	v_bitop3_b32 v1, v1, v7, v4 bitop3:0x80
	s_delay_alu instid0(VALU_DEP_4) | instskip(NEXT) | instid1(VALU_DEP_3)
	v_xor_b32_e32 v3, vcc_lo, v5
	v_xor_b32_e32 v2, s0, v2
	ds_load_b32 v25, v37 offset:64
	; wave barrier
	v_bitop3_b32 v1, v1, v2, v3 bitop3:0x80
	s_delay_alu instid0(VALU_DEP_1) | instskip(SKIP_1) | instid1(VALU_DEP_2)
	v_mbcnt_lo_u32_b32 v26, v1, 0
	v_cmp_ne_u32_e64 s0, 0, v1
	v_cmp_eq_u32_e32 vcc_lo, 0, v26
	s_and_b32 s1, s0, vcc_lo
	s_delay_alu instid0(SALU_CYCLE_1)
	s_and_saveexec_b32 s0, s1
	s_cbranch_execz .LBB184_111
; %bb.110:
	s_wait_dscnt 0x0
	v_bcnt_u32_b32 v1, v1, v25
	ds_store_b32 v37, v1 offset:64
.LBB184_111:
	s_or_b32 exec_lo, exec_lo, s0
	v_lshrrev_b32_e32 v1, s28, v9
	; wave barrier
	s_delay_alu instid0(VALU_DEP_1) | instskip(NEXT) | instid1(VALU_DEP_1)
	v_and_b32_e32 v2, s5, v1
	v_lshlrev_b32_e32 v5, 30, v2
	v_bitop3_b32 v1, v1, 1, s5 bitop3:0x80
	s_delay_alu instid0(VALU_DEP_1) | instskip(NEXT) | instid1(VALU_DEP_1)
	v_add_co_u32 v1, s0, v1, -1
	v_cndmask_b32_e64 v4, 0, 1, s0
	s_delay_alu instid0(VALU_DEP_4) | instskip(NEXT) | instid1(VALU_DEP_2)
	v_cmp_gt_i32_e64 s0, 0, v5
	v_cmp_ne_u32_e32 vcc_lo, 0, v4
	v_not_b32_e32 v4, v5
	s_delay_alu instid0(VALU_DEP_1) | instskip(SKIP_3) | instid1(VALU_DEP_4)
	v_dual_ashrrev_i32 v4, 31, v4 :: v_dual_lshlrev_b32 v6, 29, v2
	v_dual_lshlrev_b32 v7, 28, v2 :: v_dual_lshlrev_b32 v29, 27, v2
	v_lshlrev_b32_e32 v30, 26, v2
	v_mul_lo_u32 v3, 0x44, v2
	v_cmp_gt_i32_e64 s1, 0, v6
	v_not_b32_e32 v5, v6
	v_not_b32_e32 v6, v7
	v_cmp_gt_i32_e64 s2, 0, v7
	v_xor_b32_e32 v1, vcc_lo, v1
	s_delay_alu instid0(VALU_DEP_4) | instskip(NEXT) | instid1(VALU_DEP_4)
	v_dual_ashrrev_i32 v5, 31, v5 :: v_dual_bitop2_b32 v4, s0, v4 bitop3:0x14
	v_ashrrev_i32_e32 v6, 31, v6
	v_dual_lshlrev_b32 v32, 25, v2 :: v_dual_lshlrev_b32 v2, 24, v2
	v_not_b32_e32 v7, v29
	v_not_b32_e32 v33, v30
	v_xor_b32_e32 v5, s1, v5
	v_xor_b32_e32 v6, s2, v6
	v_bitop3_b32 v1, v1, v4, exec_lo bitop3:0x80
	v_cmp_gt_i32_e32 vcc_lo, 0, v29
	v_ashrrev_i32_e32 v4, 31, v7
	v_cmp_gt_i32_e64 s0, 0, v30
	v_ashrrev_i32_e32 v7, 31, v33
	v_bitop3_b32 v1, v1, v6, v5 bitop3:0x80
	v_not_b32_e32 v5, v32
	v_not_b32_e32 v6, v2
	v_xor_b32_e32 v4, vcc_lo, v4
	v_xor_b32_e32 v7, s0, v7
	v_cmp_gt_i32_e32 vcc_lo, 0, v32
	v_ashrrev_i32_e32 v5, 31, v5
	v_cmp_gt_i32_e64 s0, 0, v2
	v_dual_ashrrev_i32 v2, 31, v6 :: v_dual_add_nc_u32 v40, v0, v3
	v_bitop3_b32 v1, v1, v7, v4 bitop3:0x80
	s_delay_alu instid0(VALU_DEP_4) | instskip(NEXT) | instid1(VALU_DEP_3)
	v_xor_b32_e32 v3, vcc_lo, v5
	v_xor_b32_e32 v2, s0, v2
	ds_load_b32 v29, v40 offset:64
	; wave barrier
	v_bitop3_b32 v1, v1, v2, v3 bitop3:0x80
	s_delay_alu instid0(VALU_DEP_1) | instskip(SKIP_1) | instid1(VALU_DEP_2)
	v_mbcnt_lo_u32_b32 v30, v1, 0
	v_cmp_ne_u32_e64 s0, 0, v1
	v_cmp_eq_u32_e32 vcc_lo, 0, v30
	s_and_b32 s1, s0, vcc_lo
	s_delay_alu instid0(SALU_CYCLE_1)
	s_and_saveexec_b32 s0, s1
	s_cbranch_execz .LBB184_113
; %bb.112:
	s_wait_dscnt 0x0
	v_bcnt_u32_b32 v1, v1, v29
	ds_store_b32 v40, v1 offset:64
.LBB184_113:
	s_or_b32 exec_lo, exec_lo, s0
	v_lshrrev_b32_e32 v1, s28, v10
	; wave barrier
	s_delay_alu instid0(VALU_DEP_1) | instskip(SKIP_1) | instid1(VALU_DEP_2)
	v_and_b32_e32 v2, s5, v1
	v_bitop3_b32 v1, v1, 1, s5 bitop3:0x80
	v_dual_lshlrev_b32 v5, 30, v2 :: v_dual_lshlrev_b32 v6, 29, v2
	s_delay_alu instid0(VALU_DEP_2) | instskip(NEXT) | instid1(VALU_DEP_1)
	v_add_co_u32 v1, s0, v1, -1
	v_cndmask_b32_e64 v4, 0, 1, s0
	v_lshlrev_b32_e32 v7, 28, v2
	s_delay_alu instid0(VALU_DEP_4) | instskip(SKIP_1) | instid1(VALU_DEP_4)
	v_cmp_gt_i32_e64 s0, 0, v5
	v_cmp_gt_i32_e64 s1, 0, v6
	v_cmp_ne_u32_e32 vcc_lo, 0, v4
	v_not_b32_e32 v4, v5
	v_not_b32_e32 v5, v6
	;; [unrolled: 1-line block ×3, first 2 shown]
	s_delay_alu instid0(VALU_DEP_3) | instskip(NEXT) | instid1(VALU_DEP_2)
	v_dual_ashrrev_i32 v4, 31, v4 :: v_dual_bitop2_b32 v1, vcc_lo, v1 bitop3:0x14
	v_dual_ashrrev_i32 v5, 31, v5 :: v_dual_ashrrev_i32 v6, 31, v6
	v_mul_lo_u32 v3, 0x44, v2
	v_dual_lshlrev_b32 v32, 27, v2 :: v_dual_lshlrev_b32 v33, 26, v2
	v_dual_lshlrev_b32 v35, 25, v2 :: v_dual_lshlrev_b32 v2, 24, v2
	v_cmp_gt_i32_e64 s2, 0, v7
	v_xor_b32_e32 v4, s0, v4
	s_delay_alu instid0(VALU_DEP_4)
	v_not_b32_e32 v7, v32
	v_not_b32_e32 v36, v33
	v_xor_b32_e32 v5, s1, v5
	v_xor_b32_e32 v6, s2, v6
	v_bitop3_b32 v1, v1, v4, exec_lo bitop3:0x80
	v_cmp_gt_i32_e32 vcc_lo, 0, v32
	v_ashrrev_i32_e32 v4, 31, v7
	v_cmp_gt_i32_e64 s0, 0, v33
	v_ashrrev_i32_e32 v7, 31, v36
	v_bitop3_b32 v1, v1, v6, v5 bitop3:0x80
	v_not_b32_e32 v5, v35
	v_not_b32_e32 v6, v2
	v_xor_b32_e32 v4, vcc_lo, v4
	v_xor_b32_e32 v7, s0, v7
	v_cmp_gt_i32_e32 vcc_lo, 0, v35
	v_ashrrev_i32_e32 v5, 31, v5
	v_cmp_gt_i32_e64 s0, 0, v2
	v_dual_ashrrev_i32 v2, 31, v6 :: v_dual_add_nc_u32 v42, v0, v3
	v_bitop3_b32 v1, v1, v7, v4 bitop3:0x80
	s_delay_alu instid0(VALU_DEP_4) | instskip(NEXT) | instid1(VALU_DEP_3)
	v_xor_b32_e32 v3, vcc_lo, v5
	v_xor_b32_e32 v2, s0, v2
	ds_load_b32 v32, v42 offset:64
	; wave barrier
	v_bitop3_b32 v1, v1, v2, v3 bitop3:0x80
	s_delay_alu instid0(VALU_DEP_1) | instskip(SKIP_1) | instid1(VALU_DEP_2)
	v_mbcnt_lo_u32_b32 v33, v1, 0
	v_cmp_ne_u32_e64 s0, 0, v1
	v_cmp_eq_u32_e32 vcc_lo, 0, v33
	s_and_b32 s1, s0, vcc_lo
	s_delay_alu instid0(SALU_CYCLE_1)
	s_and_saveexec_b32 s0, s1
	s_cbranch_execz .LBB184_115
; %bb.114:
	s_wait_dscnt 0x0
	v_bcnt_u32_b32 v1, v1, v32
	ds_store_b32 v42, v1 offset:64
.LBB184_115:
	s_or_b32 exec_lo, exec_lo, s0
	v_lshrrev_b32_e32 v1, s28, v11
	; wave barrier
	s_delay_alu instid0(VALU_DEP_1) | instskip(NEXT) | instid1(VALU_DEP_1)
	v_and_b32_e32 v2, s5, v1
	v_lshlrev_b32_e32 v5, 30, v2
	v_bitop3_b32 v1, v1, 1, s5 bitop3:0x80
	s_delay_alu instid0(VALU_DEP_1) | instskip(NEXT) | instid1(VALU_DEP_1)
	v_add_co_u32 v1, s0, v1, -1
	v_cndmask_b32_e64 v4, 0, 1, s0
	s_delay_alu instid0(VALU_DEP_4) | instskip(NEXT) | instid1(VALU_DEP_2)
	v_cmp_gt_i32_e64 s0, 0, v5
	v_cmp_ne_u32_e32 vcc_lo, 0, v4
	v_not_b32_e32 v4, v5
	s_delay_alu instid0(VALU_DEP_1) | instskip(SKIP_3) | instid1(VALU_DEP_4)
	v_dual_ashrrev_i32 v4, 31, v4 :: v_dual_lshlrev_b32 v6, 29, v2
	v_dual_lshlrev_b32 v7, 28, v2 :: v_dual_lshlrev_b32 v35, 27, v2
	v_lshlrev_b32_e32 v36, 26, v2
	v_mul_lo_u32 v3, 0x44, v2
	v_cmp_gt_i32_e64 s1, 0, v6
	v_not_b32_e32 v5, v6
	v_not_b32_e32 v6, v7
	v_cmp_gt_i32_e64 s2, 0, v7
	v_xor_b32_e32 v1, vcc_lo, v1
	s_delay_alu instid0(VALU_DEP_4) | instskip(NEXT) | instid1(VALU_DEP_4)
	v_dual_ashrrev_i32 v5, 31, v5 :: v_dual_bitop2_b32 v4, s0, v4 bitop3:0x14
	v_ashrrev_i32_e32 v6, 31, v6
	v_dual_lshlrev_b32 v38, 25, v2 :: v_dual_lshlrev_b32 v2, 24, v2
	v_not_b32_e32 v7, v35
	v_not_b32_e32 v39, v36
	v_xor_b32_e32 v5, s1, v5
	v_xor_b32_e32 v6, s2, v6
	v_bitop3_b32 v1, v1, v4, exec_lo bitop3:0x80
	v_cmp_gt_i32_e32 vcc_lo, 0, v35
	v_ashrrev_i32_e32 v4, 31, v7
	v_cmp_gt_i32_e64 s0, 0, v36
	v_ashrrev_i32_e32 v7, 31, v39
	v_bitop3_b32 v1, v1, v6, v5 bitop3:0x80
	v_not_b32_e32 v5, v38
	v_not_b32_e32 v6, v2
	v_xor_b32_e32 v4, vcc_lo, v4
	v_xor_b32_e32 v7, s0, v7
	v_cmp_gt_i32_e32 vcc_lo, 0, v38
	v_ashrrev_i32_e32 v5, 31, v5
	v_cmp_gt_i32_e64 s0, 0, v2
	v_dual_ashrrev_i32 v2, 31, v6 :: v_dual_add_nc_u32 v43, v0, v3
	v_bitop3_b32 v1, v1, v7, v4 bitop3:0x80
	s_delay_alu instid0(VALU_DEP_4) | instskip(NEXT) | instid1(VALU_DEP_3)
	v_xor_b32_e32 v3, vcc_lo, v5
	v_xor_b32_e32 v2, s0, v2
	ds_load_b32 v35, v43 offset:64
	; wave barrier
	v_bitop3_b32 v1, v1, v2, v3 bitop3:0x80
	s_delay_alu instid0(VALU_DEP_1) | instskip(SKIP_1) | instid1(VALU_DEP_2)
	v_mbcnt_lo_u32_b32 v36, v1, 0
	v_cmp_ne_u32_e64 s0, 0, v1
	v_cmp_eq_u32_e32 vcc_lo, 0, v36
	s_and_b32 s1, s0, vcc_lo
	s_delay_alu instid0(SALU_CYCLE_1)
	s_and_saveexec_b32 s0, s1
	s_cbranch_execz .LBB184_117
; %bb.116:
	s_wait_dscnt 0x0
	v_bcnt_u32_b32 v1, v1, v35
	ds_store_b32 v43, v1 offset:64
.LBB184_117:
	s_or_b32 exec_lo, exec_lo, s0
	v_lshrrev_b32_e32 v1, s28, v12
	; wave barrier
	s_delay_alu instid0(VALU_DEP_1) | instskip(NEXT) | instid1(VALU_DEP_1)
	v_and_b32_e32 v2, s5, v1
	v_lshlrev_b32_e32 v5, 30, v2
	v_bitop3_b32 v1, v1, 1, s5 bitop3:0x80
	s_delay_alu instid0(VALU_DEP_1) | instskip(NEXT) | instid1(VALU_DEP_1)
	v_add_co_u32 v1, s0, v1, -1
	v_cndmask_b32_e64 v4, 0, 1, s0
	s_delay_alu instid0(VALU_DEP_4) | instskip(NEXT) | instid1(VALU_DEP_2)
	v_cmp_gt_i32_e64 s0, 0, v5
	v_cmp_ne_u32_e32 vcc_lo, 0, v4
	v_not_b32_e32 v4, v5
	s_delay_alu instid0(VALU_DEP_1) | instskip(SKIP_3) | instid1(VALU_DEP_4)
	v_dual_ashrrev_i32 v4, 31, v4 :: v_dual_lshlrev_b32 v6, 29, v2
	v_dual_lshlrev_b32 v7, 28, v2 :: v_dual_lshlrev_b32 v38, 27, v2
	v_lshlrev_b32_e32 v39, 26, v2
	v_mul_lo_u32 v3, 0x44, v2
	v_cmp_gt_i32_e64 s1, 0, v6
	v_not_b32_e32 v5, v6
	v_not_b32_e32 v6, v7
	v_cmp_gt_i32_e64 s2, 0, v7
	v_xor_b32_e32 v1, vcc_lo, v1
	s_delay_alu instid0(VALU_DEP_4) | instskip(NEXT) | instid1(VALU_DEP_4)
	v_dual_ashrrev_i32 v5, 31, v5 :: v_dual_bitop2_b32 v4, s0, v4 bitop3:0x14
	v_ashrrev_i32_e32 v6, 31, v6
	v_dual_lshlrev_b32 v41, 25, v2 :: v_dual_lshlrev_b32 v2, 24, v2
	v_not_b32_e32 v7, v38
	v_not_b32_e32 v44, v39
	v_xor_b32_e32 v5, s1, v5
	v_xor_b32_e32 v6, s2, v6
	v_bitop3_b32 v1, v1, v4, exec_lo bitop3:0x80
	v_cmp_gt_i32_e32 vcc_lo, 0, v38
	v_ashrrev_i32_e32 v4, 31, v7
	v_cmp_gt_i32_e64 s0, 0, v39
	v_ashrrev_i32_e32 v7, 31, v44
	v_bitop3_b32 v1, v1, v6, v5 bitop3:0x80
	v_not_b32_e32 v5, v41
	v_not_b32_e32 v6, v2
	v_xor_b32_e32 v4, vcc_lo, v4
	v_xor_b32_e32 v7, s0, v7
	v_cmp_gt_i32_e32 vcc_lo, 0, v41
	v_ashrrev_i32_e32 v5, 31, v5
	v_cmp_gt_i32_e64 s0, 0, v2
	v_dual_ashrrev_i32 v2, 31, v6 :: v_dual_add_nc_u32 v44, v0, v3
	v_bitop3_b32 v0, v1, v7, v4 bitop3:0x80
	s_delay_alu instid0(VALU_DEP_4) | instskip(NEXT) | instid1(VALU_DEP_3)
	v_xor_b32_e32 v1, vcc_lo, v5
	v_xor_b32_e32 v2, s0, v2
	ds_load_b32 v39, v44 offset:64
	; wave barrier
	v_bitop3_b32 v0, v0, v2, v1 bitop3:0x80
	s_delay_alu instid0(VALU_DEP_1) | instskip(SKIP_1) | instid1(VALU_DEP_2)
	v_mbcnt_lo_u32_b32 v41, v0, 0
	v_cmp_ne_u32_e64 s0, 0, v0
	v_cmp_eq_u32_e32 vcc_lo, 0, v41
	s_and_b32 s1, s0, vcc_lo
	s_delay_alu instid0(SALU_CYCLE_1)
	s_and_saveexec_b32 s0, s1
	s_cbranch_execz .LBB184_119
; %bb.118:
	s_wait_dscnt 0x0
	v_bcnt_u32_b32 v0, v0, v39
	ds_store_b32 v44, v0 offset:64
.LBB184_119:
	s_or_b32 exec_lo, exec_lo, s0
	; wave barrier
	s_wait_dscnt 0x0
	s_barrier_signal -1
	s_barrier_wait -1
	ds_load_2addr_b32 v[6:7], v27 offset0:16 offset1:17
	ds_load_2addr_b32 v[4:5], v27 offset0:18 offset1:19
	;; [unrolled: 1-line block ×4, first 2 shown]
	ds_load_b32 v38, v27 offset:96
	v_bfe_i32 v47, v20, 4, 1
	s_mov_b32 s6, exec_lo
	s_wait_dscnt 0x3
	v_add3_u32 v45, v7, v6, v4
	s_wait_dscnt 0x2
	s_delay_alu instid0(VALU_DEP_1) | instskip(SKIP_1) | instid1(VALU_DEP_1)
	v_add3_u32 v45, v45, v5, v2
	s_wait_dscnt 0x1
	v_add3_u32 v45, v45, v3, v0
	s_wait_dscnt 0x0
	s_delay_alu instid0(VALU_DEP_1) | instskip(SKIP_1) | instid1(VALU_DEP_2)
	v_add3_u32 v38, v45, v1, v38
	v_and_b32_e32 v45, 15, v20
	v_mov_b32_dpp v46, v38 row_shr:1 row_mask:0xf bank_mask:0xf
	s_delay_alu instid0(VALU_DEP_2) | instskip(NEXT) | instid1(VALU_DEP_2)
	v_cmp_eq_u32_e32 vcc_lo, 0, v45
	v_cndmask_b32_e64 v46, v46, 0, vcc_lo
	s_delay_alu instid0(VALU_DEP_1) | instskip(SKIP_3) | instid1(VALU_DEP_4)
	v_add_nc_u32_e32 v38, v46, v38
	v_cmp_lt_u32_e64 s0, 1, v45
	v_cmp_lt_u32_e64 s1, 3, v45
	;; [unrolled: 1-line block ×3, first 2 shown]
	v_mov_b32_dpp v46, v38 row_shr:2 row_mask:0xf bank_mask:0xf
	s_delay_alu instid0(VALU_DEP_1) | instskip(NEXT) | instid1(VALU_DEP_1)
	v_cndmask_b32_e64 v46, 0, v46, s0
	v_add_nc_u32_e32 v38, v38, v46
	s_delay_alu instid0(VALU_DEP_1) | instskip(NEXT) | instid1(VALU_DEP_1)
	v_mov_b32_dpp v46, v38 row_shr:4 row_mask:0xf bank_mask:0xf
	v_cndmask_b32_e64 v46, 0, v46, s1
	s_delay_alu instid0(VALU_DEP_1) | instskip(NEXT) | instid1(VALU_DEP_1)
	v_add_nc_u32_e32 v38, v38, v46
	v_mov_b32_dpp v46, v38 row_shr:8 row_mask:0xf bank_mask:0xf
	s_delay_alu instid0(VALU_DEP_1) | instskip(SKIP_1) | instid1(VALU_DEP_2)
	v_cndmask_b32_e64 v45, 0, v46, s2
	v_and_b32_e32 v46, 0x3e0, v18
	v_add_nc_u32_e32 v38, v38, v45
	s_delay_alu instid0(VALU_DEP_2) | instskip(SKIP_4) | instid1(VALU_DEP_2)
	v_min_u32_e32 v46, 0x1e0, v46
	ds_swizzle_b32 v45, v38 offset:swizzle(BROADCAST,32,15)
	s_wait_dscnt 0x0
	v_and_b32_e32 v45, v47, v45
	v_or_b32_e32 v47, 31, v46
	v_dual_lshrrev_b32 v46, 5, v18 :: v_dual_add_nc_u32 v45, v38, v45
	s_delay_alu instid0(VALU_DEP_2)
	v_cmpx_eq_u32_e64 v18, v47
; %bb.120:
	s_delay_alu instid0(VALU_DEP_2)
	v_lshlrev_b32_e32 v38, 2, v46
	ds_store_b32 v38, v45
; %bb.121:
	s_or_b32 exec_lo, exec_lo, s6
	v_lshlrev_b32_e32 v38, 2, v18
	s_mov_b32 s6, exec_lo
	s_wait_dscnt 0x0
	s_barrier_signal -1
	s_barrier_wait -1
	v_cmpx_gt_u32_e32 16, v18
	s_cbranch_execz .LBB184_123
; %bb.122:
	ds_load_b32 v47, v38
	s_wait_dscnt 0x0
	v_mov_b32_dpp v48, v47 row_shr:1 row_mask:0xf bank_mask:0xf
	s_delay_alu instid0(VALU_DEP_1) | instskip(NEXT) | instid1(VALU_DEP_1)
	v_cndmask_b32_e64 v48, v48, 0, vcc_lo
	v_add_nc_u32_e32 v47, v48, v47
	s_delay_alu instid0(VALU_DEP_1) | instskip(NEXT) | instid1(VALU_DEP_1)
	v_mov_b32_dpp v48, v47 row_shr:2 row_mask:0xf bank_mask:0xf
	v_cndmask_b32_e64 v48, 0, v48, s0
	s_delay_alu instid0(VALU_DEP_1) | instskip(NEXT) | instid1(VALU_DEP_1)
	v_add_nc_u32_e32 v47, v47, v48
	v_mov_b32_dpp v48, v47 row_shr:4 row_mask:0xf bank_mask:0xf
	s_delay_alu instid0(VALU_DEP_1) | instskip(NEXT) | instid1(VALU_DEP_1)
	v_cndmask_b32_e64 v48, 0, v48, s1
	v_add_nc_u32_e32 v47, v47, v48
	s_delay_alu instid0(VALU_DEP_1) | instskip(NEXT) | instid1(VALU_DEP_1)
	v_mov_b32_dpp v48, v47 row_shr:8 row_mask:0xf bank_mask:0xf
	v_cndmask_b32_e64 v48, 0, v48, s2
	s_delay_alu instid0(VALU_DEP_1)
	v_add_nc_u32_e32 v47, v47, v48
	ds_store_b32 v38, v47
.LBB184_123:
	s_or_b32 exec_lo, exec_lo, s6
	v_mov_b32_e32 v47, 0
	s_mov_b32 s0, exec_lo
	s_wait_dscnt 0x0
	s_barrier_signal -1
	s_barrier_wait -1
	v_cmpx_lt_u32_e32 31, v18
; %bb.124:
	v_lshl_add_u32 v46, v46, 2, -4
	ds_load_b32 v47, v46
; %bb.125:
	s_or_b32 exec_lo, exec_lo, s0
	v_sub_co_u32 v46, vcc_lo, v20, 1
	s_wait_dscnt 0x0
	v_add_nc_u32_e32 v45, v47, v45
	s_delay_alu instid0(VALU_DEP_2) | instskip(NEXT) | instid1(VALU_DEP_1)
	v_cmp_gt_i32_e64 s0, 0, v46
	v_cndmask_b32_e64 v46, v46, v20, s0
	v_cmp_lt_u32_e64 s0, 0xff, v18
	s_delay_alu instid0(VALU_DEP_2) | instskip(SKIP_4) | instid1(VALU_DEP_2)
	v_lshlrev_b32_e32 v46, 2, v46
	ds_bpermute_b32 v45, v46, v45
	s_wait_dscnt 0x0
	v_cndmask_b32_e32 v45, v45, v47, vcc_lo
	v_cmp_gt_u32_e32 vcc_lo, 0x100, v18
	v_cndmask_b32_e64 v45, v45, 0, s4
	s_delay_alu instid0(VALU_DEP_1) | instskip(NEXT) | instid1(VALU_DEP_1)
	v_add_nc_u32_e32 v6, v45, v6
	v_add_nc_u32_e32 v7, v6, v7
	s_delay_alu instid0(VALU_DEP_1) | instskip(NEXT) | instid1(VALU_DEP_1)
	v_add_nc_u32_e32 v4, v7, v4
	v_add_nc_u32_e32 v5, v4, v5
	;; [unrolled: 3-line block ×4, first 2 shown]
	ds_store_2addr_b32 v27, v45, v6 offset0:16 offset1:17
	ds_store_2addr_b32 v27, v7, v4 offset0:18 offset1:19
	ds_store_2addr_b32 v27, v5, v2 offset0:20 offset1:21
	ds_store_2addr_b32 v27, v3, v0 offset0:22 offset1:23
	ds_store_b32 v27, v1 offset:96
	s_wait_dscnt 0x0
	s_barrier_signal -1
	s_barrier_wait -1
	ds_load_b32 v0, v28 offset:64
	ds_load_b32 v31, v31 offset:64
	;; [unrolled: 1-line block ×8, first 2 shown]
                                        ; implicit-def: $vgpr27
                                        ; implicit-def: $vgpr28
	s_and_saveexec_b32 s2, vcc_lo
	s_cbranch_execz .LBB184_129
; %bb.126:
	v_mul_u32_u24_e32 v1, 0x44, v18
	v_add_nc_u32_e32 v2, 1, v18
	s_mov_b32 s3, exec_lo
	ds_load_b32 v27, v1 offset:64
	v_mov_b32_e32 v1, 0x1000
	v_cmpx_ne_u32_e32 0x100, v2
; %bb.127:
	v_mul_u32_u24_e32 v1, 0x44, v2
	ds_load_b32 v1, v1 offset:64
; %bb.128:
	s_or_b32 exec_lo, exec_lo, s3
	s_wait_dscnt 0x0
	v_sub_nc_u32_e32 v28, v1, v27
.LBB184_129:
	s_or_b32 exec_lo, exec_lo, s2
	s_wait_dscnt 0x7
	v_dual_add_nc_u32 v5, v26, v25 :: v_dual_add_nc_u32 v24, v0, v24
	v_dual_add_nc_u32 v6, v22, v21 :: v_dual_add_nc_u32 v0, v17, v16
	;; [unrolled: 1-line block ×3, first 2 shown]
	s_delay_alu instid0(VALU_DEP_3)
	v_dual_lshlrev_b32 v7, 2, v24 :: v_dual_add_nc_u32 v2, v36, v35
	v_add_nc_u32_e32 v3, v33, v32
	s_wait_dscnt 0x6
	v_add_lshl_u32 v0, v0, v31, 2
	s_wait_dscnt 0x5
	v_add_lshl_u32 v6, v6, v34, 2
	;; [unrolled: 2-line block ×3, first 2 shown]
	s_wait_dscnt 0x0
	s_barrier_signal -1
	s_barrier_wait -1
	ds_store_b32 v7, v13 offset:1024
	ds_store_b32 v0, v14 offset:1024
	;; [unrolled: 1-line block ×4, first 2 shown]
	v_add_lshl_u32 v0, v4, v40, 2
	v_add_lshl_u32 v4, v1, v44, 2
	v_mov_b32_e32 v1, 0
	v_add_lshl_u32 v3, v3, v42, 2
	v_add_lshl_u32 v2, v2, v43, 2
	ds_store_b32 v0, v9 offset:1024
	ds_store_b32 v3, v10 offset:1024
	;; [unrolled: 1-line block ×4, first 2 shown]
	s_and_saveexec_b32 s1, vcc_lo
	s_cbranch_execz .LBB184_139
; %bb.130:
	v_lshl_add_u32 v0, s31, 8, v18
	v_dual_mov_b32 v6, 0 :: v_dual_bitop2_b32 v4, 2.0, v28 bitop3:0x54
	s_mov_b32 s2, 0
	s_mov_b32 s3, s31
	s_delay_alu instid0(VALU_DEP_2)
	v_lshl_add_u64 v[2:3], v[0:1], 2, s[34:35]
	global_store_b32 v0, v4, s[34:35] scale_offset scope:SCOPE_DEV
                                        ; implicit-def: $sgpr4
	s_branch .LBB184_133
.LBB184_131:                            ;   in Loop: Header=BB184_133 Depth=1
	s_or_b32 exec_lo, exec_lo, s6
.LBB184_132:                            ;   in Loop: Header=BB184_133 Depth=1
	s_delay_alu instid0(SALU_CYCLE_1) | instskip(SKIP_2) | instid1(VALU_DEP_2)
	s_or_b32 exec_lo, exec_lo, s4
	v_and_b32_e32 v0, 0x3fffffff, v7
	v_cmp_gt_i32_e64 s4, -2.0, v7
	v_add_nc_u32_e32 v6, v0, v6
	s_and_b32 s6, exec_lo, s4
	s_delay_alu instid0(SALU_CYCLE_1) | instskip(NEXT) | instid1(SALU_CYCLE_1)
	s_or_b32 s2, s6, s2
	s_and_not1_b32 exec_lo, exec_lo, s2
	s_cbranch_execz .LBB184_138
.LBB184_133:                            ; =>This Loop Header: Depth=1
                                        ;     Child Loop BB184_136 Depth 2
	s_or_b32 s4, s4, exec_lo
	s_cmp_eq_u32 s3, 0
	s_cbranch_scc1 .LBB184_137
; %bb.134:                              ;   in Loop: Header=BB184_133 Depth=1
	s_add_co_i32 s3, s3, -1
	s_mov_b32 s4, exec_lo
	s_wait_xcnt 0x0
	v_lshl_or_b32 v0, s3, 8, v18
	global_load_b32 v7, v0, s[34:35] scale_offset scope:SCOPE_DEV
	s_wait_loadcnt 0x0
	v_cmpx_gt_u32_e32 2.0, v7
	s_cbranch_execz .LBB184_132
; %bb.135:                              ;   in Loop: Header=BB184_133 Depth=1
	v_lshl_add_u64 v[4:5], v[0:1], 2, s[34:35]
	s_mov_b32 s6, 0
.LBB184_136:                            ;   Parent Loop BB184_133 Depth=1
                                        ; =>  This Inner Loop Header: Depth=2
	global_load_b32 v7, v[4:5], off scope:SCOPE_DEV
	s_wait_loadcnt 0x0
	v_cmp_lt_u32_e32 vcc_lo, 0x3fffffff, v7
	s_or_b32 s6, vcc_lo, s6
	s_wait_xcnt 0x0
	s_and_not1_b32 exec_lo, exec_lo, s6
	s_cbranch_execnz .LBB184_136
	s_branch .LBB184_131
.LBB184_137:                            ;   in Loop: Header=BB184_133 Depth=1
                                        ; implicit-def: $sgpr3
	s_and_b32 s6, exec_lo, s4
	s_delay_alu instid0(SALU_CYCLE_1)
	s_or_b32 s2, s6, s2
	s_wait_xcnt 0x0
	s_and_not1_b32 exec_lo, exec_lo, s2
	s_cbranch_execnz .LBB184_133
.LBB184_138:
	s_or_b32 exec_lo, exec_lo, s2
	v_dual_add_nc_u32 v0, v6, v28 :: v_dual_sub_nc_u32 v1, v6, v27
	s_delay_alu instid0(VALU_DEP_1)
	v_or_b32_e32 v0, 0x80000000, v0
	global_store_b32 v[2:3], v0, off scope:SCOPE_DEV
	global_load_b32 v0, v18, s[24:25] scale_offset
	s_wait_loadcnt 0x0
	v_add_nc_u32_e32 v0, v1, v0
	ds_store_b32 v38, v0
.LBB184_139:
	s_wait_xcnt 0x0
	s_or_b32 exec_lo, exec_lo, s1
	s_wait_storecnt_dscnt 0x0
	s_barrier_signal -1
	s_barrier_wait -1
	ds_load_2addr_stride64_b32 v[0:1], v38 offset0:4 offset1:12
	ds_load_2addr_stride64_b32 v[2:3], v38 offset0:20 offset1:28
	;; [unrolled: 1-line block ×4, first 2 shown]
	v_dual_mov_b32 v11, 0 :: v_dual_lshlrev_b32 v10, 3, v20
	s_lshl_b64 s[2:3], s[8:9], 3
	v_add3_u32 v32, v33, v42, v32
	s_add_nc_u64 s[2:3], s[20:21], s[2:3]
	v_add3_u32 v29, v30, v40, v29
	v_add3_u32 v25, v26, v37, v25
	;; [unrolled: 1-line block ×4, first 2 shown]
	s_mov_b32 s1, 0
	v_add_nc_u32_e32 v17, v38, v38
	s_wait_dscnt 0x3
	v_dual_mov_b32 v22, v18 :: v_dual_lshrrev_b32 v9, s28, v1
	s_wait_dscnt 0x2
	v_dual_lshrrev_b32 v12, s28, v0 :: v_dual_lshrrev_b32 v13, s28, v3
	s_wait_dscnt 0x1
	v_dual_lshrrev_b32 v14, s28, v2 :: v_dual_lshrrev_b32 v15, s28, v5
	;; [unrolled: 2-line block ×3, first 2 shown]
	v_dual_lshrrev_b32 v45, s28, v6 :: v_dual_bitop2_b32 v46, s5, v12 bitop3:0x40
	v_and_b32_e32 v47, s5, v9
	v_and_b32_e32 v48, s5, v14
	;; [unrolled: 1-line block ×6, first 2 shown]
	v_dual_lshlrev_b32 v9, 2, v46 :: v_dual_bitop2_b32 v53, s5, v23 bitop3:0x40
	v_dual_lshlrev_b32 v12, 2, v47 :: v_dual_lshlrev_b32 v13, 2, v48
	v_dual_lshlrev_b32 v14, 2, v49 :: v_dual_lshlrev_b32 v15, 2, v50
	s_delay_alu instid0(VALU_DEP_4) | instskip(NEXT) | instid1(VALU_DEP_4)
	v_dual_lshlrev_b32 v20, 2, v51 :: v_dual_lshlrev_b32 v23, 2, v52
	v_lshlrev_b32_e32 v45, 2, v53
	ds_load_b32 v9, v9
	ds_load_b32 v56, v12
	;; [unrolled: 1-line block ×8, first 2 shown]
	v_add_nc_u64_e32 v[12:13], s[2:3], v[10:11]
	v_lshlrev_b32_e32 v10, 3, v8
	s_mov_b32 s2, -1
	s_delay_alu instid0(VALU_DEP_1)
	v_add_nc_u64_e32 v[54:55], v[12:13], v[10:11]
	s_wait_dscnt 0x7
	v_add_nc_u32_e32 v8, v9, v18
	s_wait_dscnt 0x6
	v_add3_u32 v9, v18, v56, 0x200
	s_wait_dscnt 0x5
	v_add3_u32 v10, v57, v18, 0x400
	;; [unrolled: 2-line block ×7, first 2 shown]
	s_clause 0x7
	global_store_b32 v8, v0, s[18:19] scale_offset
	global_store_b32 v9, v1, s[18:19] scale_offset
	;; [unrolled: 1-line block ×8, first 2 shown]
	s_clause 0x7
	global_load_b64 v[0:1], v[54:55], off
	global_load_b64 v[2:3], v[54:55], off offset:256
	global_load_b64 v[4:5], v[54:55], off offset:512
	;; [unrolled: 1-line block ×7, first 2 shown]
	v_lshlrev_b32_e32 v20, 5, v19
	ds_store_b128 v20, v[46:49] offset:34896
	ds_store_b128 v20, v[50:53] offset:34912
	v_add_nc_u32_e32 v45, 0x8850, v20
	v_add_nc_u32_e32 v19, 0x8860, v20
	v_add3_u32 v20, v41, v44, v39
	v_add3_u32 v23, v36, v43, v35
	s_wait_storecnt 0x0
	s_wait_loadcnt_dscnt 0x0
	s_barrier_signal -1
	s_barrier_wait -1
.LBB184_140:                            ; =>This Inner Loop Header: Depth=1
	s_wait_xcnt 0x3
	v_add_min_u32_e64 v26, v24, s1, 0x800
	s_wait_xcnt 0x2
	v_add_min_u32_e64 v30, v16, s1, 0x800
	;; [unrolled: 2-line block ×4, first 2 shown]
	v_add_min_u32_e64 v34, v29, s1, 0x800
	v_add_min_u32_e64 v35, v32, s1, 0x800
	;; [unrolled: 1-line block ×4, first 2 shown]
	v_dual_lshlrev_b32 v26, 3, v26 :: v_dual_lshlrev_b32 v31, 3, v31
	v_dual_lshlrev_b32 v30, 3, v30 :: v_dual_lshlrev_b32 v33, 3, v33
	;; [unrolled: 1-line block ×3, first 2 shown]
	s_delay_alu instid0(VALU_DEP_4)
	v_dual_lshlrev_b32 v36, 3, v36 :: v_dual_lshlrev_b32 v37, 3, v37
	ds_store_b64 v26, v[0:1] offset:1024
	ds_store_b64 v30, v[2:3] offset:1024
	;; [unrolled: 1-line block ×8, first 2 shown]
	s_wait_dscnt 0x0
	s_barrier_signal -1
	s_barrier_wait -1
	ds_load_2addr_b32 v[30:31], v45 offset1:1
	ds_load_2addr_b32 v[40:41], v45 offset0:2 offset1:3
	ds_load_2addr_stride64_b64 v[34:37], v17 offset0:2 offset1:10
	s_addk_co_i32 s1, 0xf800
	s_and_b32 vcc_lo, exec_lo, s2
	s_mov_b32 s2, 0
	s_wait_dscnt 0x2
	v_dual_lshlrev_b32 v26, 2, v30 :: v_dual_lshlrev_b32 v30, 2, v31
	s_wait_dscnt 0x1
	v_dual_lshlrev_b32 v31, 2, v40 :: v_dual_lshlrev_b32 v33, 2, v41
	ds_load_b32 v26, v26
	ds_load_b32 v30, v30
	;; [unrolled: 1-line block ×4, first 2 shown]
	ds_load_2addr_stride64_b64 v[40:43], v17 offset0:18 offset1:26
	s_wait_dscnt 0x4
	v_dual_mov_b32 v45, v19 :: v_dual_add_nc_u32 v26, v22, v26
	s_wait_dscnt 0x3
	v_add3_u32 v30, v22, v30, 0x200
	s_wait_dscnt 0x2
	v_add3_u32 v31, v22, v31, 0x400
	;; [unrolled: 2-line block ×3, first 2 shown]
	v_add_nc_u32_e32 v22, 0x800, v22
	s_clause 0x1
	global_store_b64 v26, v[34:35], s[22:23] scale_offset
	global_store_b64 v30, v[36:37], s[22:23] scale_offset
	s_wait_dscnt 0x0
	s_clause 0x1
	global_store_b64 v31, v[40:41], s[22:23] scale_offset
	global_store_b64 v33, v[42:43], s[22:23] scale_offset
	s_wait_storecnt 0x0
	s_barrier_signal -1
	s_barrier_wait -1
	s_cbranch_vccnz .LBB184_140
; %bb.141:
	s_add_co_i32 s10, s10, -1
	s_delay_alu instid0(SALU_CYCLE_1) | instskip(SKIP_2) | instid1(SALU_CYCLE_1)
	s_cmp_eq_u32 s31, s10
	s_cselect_b32 s1, -1, 0
	s_xor_b32 s0, s0, -1
	s_and_b32 s0, s0, s1
	s_wait_xcnt 0x0
	s_and_saveexec_b32 s1, s0
	s_cbranch_execz .LBB184_143
; %bb.142:
	ds_load_b32 v0, v38
	s_wait_dscnt 0x0
	v_add3_u32 v0, v27, v28, v0
	global_store_b32 v18, v0, s[26:27] scale_offset
.LBB184_143:
	s_endpgm
	.section	.rodata,"a",@progbits
	.p2align	6, 0x0
	.amdhsa_kernel _ZN7rocprim17ROCPRIM_400000_NS6detail17trampoline_kernelINS0_14default_configENS1_35radix_sort_onesweep_config_selectorIjN6thrust23THRUST_200600_302600_NS5tupleIffNS6_9null_typeES8_S8_S8_S8_S8_S8_S8_EEEEZZNS1_29radix_sort_onesweep_iterationIS3_Lb0ENS6_6detail15normal_iteratorINS6_10device_ptrIjEEEESG_NSD_INSE_IS9_EEEESI_jNS0_19identity_decomposerENS1_16block_id_wrapperIjLb1EEEEE10hipError_tT1_PNSt15iterator_traitsISN_E10value_typeET2_T3_PNSO_IST_E10value_typeET4_T5_PSY_SZ_PNS1_23onesweep_lookback_stateEbbT6_jjT7_P12ihipStream_tbENKUlT_T0_SN_SS_E_clISG_PjSI_PS9_EEDaS16_S17_SN_SS_EUlS16_E_NS1_11comp_targetILNS1_3genE0ELNS1_11target_archE4294967295ELNS1_3gpuE0ELNS1_3repE0EEENS1_47radix_sort_onesweep_sort_config_static_selectorELNS0_4arch9wavefront6targetE0EEEvSN_
		.amdhsa_group_segment_fixed_size 51280
		.amdhsa_private_segment_fixed_size 0
		.amdhsa_kernarg_size 344
		.amdhsa_user_sgpr_count 4
		.amdhsa_user_sgpr_dispatch_ptr 1
		.amdhsa_user_sgpr_queue_ptr 0
		.amdhsa_user_sgpr_kernarg_segment_ptr 1
		.amdhsa_user_sgpr_dispatch_id 0
		.amdhsa_user_sgpr_kernarg_preload_length 0
		.amdhsa_user_sgpr_kernarg_preload_offset 0
		.amdhsa_user_sgpr_private_segment_size 0
		.amdhsa_wavefront_size32 1
		.amdhsa_uses_dynamic_stack 0
		.amdhsa_enable_private_segment 0
		.amdhsa_system_sgpr_workgroup_id_x 1
		.amdhsa_system_sgpr_workgroup_id_y 0
		.amdhsa_system_sgpr_workgroup_id_z 0
		.amdhsa_system_sgpr_workgroup_info 0
		.amdhsa_system_vgpr_workitem_id 2
		.amdhsa_next_free_vgpr 58
		.amdhsa_next_free_sgpr 43
		.amdhsa_named_barrier_count 0
		.amdhsa_reserve_vcc 1
		.amdhsa_float_round_mode_32 0
		.amdhsa_float_round_mode_16_64 0
		.amdhsa_float_denorm_mode_32 3
		.amdhsa_float_denorm_mode_16_64 3
		.amdhsa_fp16_overflow 0
		.amdhsa_memory_ordered 1
		.amdhsa_forward_progress 1
		.amdhsa_inst_pref_size 105
		.amdhsa_round_robin_scheduling 0
		.amdhsa_exception_fp_ieee_invalid_op 0
		.amdhsa_exception_fp_denorm_src 0
		.amdhsa_exception_fp_ieee_div_zero 0
		.amdhsa_exception_fp_ieee_overflow 0
		.amdhsa_exception_fp_ieee_underflow 0
		.amdhsa_exception_fp_ieee_inexact 0
		.amdhsa_exception_int_div_zero 0
	.end_amdhsa_kernel
	.section	.text._ZN7rocprim17ROCPRIM_400000_NS6detail17trampoline_kernelINS0_14default_configENS1_35radix_sort_onesweep_config_selectorIjN6thrust23THRUST_200600_302600_NS5tupleIffNS6_9null_typeES8_S8_S8_S8_S8_S8_S8_EEEEZZNS1_29radix_sort_onesweep_iterationIS3_Lb0ENS6_6detail15normal_iteratorINS6_10device_ptrIjEEEESG_NSD_INSE_IS9_EEEESI_jNS0_19identity_decomposerENS1_16block_id_wrapperIjLb1EEEEE10hipError_tT1_PNSt15iterator_traitsISN_E10value_typeET2_T3_PNSO_IST_E10value_typeET4_T5_PSY_SZ_PNS1_23onesweep_lookback_stateEbbT6_jjT7_P12ihipStream_tbENKUlT_T0_SN_SS_E_clISG_PjSI_PS9_EEDaS16_S17_SN_SS_EUlS16_E_NS1_11comp_targetILNS1_3genE0ELNS1_11target_archE4294967295ELNS1_3gpuE0ELNS1_3repE0EEENS1_47radix_sort_onesweep_sort_config_static_selectorELNS0_4arch9wavefront6targetE0EEEvSN_,"axG",@progbits,_ZN7rocprim17ROCPRIM_400000_NS6detail17trampoline_kernelINS0_14default_configENS1_35radix_sort_onesweep_config_selectorIjN6thrust23THRUST_200600_302600_NS5tupleIffNS6_9null_typeES8_S8_S8_S8_S8_S8_S8_EEEEZZNS1_29radix_sort_onesweep_iterationIS3_Lb0ENS6_6detail15normal_iteratorINS6_10device_ptrIjEEEESG_NSD_INSE_IS9_EEEESI_jNS0_19identity_decomposerENS1_16block_id_wrapperIjLb1EEEEE10hipError_tT1_PNSt15iterator_traitsISN_E10value_typeET2_T3_PNSO_IST_E10value_typeET4_T5_PSY_SZ_PNS1_23onesweep_lookback_stateEbbT6_jjT7_P12ihipStream_tbENKUlT_T0_SN_SS_E_clISG_PjSI_PS9_EEDaS16_S17_SN_SS_EUlS16_E_NS1_11comp_targetILNS1_3genE0ELNS1_11target_archE4294967295ELNS1_3gpuE0ELNS1_3repE0EEENS1_47radix_sort_onesweep_sort_config_static_selectorELNS0_4arch9wavefront6targetE0EEEvSN_,comdat
.Lfunc_end184:
	.size	_ZN7rocprim17ROCPRIM_400000_NS6detail17trampoline_kernelINS0_14default_configENS1_35radix_sort_onesweep_config_selectorIjN6thrust23THRUST_200600_302600_NS5tupleIffNS6_9null_typeES8_S8_S8_S8_S8_S8_S8_EEEEZZNS1_29radix_sort_onesweep_iterationIS3_Lb0ENS6_6detail15normal_iteratorINS6_10device_ptrIjEEEESG_NSD_INSE_IS9_EEEESI_jNS0_19identity_decomposerENS1_16block_id_wrapperIjLb1EEEEE10hipError_tT1_PNSt15iterator_traitsISN_E10value_typeET2_T3_PNSO_IST_E10value_typeET4_T5_PSY_SZ_PNS1_23onesweep_lookback_stateEbbT6_jjT7_P12ihipStream_tbENKUlT_T0_SN_SS_E_clISG_PjSI_PS9_EEDaS16_S17_SN_SS_EUlS16_E_NS1_11comp_targetILNS1_3genE0ELNS1_11target_archE4294967295ELNS1_3gpuE0ELNS1_3repE0EEENS1_47radix_sort_onesweep_sort_config_static_selectorELNS0_4arch9wavefront6targetE0EEEvSN_, .Lfunc_end184-_ZN7rocprim17ROCPRIM_400000_NS6detail17trampoline_kernelINS0_14default_configENS1_35radix_sort_onesweep_config_selectorIjN6thrust23THRUST_200600_302600_NS5tupleIffNS6_9null_typeES8_S8_S8_S8_S8_S8_S8_EEEEZZNS1_29radix_sort_onesweep_iterationIS3_Lb0ENS6_6detail15normal_iteratorINS6_10device_ptrIjEEEESG_NSD_INSE_IS9_EEEESI_jNS0_19identity_decomposerENS1_16block_id_wrapperIjLb1EEEEE10hipError_tT1_PNSt15iterator_traitsISN_E10value_typeET2_T3_PNSO_IST_E10value_typeET4_T5_PSY_SZ_PNS1_23onesweep_lookback_stateEbbT6_jjT7_P12ihipStream_tbENKUlT_T0_SN_SS_E_clISG_PjSI_PS9_EEDaS16_S17_SN_SS_EUlS16_E_NS1_11comp_targetILNS1_3genE0ELNS1_11target_archE4294967295ELNS1_3gpuE0ELNS1_3repE0EEENS1_47radix_sort_onesweep_sort_config_static_selectorELNS0_4arch9wavefront6targetE0EEEvSN_
                                        ; -- End function
	.set _ZN7rocprim17ROCPRIM_400000_NS6detail17trampoline_kernelINS0_14default_configENS1_35radix_sort_onesweep_config_selectorIjN6thrust23THRUST_200600_302600_NS5tupleIffNS6_9null_typeES8_S8_S8_S8_S8_S8_S8_EEEEZZNS1_29radix_sort_onesweep_iterationIS3_Lb0ENS6_6detail15normal_iteratorINS6_10device_ptrIjEEEESG_NSD_INSE_IS9_EEEESI_jNS0_19identity_decomposerENS1_16block_id_wrapperIjLb1EEEEE10hipError_tT1_PNSt15iterator_traitsISN_E10value_typeET2_T3_PNSO_IST_E10value_typeET4_T5_PSY_SZ_PNS1_23onesweep_lookback_stateEbbT6_jjT7_P12ihipStream_tbENKUlT_T0_SN_SS_E_clISG_PjSI_PS9_EEDaS16_S17_SN_SS_EUlS16_E_NS1_11comp_targetILNS1_3genE0ELNS1_11target_archE4294967295ELNS1_3gpuE0ELNS1_3repE0EEENS1_47radix_sort_onesweep_sort_config_static_selectorELNS0_4arch9wavefront6targetE0EEEvSN_.num_vgpr, 58
	.set _ZN7rocprim17ROCPRIM_400000_NS6detail17trampoline_kernelINS0_14default_configENS1_35radix_sort_onesweep_config_selectorIjN6thrust23THRUST_200600_302600_NS5tupleIffNS6_9null_typeES8_S8_S8_S8_S8_S8_S8_EEEEZZNS1_29radix_sort_onesweep_iterationIS3_Lb0ENS6_6detail15normal_iteratorINS6_10device_ptrIjEEEESG_NSD_INSE_IS9_EEEESI_jNS0_19identity_decomposerENS1_16block_id_wrapperIjLb1EEEEE10hipError_tT1_PNSt15iterator_traitsISN_E10value_typeET2_T3_PNSO_IST_E10value_typeET4_T5_PSY_SZ_PNS1_23onesweep_lookback_stateEbbT6_jjT7_P12ihipStream_tbENKUlT_T0_SN_SS_E_clISG_PjSI_PS9_EEDaS16_S17_SN_SS_EUlS16_E_NS1_11comp_targetILNS1_3genE0ELNS1_11target_archE4294967295ELNS1_3gpuE0ELNS1_3repE0EEENS1_47radix_sort_onesweep_sort_config_static_selectorELNS0_4arch9wavefront6targetE0EEEvSN_.num_agpr, 0
	.set _ZN7rocprim17ROCPRIM_400000_NS6detail17trampoline_kernelINS0_14default_configENS1_35radix_sort_onesweep_config_selectorIjN6thrust23THRUST_200600_302600_NS5tupleIffNS6_9null_typeES8_S8_S8_S8_S8_S8_S8_EEEEZZNS1_29radix_sort_onesweep_iterationIS3_Lb0ENS6_6detail15normal_iteratorINS6_10device_ptrIjEEEESG_NSD_INSE_IS9_EEEESI_jNS0_19identity_decomposerENS1_16block_id_wrapperIjLb1EEEEE10hipError_tT1_PNSt15iterator_traitsISN_E10value_typeET2_T3_PNSO_IST_E10value_typeET4_T5_PSY_SZ_PNS1_23onesweep_lookback_stateEbbT6_jjT7_P12ihipStream_tbENKUlT_T0_SN_SS_E_clISG_PjSI_PS9_EEDaS16_S17_SN_SS_EUlS16_E_NS1_11comp_targetILNS1_3genE0ELNS1_11target_archE4294967295ELNS1_3gpuE0ELNS1_3repE0EEENS1_47radix_sort_onesweep_sort_config_static_selectorELNS0_4arch9wavefront6targetE0EEEvSN_.numbered_sgpr, 43
	.set _ZN7rocprim17ROCPRIM_400000_NS6detail17trampoline_kernelINS0_14default_configENS1_35radix_sort_onesweep_config_selectorIjN6thrust23THRUST_200600_302600_NS5tupleIffNS6_9null_typeES8_S8_S8_S8_S8_S8_S8_EEEEZZNS1_29radix_sort_onesweep_iterationIS3_Lb0ENS6_6detail15normal_iteratorINS6_10device_ptrIjEEEESG_NSD_INSE_IS9_EEEESI_jNS0_19identity_decomposerENS1_16block_id_wrapperIjLb1EEEEE10hipError_tT1_PNSt15iterator_traitsISN_E10value_typeET2_T3_PNSO_IST_E10value_typeET4_T5_PSY_SZ_PNS1_23onesweep_lookback_stateEbbT6_jjT7_P12ihipStream_tbENKUlT_T0_SN_SS_E_clISG_PjSI_PS9_EEDaS16_S17_SN_SS_EUlS16_E_NS1_11comp_targetILNS1_3genE0ELNS1_11target_archE4294967295ELNS1_3gpuE0ELNS1_3repE0EEENS1_47radix_sort_onesweep_sort_config_static_selectorELNS0_4arch9wavefront6targetE0EEEvSN_.num_named_barrier, 0
	.set _ZN7rocprim17ROCPRIM_400000_NS6detail17trampoline_kernelINS0_14default_configENS1_35radix_sort_onesweep_config_selectorIjN6thrust23THRUST_200600_302600_NS5tupleIffNS6_9null_typeES8_S8_S8_S8_S8_S8_S8_EEEEZZNS1_29radix_sort_onesweep_iterationIS3_Lb0ENS6_6detail15normal_iteratorINS6_10device_ptrIjEEEESG_NSD_INSE_IS9_EEEESI_jNS0_19identity_decomposerENS1_16block_id_wrapperIjLb1EEEEE10hipError_tT1_PNSt15iterator_traitsISN_E10value_typeET2_T3_PNSO_IST_E10value_typeET4_T5_PSY_SZ_PNS1_23onesweep_lookback_stateEbbT6_jjT7_P12ihipStream_tbENKUlT_T0_SN_SS_E_clISG_PjSI_PS9_EEDaS16_S17_SN_SS_EUlS16_E_NS1_11comp_targetILNS1_3genE0ELNS1_11target_archE4294967295ELNS1_3gpuE0ELNS1_3repE0EEENS1_47radix_sort_onesweep_sort_config_static_selectorELNS0_4arch9wavefront6targetE0EEEvSN_.private_seg_size, 0
	.set _ZN7rocprim17ROCPRIM_400000_NS6detail17trampoline_kernelINS0_14default_configENS1_35radix_sort_onesweep_config_selectorIjN6thrust23THRUST_200600_302600_NS5tupleIffNS6_9null_typeES8_S8_S8_S8_S8_S8_S8_EEEEZZNS1_29radix_sort_onesweep_iterationIS3_Lb0ENS6_6detail15normal_iteratorINS6_10device_ptrIjEEEESG_NSD_INSE_IS9_EEEESI_jNS0_19identity_decomposerENS1_16block_id_wrapperIjLb1EEEEE10hipError_tT1_PNSt15iterator_traitsISN_E10value_typeET2_T3_PNSO_IST_E10value_typeET4_T5_PSY_SZ_PNS1_23onesweep_lookback_stateEbbT6_jjT7_P12ihipStream_tbENKUlT_T0_SN_SS_E_clISG_PjSI_PS9_EEDaS16_S17_SN_SS_EUlS16_E_NS1_11comp_targetILNS1_3genE0ELNS1_11target_archE4294967295ELNS1_3gpuE0ELNS1_3repE0EEENS1_47radix_sort_onesweep_sort_config_static_selectorELNS0_4arch9wavefront6targetE0EEEvSN_.uses_vcc, 1
	.set _ZN7rocprim17ROCPRIM_400000_NS6detail17trampoline_kernelINS0_14default_configENS1_35radix_sort_onesweep_config_selectorIjN6thrust23THRUST_200600_302600_NS5tupleIffNS6_9null_typeES8_S8_S8_S8_S8_S8_S8_EEEEZZNS1_29radix_sort_onesweep_iterationIS3_Lb0ENS6_6detail15normal_iteratorINS6_10device_ptrIjEEEESG_NSD_INSE_IS9_EEEESI_jNS0_19identity_decomposerENS1_16block_id_wrapperIjLb1EEEEE10hipError_tT1_PNSt15iterator_traitsISN_E10value_typeET2_T3_PNSO_IST_E10value_typeET4_T5_PSY_SZ_PNS1_23onesweep_lookback_stateEbbT6_jjT7_P12ihipStream_tbENKUlT_T0_SN_SS_E_clISG_PjSI_PS9_EEDaS16_S17_SN_SS_EUlS16_E_NS1_11comp_targetILNS1_3genE0ELNS1_11target_archE4294967295ELNS1_3gpuE0ELNS1_3repE0EEENS1_47radix_sort_onesweep_sort_config_static_selectorELNS0_4arch9wavefront6targetE0EEEvSN_.uses_flat_scratch, 0
	.set _ZN7rocprim17ROCPRIM_400000_NS6detail17trampoline_kernelINS0_14default_configENS1_35radix_sort_onesweep_config_selectorIjN6thrust23THRUST_200600_302600_NS5tupleIffNS6_9null_typeES8_S8_S8_S8_S8_S8_S8_EEEEZZNS1_29radix_sort_onesweep_iterationIS3_Lb0ENS6_6detail15normal_iteratorINS6_10device_ptrIjEEEESG_NSD_INSE_IS9_EEEESI_jNS0_19identity_decomposerENS1_16block_id_wrapperIjLb1EEEEE10hipError_tT1_PNSt15iterator_traitsISN_E10value_typeET2_T3_PNSO_IST_E10value_typeET4_T5_PSY_SZ_PNS1_23onesweep_lookback_stateEbbT6_jjT7_P12ihipStream_tbENKUlT_T0_SN_SS_E_clISG_PjSI_PS9_EEDaS16_S17_SN_SS_EUlS16_E_NS1_11comp_targetILNS1_3genE0ELNS1_11target_archE4294967295ELNS1_3gpuE0ELNS1_3repE0EEENS1_47radix_sort_onesweep_sort_config_static_selectorELNS0_4arch9wavefront6targetE0EEEvSN_.has_dyn_sized_stack, 0
	.set _ZN7rocprim17ROCPRIM_400000_NS6detail17trampoline_kernelINS0_14default_configENS1_35radix_sort_onesweep_config_selectorIjN6thrust23THRUST_200600_302600_NS5tupleIffNS6_9null_typeES8_S8_S8_S8_S8_S8_S8_EEEEZZNS1_29radix_sort_onesweep_iterationIS3_Lb0ENS6_6detail15normal_iteratorINS6_10device_ptrIjEEEESG_NSD_INSE_IS9_EEEESI_jNS0_19identity_decomposerENS1_16block_id_wrapperIjLb1EEEEE10hipError_tT1_PNSt15iterator_traitsISN_E10value_typeET2_T3_PNSO_IST_E10value_typeET4_T5_PSY_SZ_PNS1_23onesweep_lookback_stateEbbT6_jjT7_P12ihipStream_tbENKUlT_T0_SN_SS_E_clISG_PjSI_PS9_EEDaS16_S17_SN_SS_EUlS16_E_NS1_11comp_targetILNS1_3genE0ELNS1_11target_archE4294967295ELNS1_3gpuE0ELNS1_3repE0EEENS1_47radix_sort_onesweep_sort_config_static_selectorELNS0_4arch9wavefront6targetE0EEEvSN_.has_recursion, 0
	.set _ZN7rocprim17ROCPRIM_400000_NS6detail17trampoline_kernelINS0_14default_configENS1_35radix_sort_onesweep_config_selectorIjN6thrust23THRUST_200600_302600_NS5tupleIffNS6_9null_typeES8_S8_S8_S8_S8_S8_S8_EEEEZZNS1_29radix_sort_onesweep_iterationIS3_Lb0ENS6_6detail15normal_iteratorINS6_10device_ptrIjEEEESG_NSD_INSE_IS9_EEEESI_jNS0_19identity_decomposerENS1_16block_id_wrapperIjLb1EEEEE10hipError_tT1_PNSt15iterator_traitsISN_E10value_typeET2_T3_PNSO_IST_E10value_typeET4_T5_PSY_SZ_PNS1_23onesweep_lookback_stateEbbT6_jjT7_P12ihipStream_tbENKUlT_T0_SN_SS_E_clISG_PjSI_PS9_EEDaS16_S17_SN_SS_EUlS16_E_NS1_11comp_targetILNS1_3genE0ELNS1_11target_archE4294967295ELNS1_3gpuE0ELNS1_3repE0EEENS1_47radix_sort_onesweep_sort_config_static_selectorELNS0_4arch9wavefront6targetE0EEEvSN_.has_indirect_call, 0
	.section	.AMDGPU.csdata,"",@progbits
; Kernel info:
; codeLenInByte = 13360
; TotalNumSgprs: 45
; NumVgprs: 58
; ScratchSize: 0
; MemoryBound: 0
; FloatMode: 240
; IeeeMode: 1
; LDSByteSize: 51280 bytes/workgroup (compile time only)
; SGPRBlocks: 0
; VGPRBlocks: 3
; NumSGPRsForWavesPerEU: 45
; NumVGPRsForWavesPerEU: 58
; NamedBarCnt: 0
; Occupancy: 16
; WaveLimiterHint : 1
; COMPUTE_PGM_RSRC2:SCRATCH_EN: 0
; COMPUTE_PGM_RSRC2:USER_SGPR: 4
; COMPUTE_PGM_RSRC2:TRAP_HANDLER: 0
; COMPUTE_PGM_RSRC2:TGID_X_EN: 1
; COMPUTE_PGM_RSRC2:TGID_Y_EN: 0
; COMPUTE_PGM_RSRC2:TGID_Z_EN: 0
; COMPUTE_PGM_RSRC2:TIDIG_COMP_CNT: 2
	.section	.text._ZN7rocprim17ROCPRIM_400000_NS6detail17trampoline_kernelINS0_14default_configENS1_35radix_sort_onesweep_config_selectorIjN6thrust23THRUST_200600_302600_NS5tupleIffNS6_9null_typeES8_S8_S8_S8_S8_S8_S8_EEEEZZNS1_29radix_sort_onesweep_iterationIS3_Lb0ENS6_6detail15normal_iteratorINS6_10device_ptrIjEEEESG_NSD_INSE_IS9_EEEESI_jNS0_19identity_decomposerENS1_16block_id_wrapperIjLb1EEEEE10hipError_tT1_PNSt15iterator_traitsISN_E10value_typeET2_T3_PNSO_IST_E10value_typeET4_T5_PSY_SZ_PNS1_23onesweep_lookback_stateEbbT6_jjT7_P12ihipStream_tbENKUlT_T0_SN_SS_E_clISG_PjSI_PS9_EEDaS16_S17_SN_SS_EUlS16_E_NS1_11comp_targetILNS1_3genE6ELNS1_11target_archE950ELNS1_3gpuE13ELNS1_3repE0EEENS1_47radix_sort_onesweep_sort_config_static_selectorELNS0_4arch9wavefront6targetE0EEEvSN_,"axG",@progbits,_ZN7rocprim17ROCPRIM_400000_NS6detail17trampoline_kernelINS0_14default_configENS1_35radix_sort_onesweep_config_selectorIjN6thrust23THRUST_200600_302600_NS5tupleIffNS6_9null_typeES8_S8_S8_S8_S8_S8_S8_EEEEZZNS1_29radix_sort_onesweep_iterationIS3_Lb0ENS6_6detail15normal_iteratorINS6_10device_ptrIjEEEESG_NSD_INSE_IS9_EEEESI_jNS0_19identity_decomposerENS1_16block_id_wrapperIjLb1EEEEE10hipError_tT1_PNSt15iterator_traitsISN_E10value_typeET2_T3_PNSO_IST_E10value_typeET4_T5_PSY_SZ_PNS1_23onesweep_lookback_stateEbbT6_jjT7_P12ihipStream_tbENKUlT_T0_SN_SS_E_clISG_PjSI_PS9_EEDaS16_S17_SN_SS_EUlS16_E_NS1_11comp_targetILNS1_3genE6ELNS1_11target_archE950ELNS1_3gpuE13ELNS1_3repE0EEENS1_47radix_sort_onesweep_sort_config_static_selectorELNS0_4arch9wavefront6targetE0EEEvSN_,comdat
	.protected	_ZN7rocprim17ROCPRIM_400000_NS6detail17trampoline_kernelINS0_14default_configENS1_35radix_sort_onesweep_config_selectorIjN6thrust23THRUST_200600_302600_NS5tupleIffNS6_9null_typeES8_S8_S8_S8_S8_S8_S8_EEEEZZNS1_29radix_sort_onesweep_iterationIS3_Lb0ENS6_6detail15normal_iteratorINS6_10device_ptrIjEEEESG_NSD_INSE_IS9_EEEESI_jNS0_19identity_decomposerENS1_16block_id_wrapperIjLb1EEEEE10hipError_tT1_PNSt15iterator_traitsISN_E10value_typeET2_T3_PNSO_IST_E10value_typeET4_T5_PSY_SZ_PNS1_23onesweep_lookback_stateEbbT6_jjT7_P12ihipStream_tbENKUlT_T0_SN_SS_E_clISG_PjSI_PS9_EEDaS16_S17_SN_SS_EUlS16_E_NS1_11comp_targetILNS1_3genE6ELNS1_11target_archE950ELNS1_3gpuE13ELNS1_3repE0EEENS1_47radix_sort_onesweep_sort_config_static_selectorELNS0_4arch9wavefront6targetE0EEEvSN_ ; -- Begin function _ZN7rocprim17ROCPRIM_400000_NS6detail17trampoline_kernelINS0_14default_configENS1_35radix_sort_onesweep_config_selectorIjN6thrust23THRUST_200600_302600_NS5tupleIffNS6_9null_typeES8_S8_S8_S8_S8_S8_S8_EEEEZZNS1_29radix_sort_onesweep_iterationIS3_Lb0ENS6_6detail15normal_iteratorINS6_10device_ptrIjEEEESG_NSD_INSE_IS9_EEEESI_jNS0_19identity_decomposerENS1_16block_id_wrapperIjLb1EEEEE10hipError_tT1_PNSt15iterator_traitsISN_E10value_typeET2_T3_PNSO_IST_E10value_typeET4_T5_PSY_SZ_PNS1_23onesweep_lookback_stateEbbT6_jjT7_P12ihipStream_tbENKUlT_T0_SN_SS_E_clISG_PjSI_PS9_EEDaS16_S17_SN_SS_EUlS16_E_NS1_11comp_targetILNS1_3genE6ELNS1_11target_archE950ELNS1_3gpuE13ELNS1_3repE0EEENS1_47radix_sort_onesweep_sort_config_static_selectorELNS0_4arch9wavefront6targetE0EEEvSN_
	.globl	_ZN7rocprim17ROCPRIM_400000_NS6detail17trampoline_kernelINS0_14default_configENS1_35radix_sort_onesweep_config_selectorIjN6thrust23THRUST_200600_302600_NS5tupleIffNS6_9null_typeES8_S8_S8_S8_S8_S8_S8_EEEEZZNS1_29radix_sort_onesweep_iterationIS3_Lb0ENS6_6detail15normal_iteratorINS6_10device_ptrIjEEEESG_NSD_INSE_IS9_EEEESI_jNS0_19identity_decomposerENS1_16block_id_wrapperIjLb1EEEEE10hipError_tT1_PNSt15iterator_traitsISN_E10value_typeET2_T3_PNSO_IST_E10value_typeET4_T5_PSY_SZ_PNS1_23onesweep_lookback_stateEbbT6_jjT7_P12ihipStream_tbENKUlT_T0_SN_SS_E_clISG_PjSI_PS9_EEDaS16_S17_SN_SS_EUlS16_E_NS1_11comp_targetILNS1_3genE6ELNS1_11target_archE950ELNS1_3gpuE13ELNS1_3repE0EEENS1_47radix_sort_onesweep_sort_config_static_selectorELNS0_4arch9wavefront6targetE0EEEvSN_
	.p2align	8
	.type	_ZN7rocprim17ROCPRIM_400000_NS6detail17trampoline_kernelINS0_14default_configENS1_35radix_sort_onesweep_config_selectorIjN6thrust23THRUST_200600_302600_NS5tupleIffNS6_9null_typeES8_S8_S8_S8_S8_S8_S8_EEEEZZNS1_29radix_sort_onesweep_iterationIS3_Lb0ENS6_6detail15normal_iteratorINS6_10device_ptrIjEEEESG_NSD_INSE_IS9_EEEESI_jNS0_19identity_decomposerENS1_16block_id_wrapperIjLb1EEEEE10hipError_tT1_PNSt15iterator_traitsISN_E10value_typeET2_T3_PNSO_IST_E10value_typeET4_T5_PSY_SZ_PNS1_23onesweep_lookback_stateEbbT6_jjT7_P12ihipStream_tbENKUlT_T0_SN_SS_E_clISG_PjSI_PS9_EEDaS16_S17_SN_SS_EUlS16_E_NS1_11comp_targetILNS1_3genE6ELNS1_11target_archE950ELNS1_3gpuE13ELNS1_3repE0EEENS1_47radix_sort_onesweep_sort_config_static_selectorELNS0_4arch9wavefront6targetE0EEEvSN_,@function
_ZN7rocprim17ROCPRIM_400000_NS6detail17trampoline_kernelINS0_14default_configENS1_35radix_sort_onesweep_config_selectorIjN6thrust23THRUST_200600_302600_NS5tupleIffNS6_9null_typeES8_S8_S8_S8_S8_S8_S8_EEEEZZNS1_29radix_sort_onesweep_iterationIS3_Lb0ENS6_6detail15normal_iteratorINS6_10device_ptrIjEEEESG_NSD_INSE_IS9_EEEESI_jNS0_19identity_decomposerENS1_16block_id_wrapperIjLb1EEEEE10hipError_tT1_PNSt15iterator_traitsISN_E10value_typeET2_T3_PNSO_IST_E10value_typeET4_T5_PSY_SZ_PNS1_23onesweep_lookback_stateEbbT6_jjT7_P12ihipStream_tbENKUlT_T0_SN_SS_E_clISG_PjSI_PS9_EEDaS16_S17_SN_SS_EUlS16_E_NS1_11comp_targetILNS1_3genE6ELNS1_11target_archE950ELNS1_3gpuE13ELNS1_3repE0EEENS1_47radix_sort_onesweep_sort_config_static_selectorELNS0_4arch9wavefront6targetE0EEEvSN_: ; @_ZN7rocprim17ROCPRIM_400000_NS6detail17trampoline_kernelINS0_14default_configENS1_35radix_sort_onesweep_config_selectorIjN6thrust23THRUST_200600_302600_NS5tupleIffNS6_9null_typeES8_S8_S8_S8_S8_S8_S8_EEEEZZNS1_29radix_sort_onesweep_iterationIS3_Lb0ENS6_6detail15normal_iteratorINS6_10device_ptrIjEEEESG_NSD_INSE_IS9_EEEESI_jNS0_19identity_decomposerENS1_16block_id_wrapperIjLb1EEEEE10hipError_tT1_PNSt15iterator_traitsISN_E10value_typeET2_T3_PNSO_IST_E10value_typeET4_T5_PSY_SZ_PNS1_23onesweep_lookback_stateEbbT6_jjT7_P12ihipStream_tbENKUlT_T0_SN_SS_E_clISG_PjSI_PS9_EEDaS16_S17_SN_SS_EUlS16_E_NS1_11comp_targetILNS1_3genE6ELNS1_11target_archE950ELNS1_3gpuE13ELNS1_3repE0EEENS1_47radix_sort_onesweep_sort_config_static_selectorELNS0_4arch9wavefront6targetE0EEEvSN_
; %bb.0:
	.section	.rodata,"a",@progbits
	.p2align	6, 0x0
	.amdhsa_kernel _ZN7rocprim17ROCPRIM_400000_NS6detail17trampoline_kernelINS0_14default_configENS1_35radix_sort_onesweep_config_selectorIjN6thrust23THRUST_200600_302600_NS5tupleIffNS6_9null_typeES8_S8_S8_S8_S8_S8_S8_EEEEZZNS1_29radix_sort_onesweep_iterationIS3_Lb0ENS6_6detail15normal_iteratorINS6_10device_ptrIjEEEESG_NSD_INSE_IS9_EEEESI_jNS0_19identity_decomposerENS1_16block_id_wrapperIjLb1EEEEE10hipError_tT1_PNSt15iterator_traitsISN_E10value_typeET2_T3_PNSO_IST_E10value_typeET4_T5_PSY_SZ_PNS1_23onesweep_lookback_stateEbbT6_jjT7_P12ihipStream_tbENKUlT_T0_SN_SS_E_clISG_PjSI_PS9_EEDaS16_S17_SN_SS_EUlS16_E_NS1_11comp_targetILNS1_3genE6ELNS1_11target_archE950ELNS1_3gpuE13ELNS1_3repE0EEENS1_47radix_sort_onesweep_sort_config_static_selectorELNS0_4arch9wavefront6targetE0EEEvSN_
		.amdhsa_group_segment_fixed_size 0
		.amdhsa_private_segment_fixed_size 0
		.amdhsa_kernarg_size 88
		.amdhsa_user_sgpr_count 2
		.amdhsa_user_sgpr_dispatch_ptr 0
		.amdhsa_user_sgpr_queue_ptr 0
		.amdhsa_user_sgpr_kernarg_segment_ptr 1
		.amdhsa_user_sgpr_dispatch_id 0
		.amdhsa_user_sgpr_kernarg_preload_length 0
		.amdhsa_user_sgpr_kernarg_preload_offset 0
		.amdhsa_user_sgpr_private_segment_size 0
		.amdhsa_wavefront_size32 1
		.amdhsa_uses_dynamic_stack 0
		.amdhsa_enable_private_segment 0
		.amdhsa_system_sgpr_workgroup_id_x 1
		.amdhsa_system_sgpr_workgroup_id_y 0
		.amdhsa_system_sgpr_workgroup_id_z 0
		.amdhsa_system_sgpr_workgroup_info 0
		.amdhsa_system_vgpr_workitem_id 0
		.amdhsa_next_free_vgpr 1
		.amdhsa_next_free_sgpr 1
		.amdhsa_named_barrier_count 0
		.amdhsa_reserve_vcc 0
		.amdhsa_float_round_mode_32 0
		.amdhsa_float_round_mode_16_64 0
		.amdhsa_float_denorm_mode_32 3
		.amdhsa_float_denorm_mode_16_64 3
		.amdhsa_fp16_overflow 0
		.amdhsa_memory_ordered 1
		.amdhsa_forward_progress 1
		.amdhsa_inst_pref_size 0
		.amdhsa_round_robin_scheduling 0
		.amdhsa_exception_fp_ieee_invalid_op 0
		.amdhsa_exception_fp_denorm_src 0
		.amdhsa_exception_fp_ieee_div_zero 0
		.amdhsa_exception_fp_ieee_overflow 0
		.amdhsa_exception_fp_ieee_underflow 0
		.amdhsa_exception_fp_ieee_inexact 0
		.amdhsa_exception_int_div_zero 0
	.end_amdhsa_kernel
	.section	.text._ZN7rocprim17ROCPRIM_400000_NS6detail17trampoline_kernelINS0_14default_configENS1_35radix_sort_onesweep_config_selectorIjN6thrust23THRUST_200600_302600_NS5tupleIffNS6_9null_typeES8_S8_S8_S8_S8_S8_S8_EEEEZZNS1_29radix_sort_onesweep_iterationIS3_Lb0ENS6_6detail15normal_iteratorINS6_10device_ptrIjEEEESG_NSD_INSE_IS9_EEEESI_jNS0_19identity_decomposerENS1_16block_id_wrapperIjLb1EEEEE10hipError_tT1_PNSt15iterator_traitsISN_E10value_typeET2_T3_PNSO_IST_E10value_typeET4_T5_PSY_SZ_PNS1_23onesweep_lookback_stateEbbT6_jjT7_P12ihipStream_tbENKUlT_T0_SN_SS_E_clISG_PjSI_PS9_EEDaS16_S17_SN_SS_EUlS16_E_NS1_11comp_targetILNS1_3genE6ELNS1_11target_archE950ELNS1_3gpuE13ELNS1_3repE0EEENS1_47radix_sort_onesweep_sort_config_static_selectorELNS0_4arch9wavefront6targetE0EEEvSN_,"axG",@progbits,_ZN7rocprim17ROCPRIM_400000_NS6detail17trampoline_kernelINS0_14default_configENS1_35radix_sort_onesweep_config_selectorIjN6thrust23THRUST_200600_302600_NS5tupleIffNS6_9null_typeES8_S8_S8_S8_S8_S8_S8_EEEEZZNS1_29radix_sort_onesweep_iterationIS3_Lb0ENS6_6detail15normal_iteratorINS6_10device_ptrIjEEEESG_NSD_INSE_IS9_EEEESI_jNS0_19identity_decomposerENS1_16block_id_wrapperIjLb1EEEEE10hipError_tT1_PNSt15iterator_traitsISN_E10value_typeET2_T3_PNSO_IST_E10value_typeET4_T5_PSY_SZ_PNS1_23onesweep_lookback_stateEbbT6_jjT7_P12ihipStream_tbENKUlT_T0_SN_SS_E_clISG_PjSI_PS9_EEDaS16_S17_SN_SS_EUlS16_E_NS1_11comp_targetILNS1_3genE6ELNS1_11target_archE950ELNS1_3gpuE13ELNS1_3repE0EEENS1_47radix_sort_onesweep_sort_config_static_selectorELNS0_4arch9wavefront6targetE0EEEvSN_,comdat
.Lfunc_end185:
	.size	_ZN7rocprim17ROCPRIM_400000_NS6detail17trampoline_kernelINS0_14default_configENS1_35radix_sort_onesweep_config_selectorIjN6thrust23THRUST_200600_302600_NS5tupleIffNS6_9null_typeES8_S8_S8_S8_S8_S8_S8_EEEEZZNS1_29radix_sort_onesweep_iterationIS3_Lb0ENS6_6detail15normal_iteratorINS6_10device_ptrIjEEEESG_NSD_INSE_IS9_EEEESI_jNS0_19identity_decomposerENS1_16block_id_wrapperIjLb1EEEEE10hipError_tT1_PNSt15iterator_traitsISN_E10value_typeET2_T3_PNSO_IST_E10value_typeET4_T5_PSY_SZ_PNS1_23onesweep_lookback_stateEbbT6_jjT7_P12ihipStream_tbENKUlT_T0_SN_SS_E_clISG_PjSI_PS9_EEDaS16_S17_SN_SS_EUlS16_E_NS1_11comp_targetILNS1_3genE6ELNS1_11target_archE950ELNS1_3gpuE13ELNS1_3repE0EEENS1_47radix_sort_onesweep_sort_config_static_selectorELNS0_4arch9wavefront6targetE0EEEvSN_, .Lfunc_end185-_ZN7rocprim17ROCPRIM_400000_NS6detail17trampoline_kernelINS0_14default_configENS1_35radix_sort_onesweep_config_selectorIjN6thrust23THRUST_200600_302600_NS5tupleIffNS6_9null_typeES8_S8_S8_S8_S8_S8_S8_EEEEZZNS1_29radix_sort_onesweep_iterationIS3_Lb0ENS6_6detail15normal_iteratorINS6_10device_ptrIjEEEESG_NSD_INSE_IS9_EEEESI_jNS0_19identity_decomposerENS1_16block_id_wrapperIjLb1EEEEE10hipError_tT1_PNSt15iterator_traitsISN_E10value_typeET2_T3_PNSO_IST_E10value_typeET4_T5_PSY_SZ_PNS1_23onesweep_lookback_stateEbbT6_jjT7_P12ihipStream_tbENKUlT_T0_SN_SS_E_clISG_PjSI_PS9_EEDaS16_S17_SN_SS_EUlS16_E_NS1_11comp_targetILNS1_3genE6ELNS1_11target_archE950ELNS1_3gpuE13ELNS1_3repE0EEENS1_47radix_sort_onesweep_sort_config_static_selectorELNS0_4arch9wavefront6targetE0EEEvSN_
                                        ; -- End function
	.set _ZN7rocprim17ROCPRIM_400000_NS6detail17trampoline_kernelINS0_14default_configENS1_35radix_sort_onesweep_config_selectorIjN6thrust23THRUST_200600_302600_NS5tupleIffNS6_9null_typeES8_S8_S8_S8_S8_S8_S8_EEEEZZNS1_29radix_sort_onesweep_iterationIS3_Lb0ENS6_6detail15normal_iteratorINS6_10device_ptrIjEEEESG_NSD_INSE_IS9_EEEESI_jNS0_19identity_decomposerENS1_16block_id_wrapperIjLb1EEEEE10hipError_tT1_PNSt15iterator_traitsISN_E10value_typeET2_T3_PNSO_IST_E10value_typeET4_T5_PSY_SZ_PNS1_23onesweep_lookback_stateEbbT6_jjT7_P12ihipStream_tbENKUlT_T0_SN_SS_E_clISG_PjSI_PS9_EEDaS16_S17_SN_SS_EUlS16_E_NS1_11comp_targetILNS1_3genE6ELNS1_11target_archE950ELNS1_3gpuE13ELNS1_3repE0EEENS1_47radix_sort_onesweep_sort_config_static_selectorELNS0_4arch9wavefront6targetE0EEEvSN_.num_vgpr, 0
	.set _ZN7rocprim17ROCPRIM_400000_NS6detail17trampoline_kernelINS0_14default_configENS1_35radix_sort_onesweep_config_selectorIjN6thrust23THRUST_200600_302600_NS5tupleIffNS6_9null_typeES8_S8_S8_S8_S8_S8_S8_EEEEZZNS1_29radix_sort_onesweep_iterationIS3_Lb0ENS6_6detail15normal_iteratorINS6_10device_ptrIjEEEESG_NSD_INSE_IS9_EEEESI_jNS0_19identity_decomposerENS1_16block_id_wrapperIjLb1EEEEE10hipError_tT1_PNSt15iterator_traitsISN_E10value_typeET2_T3_PNSO_IST_E10value_typeET4_T5_PSY_SZ_PNS1_23onesweep_lookback_stateEbbT6_jjT7_P12ihipStream_tbENKUlT_T0_SN_SS_E_clISG_PjSI_PS9_EEDaS16_S17_SN_SS_EUlS16_E_NS1_11comp_targetILNS1_3genE6ELNS1_11target_archE950ELNS1_3gpuE13ELNS1_3repE0EEENS1_47radix_sort_onesweep_sort_config_static_selectorELNS0_4arch9wavefront6targetE0EEEvSN_.num_agpr, 0
	.set _ZN7rocprim17ROCPRIM_400000_NS6detail17trampoline_kernelINS0_14default_configENS1_35radix_sort_onesweep_config_selectorIjN6thrust23THRUST_200600_302600_NS5tupleIffNS6_9null_typeES8_S8_S8_S8_S8_S8_S8_EEEEZZNS1_29radix_sort_onesweep_iterationIS3_Lb0ENS6_6detail15normal_iteratorINS6_10device_ptrIjEEEESG_NSD_INSE_IS9_EEEESI_jNS0_19identity_decomposerENS1_16block_id_wrapperIjLb1EEEEE10hipError_tT1_PNSt15iterator_traitsISN_E10value_typeET2_T3_PNSO_IST_E10value_typeET4_T5_PSY_SZ_PNS1_23onesweep_lookback_stateEbbT6_jjT7_P12ihipStream_tbENKUlT_T0_SN_SS_E_clISG_PjSI_PS9_EEDaS16_S17_SN_SS_EUlS16_E_NS1_11comp_targetILNS1_3genE6ELNS1_11target_archE950ELNS1_3gpuE13ELNS1_3repE0EEENS1_47radix_sort_onesweep_sort_config_static_selectorELNS0_4arch9wavefront6targetE0EEEvSN_.numbered_sgpr, 0
	.set _ZN7rocprim17ROCPRIM_400000_NS6detail17trampoline_kernelINS0_14default_configENS1_35radix_sort_onesweep_config_selectorIjN6thrust23THRUST_200600_302600_NS5tupleIffNS6_9null_typeES8_S8_S8_S8_S8_S8_S8_EEEEZZNS1_29radix_sort_onesweep_iterationIS3_Lb0ENS6_6detail15normal_iteratorINS6_10device_ptrIjEEEESG_NSD_INSE_IS9_EEEESI_jNS0_19identity_decomposerENS1_16block_id_wrapperIjLb1EEEEE10hipError_tT1_PNSt15iterator_traitsISN_E10value_typeET2_T3_PNSO_IST_E10value_typeET4_T5_PSY_SZ_PNS1_23onesweep_lookback_stateEbbT6_jjT7_P12ihipStream_tbENKUlT_T0_SN_SS_E_clISG_PjSI_PS9_EEDaS16_S17_SN_SS_EUlS16_E_NS1_11comp_targetILNS1_3genE6ELNS1_11target_archE950ELNS1_3gpuE13ELNS1_3repE0EEENS1_47radix_sort_onesweep_sort_config_static_selectorELNS0_4arch9wavefront6targetE0EEEvSN_.num_named_barrier, 0
	.set _ZN7rocprim17ROCPRIM_400000_NS6detail17trampoline_kernelINS0_14default_configENS1_35radix_sort_onesweep_config_selectorIjN6thrust23THRUST_200600_302600_NS5tupleIffNS6_9null_typeES8_S8_S8_S8_S8_S8_S8_EEEEZZNS1_29radix_sort_onesweep_iterationIS3_Lb0ENS6_6detail15normal_iteratorINS6_10device_ptrIjEEEESG_NSD_INSE_IS9_EEEESI_jNS0_19identity_decomposerENS1_16block_id_wrapperIjLb1EEEEE10hipError_tT1_PNSt15iterator_traitsISN_E10value_typeET2_T3_PNSO_IST_E10value_typeET4_T5_PSY_SZ_PNS1_23onesweep_lookback_stateEbbT6_jjT7_P12ihipStream_tbENKUlT_T0_SN_SS_E_clISG_PjSI_PS9_EEDaS16_S17_SN_SS_EUlS16_E_NS1_11comp_targetILNS1_3genE6ELNS1_11target_archE950ELNS1_3gpuE13ELNS1_3repE0EEENS1_47radix_sort_onesweep_sort_config_static_selectorELNS0_4arch9wavefront6targetE0EEEvSN_.private_seg_size, 0
	.set _ZN7rocprim17ROCPRIM_400000_NS6detail17trampoline_kernelINS0_14default_configENS1_35radix_sort_onesweep_config_selectorIjN6thrust23THRUST_200600_302600_NS5tupleIffNS6_9null_typeES8_S8_S8_S8_S8_S8_S8_EEEEZZNS1_29radix_sort_onesweep_iterationIS3_Lb0ENS6_6detail15normal_iteratorINS6_10device_ptrIjEEEESG_NSD_INSE_IS9_EEEESI_jNS0_19identity_decomposerENS1_16block_id_wrapperIjLb1EEEEE10hipError_tT1_PNSt15iterator_traitsISN_E10value_typeET2_T3_PNSO_IST_E10value_typeET4_T5_PSY_SZ_PNS1_23onesweep_lookback_stateEbbT6_jjT7_P12ihipStream_tbENKUlT_T0_SN_SS_E_clISG_PjSI_PS9_EEDaS16_S17_SN_SS_EUlS16_E_NS1_11comp_targetILNS1_3genE6ELNS1_11target_archE950ELNS1_3gpuE13ELNS1_3repE0EEENS1_47radix_sort_onesweep_sort_config_static_selectorELNS0_4arch9wavefront6targetE0EEEvSN_.uses_vcc, 0
	.set _ZN7rocprim17ROCPRIM_400000_NS6detail17trampoline_kernelINS0_14default_configENS1_35radix_sort_onesweep_config_selectorIjN6thrust23THRUST_200600_302600_NS5tupleIffNS6_9null_typeES8_S8_S8_S8_S8_S8_S8_EEEEZZNS1_29radix_sort_onesweep_iterationIS3_Lb0ENS6_6detail15normal_iteratorINS6_10device_ptrIjEEEESG_NSD_INSE_IS9_EEEESI_jNS0_19identity_decomposerENS1_16block_id_wrapperIjLb1EEEEE10hipError_tT1_PNSt15iterator_traitsISN_E10value_typeET2_T3_PNSO_IST_E10value_typeET4_T5_PSY_SZ_PNS1_23onesweep_lookback_stateEbbT6_jjT7_P12ihipStream_tbENKUlT_T0_SN_SS_E_clISG_PjSI_PS9_EEDaS16_S17_SN_SS_EUlS16_E_NS1_11comp_targetILNS1_3genE6ELNS1_11target_archE950ELNS1_3gpuE13ELNS1_3repE0EEENS1_47radix_sort_onesweep_sort_config_static_selectorELNS0_4arch9wavefront6targetE0EEEvSN_.uses_flat_scratch, 0
	.set _ZN7rocprim17ROCPRIM_400000_NS6detail17trampoline_kernelINS0_14default_configENS1_35radix_sort_onesweep_config_selectorIjN6thrust23THRUST_200600_302600_NS5tupleIffNS6_9null_typeES8_S8_S8_S8_S8_S8_S8_EEEEZZNS1_29radix_sort_onesweep_iterationIS3_Lb0ENS6_6detail15normal_iteratorINS6_10device_ptrIjEEEESG_NSD_INSE_IS9_EEEESI_jNS0_19identity_decomposerENS1_16block_id_wrapperIjLb1EEEEE10hipError_tT1_PNSt15iterator_traitsISN_E10value_typeET2_T3_PNSO_IST_E10value_typeET4_T5_PSY_SZ_PNS1_23onesweep_lookback_stateEbbT6_jjT7_P12ihipStream_tbENKUlT_T0_SN_SS_E_clISG_PjSI_PS9_EEDaS16_S17_SN_SS_EUlS16_E_NS1_11comp_targetILNS1_3genE6ELNS1_11target_archE950ELNS1_3gpuE13ELNS1_3repE0EEENS1_47radix_sort_onesweep_sort_config_static_selectorELNS0_4arch9wavefront6targetE0EEEvSN_.has_dyn_sized_stack, 0
	.set _ZN7rocprim17ROCPRIM_400000_NS6detail17trampoline_kernelINS0_14default_configENS1_35radix_sort_onesweep_config_selectorIjN6thrust23THRUST_200600_302600_NS5tupleIffNS6_9null_typeES8_S8_S8_S8_S8_S8_S8_EEEEZZNS1_29radix_sort_onesweep_iterationIS3_Lb0ENS6_6detail15normal_iteratorINS6_10device_ptrIjEEEESG_NSD_INSE_IS9_EEEESI_jNS0_19identity_decomposerENS1_16block_id_wrapperIjLb1EEEEE10hipError_tT1_PNSt15iterator_traitsISN_E10value_typeET2_T3_PNSO_IST_E10value_typeET4_T5_PSY_SZ_PNS1_23onesweep_lookback_stateEbbT6_jjT7_P12ihipStream_tbENKUlT_T0_SN_SS_E_clISG_PjSI_PS9_EEDaS16_S17_SN_SS_EUlS16_E_NS1_11comp_targetILNS1_3genE6ELNS1_11target_archE950ELNS1_3gpuE13ELNS1_3repE0EEENS1_47radix_sort_onesweep_sort_config_static_selectorELNS0_4arch9wavefront6targetE0EEEvSN_.has_recursion, 0
	.set _ZN7rocprim17ROCPRIM_400000_NS6detail17trampoline_kernelINS0_14default_configENS1_35radix_sort_onesweep_config_selectorIjN6thrust23THRUST_200600_302600_NS5tupleIffNS6_9null_typeES8_S8_S8_S8_S8_S8_S8_EEEEZZNS1_29radix_sort_onesweep_iterationIS3_Lb0ENS6_6detail15normal_iteratorINS6_10device_ptrIjEEEESG_NSD_INSE_IS9_EEEESI_jNS0_19identity_decomposerENS1_16block_id_wrapperIjLb1EEEEE10hipError_tT1_PNSt15iterator_traitsISN_E10value_typeET2_T3_PNSO_IST_E10value_typeET4_T5_PSY_SZ_PNS1_23onesweep_lookback_stateEbbT6_jjT7_P12ihipStream_tbENKUlT_T0_SN_SS_E_clISG_PjSI_PS9_EEDaS16_S17_SN_SS_EUlS16_E_NS1_11comp_targetILNS1_3genE6ELNS1_11target_archE950ELNS1_3gpuE13ELNS1_3repE0EEENS1_47radix_sort_onesweep_sort_config_static_selectorELNS0_4arch9wavefront6targetE0EEEvSN_.has_indirect_call, 0
	.section	.AMDGPU.csdata,"",@progbits
; Kernel info:
; codeLenInByte = 0
; TotalNumSgprs: 0
; NumVgprs: 0
; ScratchSize: 0
; MemoryBound: 0
; FloatMode: 240
; IeeeMode: 1
; LDSByteSize: 0 bytes/workgroup (compile time only)
; SGPRBlocks: 0
; VGPRBlocks: 0
; NumSGPRsForWavesPerEU: 1
; NumVGPRsForWavesPerEU: 1
; NamedBarCnt: 0
; Occupancy: 16
; WaveLimiterHint : 0
; COMPUTE_PGM_RSRC2:SCRATCH_EN: 0
; COMPUTE_PGM_RSRC2:USER_SGPR: 2
; COMPUTE_PGM_RSRC2:TRAP_HANDLER: 0
; COMPUTE_PGM_RSRC2:TGID_X_EN: 1
; COMPUTE_PGM_RSRC2:TGID_Y_EN: 0
; COMPUTE_PGM_RSRC2:TGID_Z_EN: 0
; COMPUTE_PGM_RSRC2:TIDIG_COMP_CNT: 0
	.section	.text._ZN7rocprim17ROCPRIM_400000_NS6detail17trampoline_kernelINS0_14default_configENS1_35radix_sort_onesweep_config_selectorIjN6thrust23THRUST_200600_302600_NS5tupleIffNS6_9null_typeES8_S8_S8_S8_S8_S8_S8_EEEEZZNS1_29radix_sort_onesweep_iterationIS3_Lb0ENS6_6detail15normal_iteratorINS6_10device_ptrIjEEEESG_NSD_INSE_IS9_EEEESI_jNS0_19identity_decomposerENS1_16block_id_wrapperIjLb1EEEEE10hipError_tT1_PNSt15iterator_traitsISN_E10value_typeET2_T3_PNSO_IST_E10value_typeET4_T5_PSY_SZ_PNS1_23onesweep_lookback_stateEbbT6_jjT7_P12ihipStream_tbENKUlT_T0_SN_SS_E_clISG_PjSI_PS9_EEDaS16_S17_SN_SS_EUlS16_E_NS1_11comp_targetILNS1_3genE5ELNS1_11target_archE942ELNS1_3gpuE9ELNS1_3repE0EEENS1_47radix_sort_onesweep_sort_config_static_selectorELNS0_4arch9wavefront6targetE0EEEvSN_,"axG",@progbits,_ZN7rocprim17ROCPRIM_400000_NS6detail17trampoline_kernelINS0_14default_configENS1_35radix_sort_onesweep_config_selectorIjN6thrust23THRUST_200600_302600_NS5tupleIffNS6_9null_typeES8_S8_S8_S8_S8_S8_S8_EEEEZZNS1_29radix_sort_onesweep_iterationIS3_Lb0ENS6_6detail15normal_iteratorINS6_10device_ptrIjEEEESG_NSD_INSE_IS9_EEEESI_jNS0_19identity_decomposerENS1_16block_id_wrapperIjLb1EEEEE10hipError_tT1_PNSt15iterator_traitsISN_E10value_typeET2_T3_PNSO_IST_E10value_typeET4_T5_PSY_SZ_PNS1_23onesweep_lookback_stateEbbT6_jjT7_P12ihipStream_tbENKUlT_T0_SN_SS_E_clISG_PjSI_PS9_EEDaS16_S17_SN_SS_EUlS16_E_NS1_11comp_targetILNS1_3genE5ELNS1_11target_archE942ELNS1_3gpuE9ELNS1_3repE0EEENS1_47radix_sort_onesweep_sort_config_static_selectorELNS0_4arch9wavefront6targetE0EEEvSN_,comdat
	.protected	_ZN7rocprim17ROCPRIM_400000_NS6detail17trampoline_kernelINS0_14default_configENS1_35radix_sort_onesweep_config_selectorIjN6thrust23THRUST_200600_302600_NS5tupleIffNS6_9null_typeES8_S8_S8_S8_S8_S8_S8_EEEEZZNS1_29radix_sort_onesweep_iterationIS3_Lb0ENS6_6detail15normal_iteratorINS6_10device_ptrIjEEEESG_NSD_INSE_IS9_EEEESI_jNS0_19identity_decomposerENS1_16block_id_wrapperIjLb1EEEEE10hipError_tT1_PNSt15iterator_traitsISN_E10value_typeET2_T3_PNSO_IST_E10value_typeET4_T5_PSY_SZ_PNS1_23onesweep_lookback_stateEbbT6_jjT7_P12ihipStream_tbENKUlT_T0_SN_SS_E_clISG_PjSI_PS9_EEDaS16_S17_SN_SS_EUlS16_E_NS1_11comp_targetILNS1_3genE5ELNS1_11target_archE942ELNS1_3gpuE9ELNS1_3repE0EEENS1_47radix_sort_onesweep_sort_config_static_selectorELNS0_4arch9wavefront6targetE0EEEvSN_ ; -- Begin function _ZN7rocprim17ROCPRIM_400000_NS6detail17trampoline_kernelINS0_14default_configENS1_35radix_sort_onesweep_config_selectorIjN6thrust23THRUST_200600_302600_NS5tupleIffNS6_9null_typeES8_S8_S8_S8_S8_S8_S8_EEEEZZNS1_29radix_sort_onesweep_iterationIS3_Lb0ENS6_6detail15normal_iteratorINS6_10device_ptrIjEEEESG_NSD_INSE_IS9_EEEESI_jNS0_19identity_decomposerENS1_16block_id_wrapperIjLb1EEEEE10hipError_tT1_PNSt15iterator_traitsISN_E10value_typeET2_T3_PNSO_IST_E10value_typeET4_T5_PSY_SZ_PNS1_23onesweep_lookback_stateEbbT6_jjT7_P12ihipStream_tbENKUlT_T0_SN_SS_E_clISG_PjSI_PS9_EEDaS16_S17_SN_SS_EUlS16_E_NS1_11comp_targetILNS1_3genE5ELNS1_11target_archE942ELNS1_3gpuE9ELNS1_3repE0EEENS1_47radix_sort_onesweep_sort_config_static_selectorELNS0_4arch9wavefront6targetE0EEEvSN_
	.globl	_ZN7rocprim17ROCPRIM_400000_NS6detail17trampoline_kernelINS0_14default_configENS1_35radix_sort_onesweep_config_selectorIjN6thrust23THRUST_200600_302600_NS5tupleIffNS6_9null_typeES8_S8_S8_S8_S8_S8_S8_EEEEZZNS1_29radix_sort_onesweep_iterationIS3_Lb0ENS6_6detail15normal_iteratorINS6_10device_ptrIjEEEESG_NSD_INSE_IS9_EEEESI_jNS0_19identity_decomposerENS1_16block_id_wrapperIjLb1EEEEE10hipError_tT1_PNSt15iterator_traitsISN_E10value_typeET2_T3_PNSO_IST_E10value_typeET4_T5_PSY_SZ_PNS1_23onesweep_lookback_stateEbbT6_jjT7_P12ihipStream_tbENKUlT_T0_SN_SS_E_clISG_PjSI_PS9_EEDaS16_S17_SN_SS_EUlS16_E_NS1_11comp_targetILNS1_3genE5ELNS1_11target_archE942ELNS1_3gpuE9ELNS1_3repE0EEENS1_47radix_sort_onesweep_sort_config_static_selectorELNS0_4arch9wavefront6targetE0EEEvSN_
	.p2align	8
	.type	_ZN7rocprim17ROCPRIM_400000_NS6detail17trampoline_kernelINS0_14default_configENS1_35radix_sort_onesweep_config_selectorIjN6thrust23THRUST_200600_302600_NS5tupleIffNS6_9null_typeES8_S8_S8_S8_S8_S8_S8_EEEEZZNS1_29radix_sort_onesweep_iterationIS3_Lb0ENS6_6detail15normal_iteratorINS6_10device_ptrIjEEEESG_NSD_INSE_IS9_EEEESI_jNS0_19identity_decomposerENS1_16block_id_wrapperIjLb1EEEEE10hipError_tT1_PNSt15iterator_traitsISN_E10value_typeET2_T3_PNSO_IST_E10value_typeET4_T5_PSY_SZ_PNS1_23onesweep_lookback_stateEbbT6_jjT7_P12ihipStream_tbENKUlT_T0_SN_SS_E_clISG_PjSI_PS9_EEDaS16_S17_SN_SS_EUlS16_E_NS1_11comp_targetILNS1_3genE5ELNS1_11target_archE942ELNS1_3gpuE9ELNS1_3repE0EEENS1_47radix_sort_onesweep_sort_config_static_selectorELNS0_4arch9wavefront6targetE0EEEvSN_,@function
_ZN7rocprim17ROCPRIM_400000_NS6detail17trampoline_kernelINS0_14default_configENS1_35radix_sort_onesweep_config_selectorIjN6thrust23THRUST_200600_302600_NS5tupleIffNS6_9null_typeES8_S8_S8_S8_S8_S8_S8_EEEEZZNS1_29radix_sort_onesweep_iterationIS3_Lb0ENS6_6detail15normal_iteratorINS6_10device_ptrIjEEEESG_NSD_INSE_IS9_EEEESI_jNS0_19identity_decomposerENS1_16block_id_wrapperIjLb1EEEEE10hipError_tT1_PNSt15iterator_traitsISN_E10value_typeET2_T3_PNSO_IST_E10value_typeET4_T5_PSY_SZ_PNS1_23onesweep_lookback_stateEbbT6_jjT7_P12ihipStream_tbENKUlT_T0_SN_SS_E_clISG_PjSI_PS9_EEDaS16_S17_SN_SS_EUlS16_E_NS1_11comp_targetILNS1_3genE5ELNS1_11target_archE942ELNS1_3gpuE9ELNS1_3repE0EEENS1_47radix_sort_onesweep_sort_config_static_selectorELNS0_4arch9wavefront6targetE0EEEvSN_: ; @_ZN7rocprim17ROCPRIM_400000_NS6detail17trampoline_kernelINS0_14default_configENS1_35radix_sort_onesweep_config_selectorIjN6thrust23THRUST_200600_302600_NS5tupleIffNS6_9null_typeES8_S8_S8_S8_S8_S8_S8_EEEEZZNS1_29radix_sort_onesweep_iterationIS3_Lb0ENS6_6detail15normal_iteratorINS6_10device_ptrIjEEEESG_NSD_INSE_IS9_EEEESI_jNS0_19identity_decomposerENS1_16block_id_wrapperIjLb1EEEEE10hipError_tT1_PNSt15iterator_traitsISN_E10value_typeET2_T3_PNSO_IST_E10value_typeET4_T5_PSY_SZ_PNS1_23onesweep_lookback_stateEbbT6_jjT7_P12ihipStream_tbENKUlT_T0_SN_SS_E_clISG_PjSI_PS9_EEDaS16_S17_SN_SS_EUlS16_E_NS1_11comp_targetILNS1_3genE5ELNS1_11target_archE942ELNS1_3gpuE9ELNS1_3repE0EEENS1_47radix_sort_onesweep_sort_config_static_selectorELNS0_4arch9wavefront6targetE0EEEvSN_
; %bb.0:
	.section	.rodata,"a",@progbits
	.p2align	6, 0x0
	.amdhsa_kernel _ZN7rocprim17ROCPRIM_400000_NS6detail17trampoline_kernelINS0_14default_configENS1_35radix_sort_onesweep_config_selectorIjN6thrust23THRUST_200600_302600_NS5tupleIffNS6_9null_typeES8_S8_S8_S8_S8_S8_S8_EEEEZZNS1_29radix_sort_onesweep_iterationIS3_Lb0ENS6_6detail15normal_iteratorINS6_10device_ptrIjEEEESG_NSD_INSE_IS9_EEEESI_jNS0_19identity_decomposerENS1_16block_id_wrapperIjLb1EEEEE10hipError_tT1_PNSt15iterator_traitsISN_E10value_typeET2_T3_PNSO_IST_E10value_typeET4_T5_PSY_SZ_PNS1_23onesweep_lookback_stateEbbT6_jjT7_P12ihipStream_tbENKUlT_T0_SN_SS_E_clISG_PjSI_PS9_EEDaS16_S17_SN_SS_EUlS16_E_NS1_11comp_targetILNS1_3genE5ELNS1_11target_archE942ELNS1_3gpuE9ELNS1_3repE0EEENS1_47radix_sort_onesweep_sort_config_static_selectorELNS0_4arch9wavefront6targetE0EEEvSN_
		.amdhsa_group_segment_fixed_size 0
		.amdhsa_private_segment_fixed_size 0
		.amdhsa_kernarg_size 88
		.amdhsa_user_sgpr_count 2
		.amdhsa_user_sgpr_dispatch_ptr 0
		.amdhsa_user_sgpr_queue_ptr 0
		.amdhsa_user_sgpr_kernarg_segment_ptr 1
		.amdhsa_user_sgpr_dispatch_id 0
		.amdhsa_user_sgpr_kernarg_preload_length 0
		.amdhsa_user_sgpr_kernarg_preload_offset 0
		.amdhsa_user_sgpr_private_segment_size 0
		.amdhsa_wavefront_size32 1
		.amdhsa_uses_dynamic_stack 0
		.amdhsa_enable_private_segment 0
		.amdhsa_system_sgpr_workgroup_id_x 1
		.amdhsa_system_sgpr_workgroup_id_y 0
		.amdhsa_system_sgpr_workgroup_id_z 0
		.amdhsa_system_sgpr_workgroup_info 0
		.amdhsa_system_vgpr_workitem_id 0
		.amdhsa_next_free_vgpr 1
		.amdhsa_next_free_sgpr 1
		.amdhsa_named_barrier_count 0
		.amdhsa_reserve_vcc 0
		.amdhsa_float_round_mode_32 0
		.amdhsa_float_round_mode_16_64 0
		.amdhsa_float_denorm_mode_32 3
		.amdhsa_float_denorm_mode_16_64 3
		.amdhsa_fp16_overflow 0
		.amdhsa_memory_ordered 1
		.amdhsa_forward_progress 1
		.amdhsa_inst_pref_size 0
		.amdhsa_round_robin_scheduling 0
		.amdhsa_exception_fp_ieee_invalid_op 0
		.amdhsa_exception_fp_denorm_src 0
		.amdhsa_exception_fp_ieee_div_zero 0
		.amdhsa_exception_fp_ieee_overflow 0
		.amdhsa_exception_fp_ieee_underflow 0
		.amdhsa_exception_fp_ieee_inexact 0
		.amdhsa_exception_int_div_zero 0
	.end_amdhsa_kernel
	.section	.text._ZN7rocprim17ROCPRIM_400000_NS6detail17trampoline_kernelINS0_14default_configENS1_35radix_sort_onesweep_config_selectorIjN6thrust23THRUST_200600_302600_NS5tupleIffNS6_9null_typeES8_S8_S8_S8_S8_S8_S8_EEEEZZNS1_29radix_sort_onesweep_iterationIS3_Lb0ENS6_6detail15normal_iteratorINS6_10device_ptrIjEEEESG_NSD_INSE_IS9_EEEESI_jNS0_19identity_decomposerENS1_16block_id_wrapperIjLb1EEEEE10hipError_tT1_PNSt15iterator_traitsISN_E10value_typeET2_T3_PNSO_IST_E10value_typeET4_T5_PSY_SZ_PNS1_23onesweep_lookback_stateEbbT6_jjT7_P12ihipStream_tbENKUlT_T0_SN_SS_E_clISG_PjSI_PS9_EEDaS16_S17_SN_SS_EUlS16_E_NS1_11comp_targetILNS1_3genE5ELNS1_11target_archE942ELNS1_3gpuE9ELNS1_3repE0EEENS1_47radix_sort_onesweep_sort_config_static_selectorELNS0_4arch9wavefront6targetE0EEEvSN_,"axG",@progbits,_ZN7rocprim17ROCPRIM_400000_NS6detail17trampoline_kernelINS0_14default_configENS1_35radix_sort_onesweep_config_selectorIjN6thrust23THRUST_200600_302600_NS5tupleIffNS6_9null_typeES8_S8_S8_S8_S8_S8_S8_EEEEZZNS1_29radix_sort_onesweep_iterationIS3_Lb0ENS6_6detail15normal_iteratorINS6_10device_ptrIjEEEESG_NSD_INSE_IS9_EEEESI_jNS0_19identity_decomposerENS1_16block_id_wrapperIjLb1EEEEE10hipError_tT1_PNSt15iterator_traitsISN_E10value_typeET2_T3_PNSO_IST_E10value_typeET4_T5_PSY_SZ_PNS1_23onesweep_lookback_stateEbbT6_jjT7_P12ihipStream_tbENKUlT_T0_SN_SS_E_clISG_PjSI_PS9_EEDaS16_S17_SN_SS_EUlS16_E_NS1_11comp_targetILNS1_3genE5ELNS1_11target_archE942ELNS1_3gpuE9ELNS1_3repE0EEENS1_47radix_sort_onesweep_sort_config_static_selectorELNS0_4arch9wavefront6targetE0EEEvSN_,comdat
.Lfunc_end186:
	.size	_ZN7rocprim17ROCPRIM_400000_NS6detail17trampoline_kernelINS0_14default_configENS1_35radix_sort_onesweep_config_selectorIjN6thrust23THRUST_200600_302600_NS5tupleIffNS6_9null_typeES8_S8_S8_S8_S8_S8_S8_EEEEZZNS1_29radix_sort_onesweep_iterationIS3_Lb0ENS6_6detail15normal_iteratorINS6_10device_ptrIjEEEESG_NSD_INSE_IS9_EEEESI_jNS0_19identity_decomposerENS1_16block_id_wrapperIjLb1EEEEE10hipError_tT1_PNSt15iterator_traitsISN_E10value_typeET2_T3_PNSO_IST_E10value_typeET4_T5_PSY_SZ_PNS1_23onesweep_lookback_stateEbbT6_jjT7_P12ihipStream_tbENKUlT_T0_SN_SS_E_clISG_PjSI_PS9_EEDaS16_S17_SN_SS_EUlS16_E_NS1_11comp_targetILNS1_3genE5ELNS1_11target_archE942ELNS1_3gpuE9ELNS1_3repE0EEENS1_47radix_sort_onesweep_sort_config_static_selectorELNS0_4arch9wavefront6targetE0EEEvSN_, .Lfunc_end186-_ZN7rocprim17ROCPRIM_400000_NS6detail17trampoline_kernelINS0_14default_configENS1_35radix_sort_onesweep_config_selectorIjN6thrust23THRUST_200600_302600_NS5tupleIffNS6_9null_typeES8_S8_S8_S8_S8_S8_S8_EEEEZZNS1_29radix_sort_onesweep_iterationIS3_Lb0ENS6_6detail15normal_iteratorINS6_10device_ptrIjEEEESG_NSD_INSE_IS9_EEEESI_jNS0_19identity_decomposerENS1_16block_id_wrapperIjLb1EEEEE10hipError_tT1_PNSt15iterator_traitsISN_E10value_typeET2_T3_PNSO_IST_E10value_typeET4_T5_PSY_SZ_PNS1_23onesweep_lookback_stateEbbT6_jjT7_P12ihipStream_tbENKUlT_T0_SN_SS_E_clISG_PjSI_PS9_EEDaS16_S17_SN_SS_EUlS16_E_NS1_11comp_targetILNS1_3genE5ELNS1_11target_archE942ELNS1_3gpuE9ELNS1_3repE0EEENS1_47radix_sort_onesweep_sort_config_static_selectorELNS0_4arch9wavefront6targetE0EEEvSN_
                                        ; -- End function
	.set _ZN7rocprim17ROCPRIM_400000_NS6detail17trampoline_kernelINS0_14default_configENS1_35radix_sort_onesweep_config_selectorIjN6thrust23THRUST_200600_302600_NS5tupleIffNS6_9null_typeES8_S8_S8_S8_S8_S8_S8_EEEEZZNS1_29radix_sort_onesweep_iterationIS3_Lb0ENS6_6detail15normal_iteratorINS6_10device_ptrIjEEEESG_NSD_INSE_IS9_EEEESI_jNS0_19identity_decomposerENS1_16block_id_wrapperIjLb1EEEEE10hipError_tT1_PNSt15iterator_traitsISN_E10value_typeET2_T3_PNSO_IST_E10value_typeET4_T5_PSY_SZ_PNS1_23onesweep_lookback_stateEbbT6_jjT7_P12ihipStream_tbENKUlT_T0_SN_SS_E_clISG_PjSI_PS9_EEDaS16_S17_SN_SS_EUlS16_E_NS1_11comp_targetILNS1_3genE5ELNS1_11target_archE942ELNS1_3gpuE9ELNS1_3repE0EEENS1_47radix_sort_onesweep_sort_config_static_selectorELNS0_4arch9wavefront6targetE0EEEvSN_.num_vgpr, 0
	.set _ZN7rocprim17ROCPRIM_400000_NS6detail17trampoline_kernelINS0_14default_configENS1_35radix_sort_onesweep_config_selectorIjN6thrust23THRUST_200600_302600_NS5tupleIffNS6_9null_typeES8_S8_S8_S8_S8_S8_S8_EEEEZZNS1_29radix_sort_onesweep_iterationIS3_Lb0ENS6_6detail15normal_iteratorINS6_10device_ptrIjEEEESG_NSD_INSE_IS9_EEEESI_jNS0_19identity_decomposerENS1_16block_id_wrapperIjLb1EEEEE10hipError_tT1_PNSt15iterator_traitsISN_E10value_typeET2_T3_PNSO_IST_E10value_typeET4_T5_PSY_SZ_PNS1_23onesweep_lookback_stateEbbT6_jjT7_P12ihipStream_tbENKUlT_T0_SN_SS_E_clISG_PjSI_PS9_EEDaS16_S17_SN_SS_EUlS16_E_NS1_11comp_targetILNS1_3genE5ELNS1_11target_archE942ELNS1_3gpuE9ELNS1_3repE0EEENS1_47radix_sort_onesweep_sort_config_static_selectorELNS0_4arch9wavefront6targetE0EEEvSN_.num_agpr, 0
	.set _ZN7rocprim17ROCPRIM_400000_NS6detail17trampoline_kernelINS0_14default_configENS1_35radix_sort_onesweep_config_selectorIjN6thrust23THRUST_200600_302600_NS5tupleIffNS6_9null_typeES8_S8_S8_S8_S8_S8_S8_EEEEZZNS1_29radix_sort_onesweep_iterationIS3_Lb0ENS6_6detail15normal_iteratorINS6_10device_ptrIjEEEESG_NSD_INSE_IS9_EEEESI_jNS0_19identity_decomposerENS1_16block_id_wrapperIjLb1EEEEE10hipError_tT1_PNSt15iterator_traitsISN_E10value_typeET2_T3_PNSO_IST_E10value_typeET4_T5_PSY_SZ_PNS1_23onesweep_lookback_stateEbbT6_jjT7_P12ihipStream_tbENKUlT_T0_SN_SS_E_clISG_PjSI_PS9_EEDaS16_S17_SN_SS_EUlS16_E_NS1_11comp_targetILNS1_3genE5ELNS1_11target_archE942ELNS1_3gpuE9ELNS1_3repE0EEENS1_47radix_sort_onesweep_sort_config_static_selectorELNS0_4arch9wavefront6targetE0EEEvSN_.numbered_sgpr, 0
	.set _ZN7rocprim17ROCPRIM_400000_NS6detail17trampoline_kernelINS0_14default_configENS1_35radix_sort_onesweep_config_selectorIjN6thrust23THRUST_200600_302600_NS5tupleIffNS6_9null_typeES8_S8_S8_S8_S8_S8_S8_EEEEZZNS1_29radix_sort_onesweep_iterationIS3_Lb0ENS6_6detail15normal_iteratorINS6_10device_ptrIjEEEESG_NSD_INSE_IS9_EEEESI_jNS0_19identity_decomposerENS1_16block_id_wrapperIjLb1EEEEE10hipError_tT1_PNSt15iterator_traitsISN_E10value_typeET2_T3_PNSO_IST_E10value_typeET4_T5_PSY_SZ_PNS1_23onesweep_lookback_stateEbbT6_jjT7_P12ihipStream_tbENKUlT_T0_SN_SS_E_clISG_PjSI_PS9_EEDaS16_S17_SN_SS_EUlS16_E_NS1_11comp_targetILNS1_3genE5ELNS1_11target_archE942ELNS1_3gpuE9ELNS1_3repE0EEENS1_47radix_sort_onesweep_sort_config_static_selectorELNS0_4arch9wavefront6targetE0EEEvSN_.num_named_barrier, 0
	.set _ZN7rocprim17ROCPRIM_400000_NS6detail17trampoline_kernelINS0_14default_configENS1_35radix_sort_onesweep_config_selectorIjN6thrust23THRUST_200600_302600_NS5tupleIffNS6_9null_typeES8_S8_S8_S8_S8_S8_S8_EEEEZZNS1_29radix_sort_onesweep_iterationIS3_Lb0ENS6_6detail15normal_iteratorINS6_10device_ptrIjEEEESG_NSD_INSE_IS9_EEEESI_jNS0_19identity_decomposerENS1_16block_id_wrapperIjLb1EEEEE10hipError_tT1_PNSt15iterator_traitsISN_E10value_typeET2_T3_PNSO_IST_E10value_typeET4_T5_PSY_SZ_PNS1_23onesweep_lookback_stateEbbT6_jjT7_P12ihipStream_tbENKUlT_T0_SN_SS_E_clISG_PjSI_PS9_EEDaS16_S17_SN_SS_EUlS16_E_NS1_11comp_targetILNS1_3genE5ELNS1_11target_archE942ELNS1_3gpuE9ELNS1_3repE0EEENS1_47radix_sort_onesweep_sort_config_static_selectorELNS0_4arch9wavefront6targetE0EEEvSN_.private_seg_size, 0
	.set _ZN7rocprim17ROCPRIM_400000_NS6detail17trampoline_kernelINS0_14default_configENS1_35radix_sort_onesweep_config_selectorIjN6thrust23THRUST_200600_302600_NS5tupleIffNS6_9null_typeES8_S8_S8_S8_S8_S8_S8_EEEEZZNS1_29radix_sort_onesweep_iterationIS3_Lb0ENS6_6detail15normal_iteratorINS6_10device_ptrIjEEEESG_NSD_INSE_IS9_EEEESI_jNS0_19identity_decomposerENS1_16block_id_wrapperIjLb1EEEEE10hipError_tT1_PNSt15iterator_traitsISN_E10value_typeET2_T3_PNSO_IST_E10value_typeET4_T5_PSY_SZ_PNS1_23onesweep_lookback_stateEbbT6_jjT7_P12ihipStream_tbENKUlT_T0_SN_SS_E_clISG_PjSI_PS9_EEDaS16_S17_SN_SS_EUlS16_E_NS1_11comp_targetILNS1_3genE5ELNS1_11target_archE942ELNS1_3gpuE9ELNS1_3repE0EEENS1_47radix_sort_onesweep_sort_config_static_selectorELNS0_4arch9wavefront6targetE0EEEvSN_.uses_vcc, 0
	.set _ZN7rocprim17ROCPRIM_400000_NS6detail17trampoline_kernelINS0_14default_configENS1_35radix_sort_onesweep_config_selectorIjN6thrust23THRUST_200600_302600_NS5tupleIffNS6_9null_typeES8_S8_S8_S8_S8_S8_S8_EEEEZZNS1_29radix_sort_onesweep_iterationIS3_Lb0ENS6_6detail15normal_iteratorINS6_10device_ptrIjEEEESG_NSD_INSE_IS9_EEEESI_jNS0_19identity_decomposerENS1_16block_id_wrapperIjLb1EEEEE10hipError_tT1_PNSt15iterator_traitsISN_E10value_typeET2_T3_PNSO_IST_E10value_typeET4_T5_PSY_SZ_PNS1_23onesweep_lookback_stateEbbT6_jjT7_P12ihipStream_tbENKUlT_T0_SN_SS_E_clISG_PjSI_PS9_EEDaS16_S17_SN_SS_EUlS16_E_NS1_11comp_targetILNS1_3genE5ELNS1_11target_archE942ELNS1_3gpuE9ELNS1_3repE0EEENS1_47radix_sort_onesweep_sort_config_static_selectorELNS0_4arch9wavefront6targetE0EEEvSN_.uses_flat_scratch, 0
	.set _ZN7rocprim17ROCPRIM_400000_NS6detail17trampoline_kernelINS0_14default_configENS1_35radix_sort_onesweep_config_selectorIjN6thrust23THRUST_200600_302600_NS5tupleIffNS6_9null_typeES8_S8_S8_S8_S8_S8_S8_EEEEZZNS1_29radix_sort_onesweep_iterationIS3_Lb0ENS6_6detail15normal_iteratorINS6_10device_ptrIjEEEESG_NSD_INSE_IS9_EEEESI_jNS0_19identity_decomposerENS1_16block_id_wrapperIjLb1EEEEE10hipError_tT1_PNSt15iterator_traitsISN_E10value_typeET2_T3_PNSO_IST_E10value_typeET4_T5_PSY_SZ_PNS1_23onesweep_lookback_stateEbbT6_jjT7_P12ihipStream_tbENKUlT_T0_SN_SS_E_clISG_PjSI_PS9_EEDaS16_S17_SN_SS_EUlS16_E_NS1_11comp_targetILNS1_3genE5ELNS1_11target_archE942ELNS1_3gpuE9ELNS1_3repE0EEENS1_47radix_sort_onesweep_sort_config_static_selectorELNS0_4arch9wavefront6targetE0EEEvSN_.has_dyn_sized_stack, 0
	.set _ZN7rocprim17ROCPRIM_400000_NS6detail17trampoline_kernelINS0_14default_configENS1_35radix_sort_onesweep_config_selectorIjN6thrust23THRUST_200600_302600_NS5tupleIffNS6_9null_typeES8_S8_S8_S8_S8_S8_S8_EEEEZZNS1_29radix_sort_onesweep_iterationIS3_Lb0ENS6_6detail15normal_iteratorINS6_10device_ptrIjEEEESG_NSD_INSE_IS9_EEEESI_jNS0_19identity_decomposerENS1_16block_id_wrapperIjLb1EEEEE10hipError_tT1_PNSt15iterator_traitsISN_E10value_typeET2_T3_PNSO_IST_E10value_typeET4_T5_PSY_SZ_PNS1_23onesweep_lookback_stateEbbT6_jjT7_P12ihipStream_tbENKUlT_T0_SN_SS_E_clISG_PjSI_PS9_EEDaS16_S17_SN_SS_EUlS16_E_NS1_11comp_targetILNS1_3genE5ELNS1_11target_archE942ELNS1_3gpuE9ELNS1_3repE0EEENS1_47radix_sort_onesweep_sort_config_static_selectorELNS0_4arch9wavefront6targetE0EEEvSN_.has_recursion, 0
	.set _ZN7rocprim17ROCPRIM_400000_NS6detail17trampoline_kernelINS0_14default_configENS1_35radix_sort_onesweep_config_selectorIjN6thrust23THRUST_200600_302600_NS5tupleIffNS6_9null_typeES8_S8_S8_S8_S8_S8_S8_EEEEZZNS1_29radix_sort_onesweep_iterationIS3_Lb0ENS6_6detail15normal_iteratorINS6_10device_ptrIjEEEESG_NSD_INSE_IS9_EEEESI_jNS0_19identity_decomposerENS1_16block_id_wrapperIjLb1EEEEE10hipError_tT1_PNSt15iterator_traitsISN_E10value_typeET2_T3_PNSO_IST_E10value_typeET4_T5_PSY_SZ_PNS1_23onesweep_lookback_stateEbbT6_jjT7_P12ihipStream_tbENKUlT_T0_SN_SS_E_clISG_PjSI_PS9_EEDaS16_S17_SN_SS_EUlS16_E_NS1_11comp_targetILNS1_3genE5ELNS1_11target_archE942ELNS1_3gpuE9ELNS1_3repE0EEENS1_47radix_sort_onesweep_sort_config_static_selectorELNS0_4arch9wavefront6targetE0EEEvSN_.has_indirect_call, 0
	.section	.AMDGPU.csdata,"",@progbits
; Kernel info:
; codeLenInByte = 0
; TotalNumSgprs: 0
; NumVgprs: 0
; ScratchSize: 0
; MemoryBound: 0
; FloatMode: 240
; IeeeMode: 1
; LDSByteSize: 0 bytes/workgroup (compile time only)
; SGPRBlocks: 0
; VGPRBlocks: 0
; NumSGPRsForWavesPerEU: 1
; NumVGPRsForWavesPerEU: 1
; NamedBarCnt: 0
; Occupancy: 16
; WaveLimiterHint : 0
; COMPUTE_PGM_RSRC2:SCRATCH_EN: 0
; COMPUTE_PGM_RSRC2:USER_SGPR: 2
; COMPUTE_PGM_RSRC2:TRAP_HANDLER: 0
; COMPUTE_PGM_RSRC2:TGID_X_EN: 1
; COMPUTE_PGM_RSRC2:TGID_Y_EN: 0
; COMPUTE_PGM_RSRC2:TGID_Z_EN: 0
; COMPUTE_PGM_RSRC2:TIDIG_COMP_CNT: 0
	.section	.text._ZN7rocprim17ROCPRIM_400000_NS6detail17trampoline_kernelINS0_14default_configENS1_35radix_sort_onesweep_config_selectorIjN6thrust23THRUST_200600_302600_NS5tupleIffNS6_9null_typeES8_S8_S8_S8_S8_S8_S8_EEEEZZNS1_29radix_sort_onesweep_iterationIS3_Lb0ENS6_6detail15normal_iteratorINS6_10device_ptrIjEEEESG_NSD_INSE_IS9_EEEESI_jNS0_19identity_decomposerENS1_16block_id_wrapperIjLb1EEEEE10hipError_tT1_PNSt15iterator_traitsISN_E10value_typeET2_T3_PNSO_IST_E10value_typeET4_T5_PSY_SZ_PNS1_23onesweep_lookback_stateEbbT6_jjT7_P12ihipStream_tbENKUlT_T0_SN_SS_E_clISG_PjSI_PS9_EEDaS16_S17_SN_SS_EUlS16_E_NS1_11comp_targetILNS1_3genE2ELNS1_11target_archE906ELNS1_3gpuE6ELNS1_3repE0EEENS1_47radix_sort_onesweep_sort_config_static_selectorELNS0_4arch9wavefront6targetE0EEEvSN_,"axG",@progbits,_ZN7rocprim17ROCPRIM_400000_NS6detail17trampoline_kernelINS0_14default_configENS1_35radix_sort_onesweep_config_selectorIjN6thrust23THRUST_200600_302600_NS5tupleIffNS6_9null_typeES8_S8_S8_S8_S8_S8_S8_EEEEZZNS1_29radix_sort_onesweep_iterationIS3_Lb0ENS6_6detail15normal_iteratorINS6_10device_ptrIjEEEESG_NSD_INSE_IS9_EEEESI_jNS0_19identity_decomposerENS1_16block_id_wrapperIjLb1EEEEE10hipError_tT1_PNSt15iterator_traitsISN_E10value_typeET2_T3_PNSO_IST_E10value_typeET4_T5_PSY_SZ_PNS1_23onesweep_lookback_stateEbbT6_jjT7_P12ihipStream_tbENKUlT_T0_SN_SS_E_clISG_PjSI_PS9_EEDaS16_S17_SN_SS_EUlS16_E_NS1_11comp_targetILNS1_3genE2ELNS1_11target_archE906ELNS1_3gpuE6ELNS1_3repE0EEENS1_47radix_sort_onesweep_sort_config_static_selectorELNS0_4arch9wavefront6targetE0EEEvSN_,comdat
	.protected	_ZN7rocprim17ROCPRIM_400000_NS6detail17trampoline_kernelINS0_14default_configENS1_35radix_sort_onesweep_config_selectorIjN6thrust23THRUST_200600_302600_NS5tupleIffNS6_9null_typeES8_S8_S8_S8_S8_S8_S8_EEEEZZNS1_29radix_sort_onesweep_iterationIS3_Lb0ENS6_6detail15normal_iteratorINS6_10device_ptrIjEEEESG_NSD_INSE_IS9_EEEESI_jNS0_19identity_decomposerENS1_16block_id_wrapperIjLb1EEEEE10hipError_tT1_PNSt15iterator_traitsISN_E10value_typeET2_T3_PNSO_IST_E10value_typeET4_T5_PSY_SZ_PNS1_23onesweep_lookback_stateEbbT6_jjT7_P12ihipStream_tbENKUlT_T0_SN_SS_E_clISG_PjSI_PS9_EEDaS16_S17_SN_SS_EUlS16_E_NS1_11comp_targetILNS1_3genE2ELNS1_11target_archE906ELNS1_3gpuE6ELNS1_3repE0EEENS1_47radix_sort_onesweep_sort_config_static_selectorELNS0_4arch9wavefront6targetE0EEEvSN_ ; -- Begin function _ZN7rocprim17ROCPRIM_400000_NS6detail17trampoline_kernelINS0_14default_configENS1_35radix_sort_onesweep_config_selectorIjN6thrust23THRUST_200600_302600_NS5tupleIffNS6_9null_typeES8_S8_S8_S8_S8_S8_S8_EEEEZZNS1_29radix_sort_onesweep_iterationIS3_Lb0ENS6_6detail15normal_iteratorINS6_10device_ptrIjEEEESG_NSD_INSE_IS9_EEEESI_jNS0_19identity_decomposerENS1_16block_id_wrapperIjLb1EEEEE10hipError_tT1_PNSt15iterator_traitsISN_E10value_typeET2_T3_PNSO_IST_E10value_typeET4_T5_PSY_SZ_PNS1_23onesweep_lookback_stateEbbT6_jjT7_P12ihipStream_tbENKUlT_T0_SN_SS_E_clISG_PjSI_PS9_EEDaS16_S17_SN_SS_EUlS16_E_NS1_11comp_targetILNS1_3genE2ELNS1_11target_archE906ELNS1_3gpuE6ELNS1_3repE0EEENS1_47radix_sort_onesweep_sort_config_static_selectorELNS0_4arch9wavefront6targetE0EEEvSN_
	.globl	_ZN7rocprim17ROCPRIM_400000_NS6detail17trampoline_kernelINS0_14default_configENS1_35radix_sort_onesweep_config_selectorIjN6thrust23THRUST_200600_302600_NS5tupleIffNS6_9null_typeES8_S8_S8_S8_S8_S8_S8_EEEEZZNS1_29radix_sort_onesweep_iterationIS3_Lb0ENS6_6detail15normal_iteratorINS6_10device_ptrIjEEEESG_NSD_INSE_IS9_EEEESI_jNS0_19identity_decomposerENS1_16block_id_wrapperIjLb1EEEEE10hipError_tT1_PNSt15iterator_traitsISN_E10value_typeET2_T3_PNSO_IST_E10value_typeET4_T5_PSY_SZ_PNS1_23onesweep_lookback_stateEbbT6_jjT7_P12ihipStream_tbENKUlT_T0_SN_SS_E_clISG_PjSI_PS9_EEDaS16_S17_SN_SS_EUlS16_E_NS1_11comp_targetILNS1_3genE2ELNS1_11target_archE906ELNS1_3gpuE6ELNS1_3repE0EEENS1_47radix_sort_onesweep_sort_config_static_selectorELNS0_4arch9wavefront6targetE0EEEvSN_
	.p2align	8
	.type	_ZN7rocprim17ROCPRIM_400000_NS6detail17trampoline_kernelINS0_14default_configENS1_35radix_sort_onesweep_config_selectorIjN6thrust23THRUST_200600_302600_NS5tupleIffNS6_9null_typeES8_S8_S8_S8_S8_S8_S8_EEEEZZNS1_29radix_sort_onesweep_iterationIS3_Lb0ENS6_6detail15normal_iteratorINS6_10device_ptrIjEEEESG_NSD_INSE_IS9_EEEESI_jNS0_19identity_decomposerENS1_16block_id_wrapperIjLb1EEEEE10hipError_tT1_PNSt15iterator_traitsISN_E10value_typeET2_T3_PNSO_IST_E10value_typeET4_T5_PSY_SZ_PNS1_23onesweep_lookback_stateEbbT6_jjT7_P12ihipStream_tbENKUlT_T0_SN_SS_E_clISG_PjSI_PS9_EEDaS16_S17_SN_SS_EUlS16_E_NS1_11comp_targetILNS1_3genE2ELNS1_11target_archE906ELNS1_3gpuE6ELNS1_3repE0EEENS1_47radix_sort_onesweep_sort_config_static_selectorELNS0_4arch9wavefront6targetE0EEEvSN_,@function
_ZN7rocprim17ROCPRIM_400000_NS6detail17trampoline_kernelINS0_14default_configENS1_35radix_sort_onesweep_config_selectorIjN6thrust23THRUST_200600_302600_NS5tupleIffNS6_9null_typeES8_S8_S8_S8_S8_S8_S8_EEEEZZNS1_29radix_sort_onesweep_iterationIS3_Lb0ENS6_6detail15normal_iteratorINS6_10device_ptrIjEEEESG_NSD_INSE_IS9_EEEESI_jNS0_19identity_decomposerENS1_16block_id_wrapperIjLb1EEEEE10hipError_tT1_PNSt15iterator_traitsISN_E10value_typeET2_T3_PNSO_IST_E10value_typeET4_T5_PSY_SZ_PNS1_23onesweep_lookback_stateEbbT6_jjT7_P12ihipStream_tbENKUlT_T0_SN_SS_E_clISG_PjSI_PS9_EEDaS16_S17_SN_SS_EUlS16_E_NS1_11comp_targetILNS1_3genE2ELNS1_11target_archE906ELNS1_3gpuE6ELNS1_3repE0EEENS1_47radix_sort_onesweep_sort_config_static_selectorELNS0_4arch9wavefront6targetE0EEEvSN_: ; @_ZN7rocprim17ROCPRIM_400000_NS6detail17trampoline_kernelINS0_14default_configENS1_35radix_sort_onesweep_config_selectorIjN6thrust23THRUST_200600_302600_NS5tupleIffNS6_9null_typeES8_S8_S8_S8_S8_S8_S8_EEEEZZNS1_29radix_sort_onesweep_iterationIS3_Lb0ENS6_6detail15normal_iteratorINS6_10device_ptrIjEEEESG_NSD_INSE_IS9_EEEESI_jNS0_19identity_decomposerENS1_16block_id_wrapperIjLb1EEEEE10hipError_tT1_PNSt15iterator_traitsISN_E10value_typeET2_T3_PNSO_IST_E10value_typeET4_T5_PSY_SZ_PNS1_23onesweep_lookback_stateEbbT6_jjT7_P12ihipStream_tbENKUlT_T0_SN_SS_E_clISG_PjSI_PS9_EEDaS16_S17_SN_SS_EUlS16_E_NS1_11comp_targetILNS1_3genE2ELNS1_11target_archE906ELNS1_3gpuE6ELNS1_3repE0EEENS1_47radix_sort_onesweep_sort_config_static_selectorELNS0_4arch9wavefront6targetE0EEEvSN_
; %bb.0:
	.section	.rodata,"a",@progbits
	.p2align	6, 0x0
	.amdhsa_kernel _ZN7rocprim17ROCPRIM_400000_NS6detail17trampoline_kernelINS0_14default_configENS1_35radix_sort_onesweep_config_selectorIjN6thrust23THRUST_200600_302600_NS5tupleIffNS6_9null_typeES8_S8_S8_S8_S8_S8_S8_EEEEZZNS1_29radix_sort_onesweep_iterationIS3_Lb0ENS6_6detail15normal_iteratorINS6_10device_ptrIjEEEESG_NSD_INSE_IS9_EEEESI_jNS0_19identity_decomposerENS1_16block_id_wrapperIjLb1EEEEE10hipError_tT1_PNSt15iterator_traitsISN_E10value_typeET2_T3_PNSO_IST_E10value_typeET4_T5_PSY_SZ_PNS1_23onesweep_lookback_stateEbbT6_jjT7_P12ihipStream_tbENKUlT_T0_SN_SS_E_clISG_PjSI_PS9_EEDaS16_S17_SN_SS_EUlS16_E_NS1_11comp_targetILNS1_3genE2ELNS1_11target_archE906ELNS1_3gpuE6ELNS1_3repE0EEENS1_47radix_sort_onesweep_sort_config_static_selectorELNS0_4arch9wavefront6targetE0EEEvSN_
		.amdhsa_group_segment_fixed_size 0
		.amdhsa_private_segment_fixed_size 0
		.amdhsa_kernarg_size 88
		.amdhsa_user_sgpr_count 2
		.amdhsa_user_sgpr_dispatch_ptr 0
		.amdhsa_user_sgpr_queue_ptr 0
		.amdhsa_user_sgpr_kernarg_segment_ptr 1
		.amdhsa_user_sgpr_dispatch_id 0
		.amdhsa_user_sgpr_kernarg_preload_length 0
		.amdhsa_user_sgpr_kernarg_preload_offset 0
		.amdhsa_user_sgpr_private_segment_size 0
		.amdhsa_wavefront_size32 1
		.amdhsa_uses_dynamic_stack 0
		.amdhsa_enable_private_segment 0
		.amdhsa_system_sgpr_workgroup_id_x 1
		.amdhsa_system_sgpr_workgroup_id_y 0
		.amdhsa_system_sgpr_workgroup_id_z 0
		.amdhsa_system_sgpr_workgroup_info 0
		.amdhsa_system_vgpr_workitem_id 0
		.amdhsa_next_free_vgpr 1
		.amdhsa_next_free_sgpr 1
		.amdhsa_named_barrier_count 0
		.amdhsa_reserve_vcc 0
		.amdhsa_float_round_mode_32 0
		.amdhsa_float_round_mode_16_64 0
		.amdhsa_float_denorm_mode_32 3
		.amdhsa_float_denorm_mode_16_64 3
		.amdhsa_fp16_overflow 0
		.amdhsa_memory_ordered 1
		.amdhsa_forward_progress 1
		.amdhsa_inst_pref_size 0
		.amdhsa_round_robin_scheduling 0
		.amdhsa_exception_fp_ieee_invalid_op 0
		.amdhsa_exception_fp_denorm_src 0
		.amdhsa_exception_fp_ieee_div_zero 0
		.amdhsa_exception_fp_ieee_overflow 0
		.amdhsa_exception_fp_ieee_underflow 0
		.amdhsa_exception_fp_ieee_inexact 0
		.amdhsa_exception_int_div_zero 0
	.end_amdhsa_kernel
	.section	.text._ZN7rocprim17ROCPRIM_400000_NS6detail17trampoline_kernelINS0_14default_configENS1_35radix_sort_onesweep_config_selectorIjN6thrust23THRUST_200600_302600_NS5tupleIffNS6_9null_typeES8_S8_S8_S8_S8_S8_S8_EEEEZZNS1_29radix_sort_onesweep_iterationIS3_Lb0ENS6_6detail15normal_iteratorINS6_10device_ptrIjEEEESG_NSD_INSE_IS9_EEEESI_jNS0_19identity_decomposerENS1_16block_id_wrapperIjLb1EEEEE10hipError_tT1_PNSt15iterator_traitsISN_E10value_typeET2_T3_PNSO_IST_E10value_typeET4_T5_PSY_SZ_PNS1_23onesweep_lookback_stateEbbT6_jjT7_P12ihipStream_tbENKUlT_T0_SN_SS_E_clISG_PjSI_PS9_EEDaS16_S17_SN_SS_EUlS16_E_NS1_11comp_targetILNS1_3genE2ELNS1_11target_archE906ELNS1_3gpuE6ELNS1_3repE0EEENS1_47radix_sort_onesweep_sort_config_static_selectorELNS0_4arch9wavefront6targetE0EEEvSN_,"axG",@progbits,_ZN7rocprim17ROCPRIM_400000_NS6detail17trampoline_kernelINS0_14default_configENS1_35radix_sort_onesweep_config_selectorIjN6thrust23THRUST_200600_302600_NS5tupleIffNS6_9null_typeES8_S8_S8_S8_S8_S8_S8_EEEEZZNS1_29radix_sort_onesweep_iterationIS3_Lb0ENS6_6detail15normal_iteratorINS6_10device_ptrIjEEEESG_NSD_INSE_IS9_EEEESI_jNS0_19identity_decomposerENS1_16block_id_wrapperIjLb1EEEEE10hipError_tT1_PNSt15iterator_traitsISN_E10value_typeET2_T3_PNSO_IST_E10value_typeET4_T5_PSY_SZ_PNS1_23onesweep_lookback_stateEbbT6_jjT7_P12ihipStream_tbENKUlT_T0_SN_SS_E_clISG_PjSI_PS9_EEDaS16_S17_SN_SS_EUlS16_E_NS1_11comp_targetILNS1_3genE2ELNS1_11target_archE906ELNS1_3gpuE6ELNS1_3repE0EEENS1_47radix_sort_onesweep_sort_config_static_selectorELNS0_4arch9wavefront6targetE0EEEvSN_,comdat
.Lfunc_end187:
	.size	_ZN7rocprim17ROCPRIM_400000_NS6detail17trampoline_kernelINS0_14default_configENS1_35radix_sort_onesweep_config_selectorIjN6thrust23THRUST_200600_302600_NS5tupleIffNS6_9null_typeES8_S8_S8_S8_S8_S8_S8_EEEEZZNS1_29radix_sort_onesweep_iterationIS3_Lb0ENS6_6detail15normal_iteratorINS6_10device_ptrIjEEEESG_NSD_INSE_IS9_EEEESI_jNS0_19identity_decomposerENS1_16block_id_wrapperIjLb1EEEEE10hipError_tT1_PNSt15iterator_traitsISN_E10value_typeET2_T3_PNSO_IST_E10value_typeET4_T5_PSY_SZ_PNS1_23onesweep_lookback_stateEbbT6_jjT7_P12ihipStream_tbENKUlT_T0_SN_SS_E_clISG_PjSI_PS9_EEDaS16_S17_SN_SS_EUlS16_E_NS1_11comp_targetILNS1_3genE2ELNS1_11target_archE906ELNS1_3gpuE6ELNS1_3repE0EEENS1_47radix_sort_onesweep_sort_config_static_selectorELNS0_4arch9wavefront6targetE0EEEvSN_, .Lfunc_end187-_ZN7rocprim17ROCPRIM_400000_NS6detail17trampoline_kernelINS0_14default_configENS1_35radix_sort_onesweep_config_selectorIjN6thrust23THRUST_200600_302600_NS5tupleIffNS6_9null_typeES8_S8_S8_S8_S8_S8_S8_EEEEZZNS1_29radix_sort_onesweep_iterationIS3_Lb0ENS6_6detail15normal_iteratorINS6_10device_ptrIjEEEESG_NSD_INSE_IS9_EEEESI_jNS0_19identity_decomposerENS1_16block_id_wrapperIjLb1EEEEE10hipError_tT1_PNSt15iterator_traitsISN_E10value_typeET2_T3_PNSO_IST_E10value_typeET4_T5_PSY_SZ_PNS1_23onesweep_lookback_stateEbbT6_jjT7_P12ihipStream_tbENKUlT_T0_SN_SS_E_clISG_PjSI_PS9_EEDaS16_S17_SN_SS_EUlS16_E_NS1_11comp_targetILNS1_3genE2ELNS1_11target_archE906ELNS1_3gpuE6ELNS1_3repE0EEENS1_47radix_sort_onesweep_sort_config_static_selectorELNS0_4arch9wavefront6targetE0EEEvSN_
                                        ; -- End function
	.set _ZN7rocprim17ROCPRIM_400000_NS6detail17trampoline_kernelINS0_14default_configENS1_35radix_sort_onesweep_config_selectorIjN6thrust23THRUST_200600_302600_NS5tupleIffNS6_9null_typeES8_S8_S8_S8_S8_S8_S8_EEEEZZNS1_29radix_sort_onesweep_iterationIS3_Lb0ENS6_6detail15normal_iteratorINS6_10device_ptrIjEEEESG_NSD_INSE_IS9_EEEESI_jNS0_19identity_decomposerENS1_16block_id_wrapperIjLb1EEEEE10hipError_tT1_PNSt15iterator_traitsISN_E10value_typeET2_T3_PNSO_IST_E10value_typeET4_T5_PSY_SZ_PNS1_23onesweep_lookback_stateEbbT6_jjT7_P12ihipStream_tbENKUlT_T0_SN_SS_E_clISG_PjSI_PS9_EEDaS16_S17_SN_SS_EUlS16_E_NS1_11comp_targetILNS1_3genE2ELNS1_11target_archE906ELNS1_3gpuE6ELNS1_3repE0EEENS1_47radix_sort_onesweep_sort_config_static_selectorELNS0_4arch9wavefront6targetE0EEEvSN_.num_vgpr, 0
	.set _ZN7rocprim17ROCPRIM_400000_NS6detail17trampoline_kernelINS0_14default_configENS1_35radix_sort_onesweep_config_selectorIjN6thrust23THRUST_200600_302600_NS5tupleIffNS6_9null_typeES8_S8_S8_S8_S8_S8_S8_EEEEZZNS1_29radix_sort_onesweep_iterationIS3_Lb0ENS6_6detail15normal_iteratorINS6_10device_ptrIjEEEESG_NSD_INSE_IS9_EEEESI_jNS0_19identity_decomposerENS1_16block_id_wrapperIjLb1EEEEE10hipError_tT1_PNSt15iterator_traitsISN_E10value_typeET2_T3_PNSO_IST_E10value_typeET4_T5_PSY_SZ_PNS1_23onesweep_lookback_stateEbbT6_jjT7_P12ihipStream_tbENKUlT_T0_SN_SS_E_clISG_PjSI_PS9_EEDaS16_S17_SN_SS_EUlS16_E_NS1_11comp_targetILNS1_3genE2ELNS1_11target_archE906ELNS1_3gpuE6ELNS1_3repE0EEENS1_47radix_sort_onesweep_sort_config_static_selectorELNS0_4arch9wavefront6targetE0EEEvSN_.num_agpr, 0
	.set _ZN7rocprim17ROCPRIM_400000_NS6detail17trampoline_kernelINS0_14default_configENS1_35radix_sort_onesweep_config_selectorIjN6thrust23THRUST_200600_302600_NS5tupleIffNS6_9null_typeES8_S8_S8_S8_S8_S8_S8_EEEEZZNS1_29radix_sort_onesweep_iterationIS3_Lb0ENS6_6detail15normal_iteratorINS6_10device_ptrIjEEEESG_NSD_INSE_IS9_EEEESI_jNS0_19identity_decomposerENS1_16block_id_wrapperIjLb1EEEEE10hipError_tT1_PNSt15iterator_traitsISN_E10value_typeET2_T3_PNSO_IST_E10value_typeET4_T5_PSY_SZ_PNS1_23onesweep_lookback_stateEbbT6_jjT7_P12ihipStream_tbENKUlT_T0_SN_SS_E_clISG_PjSI_PS9_EEDaS16_S17_SN_SS_EUlS16_E_NS1_11comp_targetILNS1_3genE2ELNS1_11target_archE906ELNS1_3gpuE6ELNS1_3repE0EEENS1_47radix_sort_onesweep_sort_config_static_selectorELNS0_4arch9wavefront6targetE0EEEvSN_.numbered_sgpr, 0
	.set _ZN7rocprim17ROCPRIM_400000_NS6detail17trampoline_kernelINS0_14default_configENS1_35radix_sort_onesweep_config_selectorIjN6thrust23THRUST_200600_302600_NS5tupleIffNS6_9null_typeES8_S8_S8_S8_S8_S8_S8_EEEEZZNS1_29radix_sort_onesweep_iterationIS3_Lb0ENS6_6detail15normal_iteratorINS6_10device_ptrIjEEEESG_NSD_INSE_IS9_EEEESI_jNS0_19identity_decomposerENS1_16block_id_wrapperIjLb1EEEEE10hipError_tT1_PNSt15iterator_traitsISN_E10value_typeET2_T3_PNSO_IST_E10value_typeET4_T5_PSY_SZ_PNS1_23onesweep_lookback_stateEbbT6_jjT7_P12ihipStream_tbENKUlT_T0_SN_SS_E_clISG_PjSI_PS9_EEDaS16_S17_SN_SS_EUlS16_E_NS1_11comp_targetILNS1_3genE2ELNS1_11target_archE906ELNS1_3gpuE6ELNS1_3repE0EEENS1_47radix_sort_onesweep_sort_config_static_selectorELNS0_4arch9wavefront6targetE0EEEvSN_.num_named_barrier, 0
	.set _ZN7rocprim17ROCPRIM_400000_NS6detail17trampoline_kernelINS0_14default_configENS1_35radix_sort_onesweep_config_selectorIjN6thrust23THRUST_200600_302600_NS5tupleIffNS6_9null_typeES8_S8_S8_S8_S8_S8_S8_EEEEZZNS1_29radix_sort_onesweep_iterationIS3_Lb0ENS6_6detail15normal_iteratorINS6_10device_ptrIjEEEESG_NSD_INSE_IS9_EEEESI_jNS0_19identity_decomposerENS1_16block_id_wrapperIjLb1EEEEE10hipError_tT1_PNSt15iterator_traitsISN_E10value_typeET2_T3_PNSO_IST_E10value_typeET4_T5_PSY_SZ_PNS1_23onesweep_lookback_stateEbbT6_jjT7_P12ihipStream_tbENKUlT_T0_SN_SS_E_clISG_PjSI_PS9_EEDaS16_S17_SN_SS_EUlS16_E_NS1_11comp_targetILNS1_3genE2ELNS1_11target_archE906ELNS1_3gpuE6ELNS1_3repE0EEENS1_47radix_sort_onesweep_sort_config_static_selectorELNS0_4arch9wavefront6targetE0EEEvSN_.private_seg_size, 0
	.set _ZN7rocprim17ROCPRIM_400000_NS6detail17trampoline_kernelINS0_14default_configENS1_35radix_sort_onesweep_config_selectorIjN6thrust23THRUST_200600_302600_NS5tupleIffNS6_9null_typeES8_S8_S8_S8_S8_S8_S8_EEEEZZNS1_29radix_sort_onesweep_iterationIS3_Lb0ENS6_6detail15normal_iteratorINS6_10device_ptrIjEEEESG_NSD_INSE_IS9_EEEESI_jNS0_19identity_decomposerENS1_16block_id_wrapperIjLb1EEEEE10hipError_tT1_PNSt15iterator_traitsISN_E10value_typeET2_T3_PNSO_IST_E10value_typeET4_T5_PSY_SZ_PNS1_23onesweep_lookback_stateEbbT6_jjT7_P12ihipStream_tbENKUlT_T0_SN_SS_E_clISG_PjSI_PS9_EEDaS16_S17_SN_SS_EUlS16_E_NS1_11comp_targetILNS1_3genE2ELNS1_11target_archE906ELNS1_3gpuE6ELNS1_3repE0EEENS1_47radix_sort_onesweep_sort_config_static_selectorELNS0_4arch9wavefront6targetE0EEEvSN_.uses_vcc, 0
	.set _ZN7rocprim17ROCPRIM_400000_NS6detail17trampoline_kernelINS0_14default_configENS1_35radix_sort_onesweep_config_selectorIjN6thrust23THRUST_200600_302600_NS5tupleIffNS6_9null_typeES8_S8_S8_S8_S8_S8_S8_EEEEZZNS1_29radix_sort_onesweep_iterationIS3_Lb0ENS6_6detail15normal_iteratorINS6_10device_ptrIjEEEESG_NSD_INSE_IS9_EEEESI_jNS0_19identity_decomposerENS1_16block_id_wrapperIjLb1EEEEE10hipError_tT1_PNSt15iterator_traitsISN_E10value_typeET2_T3_PNSO_IST_E10value_typeET4_T5_PSY_SZ_PNS1_23onesweep_lookback_stateEbbT6_jjT7_P12ihipStream_tbENKUlT_T0_SN_SS_E_clISG_PjSI_PS9_EEDaS16_S17_SN_SS_EUlS16_E_NS1_11comp_targetILNS1_3genE2ELNS1_11target_archE906ELNS1_3gpuE6ELNS1_3repE0EEENS1_47radix_sort_onesweep_sort_config_static_selectorELNS0_4arch9wavefront6targetE0EEEvSN_.uses_flat_scratch, 0
	.set _ZN7rocprim17ROCPRIM_400000_NS6detail17trampoline_kernelINS0_14default_configENS1_35radix_sort_onesweep_config_selectorIjN6thrust23THRUST_200600_302600_NS5tupleIffNS6_9null_typeES8_S8_S8_S8_S8_S8_S8_EEEEZZNS1_29radix_sort_onesweep_iterationIS3_Lb0ENS6_6detail15normal_iteratorINS6_10device_ptrIjEEEESG_NSD_INSE_IS9_EEEESI_jNS0_19identity_decomposerENS1_16block_id_wrapperIjLb1EEEEE10hipError_tT1_PNSt15iterator_traitsISN_E10value_typeET2_T3_PNSO_IST_E10value_typeET4_T5_PSY_SZ_PNS1_23onesweep_lookback_stateEbbT6_jjT7_P12ihipStream_tbENKUlT_T0_SN_SS_E_clISG_PjSI_PS9_EEDaS16_S17_SN_SS_EUlS16_E_NS1_11comp_targetILNS1_3genE2ELNS1_11target_archE906ELNS1_3gpuE6ELNS1_3repE0EEENS1_47radix_sort_onesweep_sort_config_static_selectorELNS0_4arch9wavefront6targetE0EEEvSN_.has_dyn_sized_stack, 0
	.set _ZN7rocprim17ROCPRIM_400000_NS6detail17trampoline_kernelINS0_14default_configENS1_35radix_sort_onesweep_config_selectorIjN6thrust23THRUST_200600_302600_NS5tupleIffNS6_9null_typeES8_S8_S8_S8_S8_S8_S8_EEEEZZNS1_29radix_sort_onesweep_iterationIS3_Lb0ENS6_6detail15normal_iteratorINS6_10device_ptrIjEEEESG_NSD_INSE_IS9_EEEESI_jNS0_19identity_decomposerENS1_16block_id_wrapperIjLb1EEEEE10hipError_tT1_PNSt15iterator_traitsISN_E10value_typeET2_T3_PNSO_IST_E10value_typeET4_T5_PSY_SZ_PNS1_23onesweep_lookback_stateEbbT6_jjT7_P12ihipStream_tbENKUlT_T0_SN_SS_E_clISG_PjSI_PS9_EEDaS16_S17_SN_SS_EUlS16_E_NS1_11comp_targetILNS1_3genE2ELNS1_11target_archE906ELNS1_3gpuE6ELNS1_3repE0EEENS1_47radix_sort_onesweep_sort_config_static_selectorELNS0_4arch9wavefront6targetE0EEEvSN_.has_recursion, 0
	.set _ZN7rocprim17ROCPRIM_400000_NS6detail17trampoline_kernelINS0_14default_configENS1_35radix_sort_onesweep_config_selectorIjN6thrust23THRUST_200600_302600_NS5tupleIffNS6_9null_typeES8_S8_S8_S8_S8_S8_S8_EEEEZZNS1_29radix_sort_onesweep_iterationIS3_Lb0ENS6_6detail15normal_iteratorINS6_10device_ptrIjEEEESG_NSD_INSE_IS9_EEEESI_jNS0_19identity_decomposerENS1_16block_id_wrapperIjLb1EEEEE10hipError_tT1_PNSt15iterator_traitsISN_E10value_typeET2_T3_PNSO_IST_E10value_typeET4_T5_PSY_SZ_PNS1_23onesweep_lookback_stateEbbT6_jjT7_P12ihipStream_tbENKUlT_T0_SN_SS_E_clISG_PjSI_PS9_EEDaS16_S17_SN_SS_EUlS16_E_NS1_11comp_targetILNS1_3genE2ELNS1_11target_archE906ELNS1_3gpuE6ELNS1_3repE0EEENS1_47radix_sort_onesweep_sort_config_static_selectorELNS0_4arch9wavefront6targetE0EEEvSN_.has_indirect_call, 0
	.section	.AMDGPU.csdata,"",@progbits
; Kernel info:
; codeLenInByte = 0
; TotalNumSgprs: 0
; NumVgprs: 0
; ScratchSize: 0
; MemoryBound: 0
; FloatMode: 240
; IeeeMode: 1
; LDSByteSize: 0 bytes/workgroup (compile time only)
; SGPRBlocks: 0
; VGPRBlocks: 0
; NumSGPRsForWavesPerEU: 1
; NumVGPRsForWavesPerEU: 1
; NamedBarCnt: 0
; Occupancy: 16
; WaveLimiterHint : 0
; COMPUTE_PGM_RSRC2:SCRATCH_EN: 0
; COMPUTE_PGM_RSRC2:USER_SGPR: 2
; COMPUTE_PGM_RSRC2:TRAP_HANDLER: 0
; COMPUTE_PGM_RSRC2:TGID_X_EN: 1
; COMPUTE_PGM_RSRC2:TGID_Y_EN: 0
; COMPUTE_PGM_RSRC2:TGID_Z_EN: 0
; COMPUTE_PGM_RSRC2:TIDIG_COMP_CNT: 0
	.section	.text._ZN7rocprim17ROCPRIM_400000_NS6detail17trampoline_kernelINS0_14default_configENS1_35radix_sort_onesweep_config_selectorIjN6thrust23THRUST_200600_302600_NS5tupleIffNS6_9null_typeES8_S8_S8_S8_S8_S8_S8_EEEEZZNS1_29radix_sort_onesweep_iterationIS3_Lb0ENS6_6detail15normal_iteratorINS6_10device_ptrIjEEEESG_NSD_INSE_IS9_EEEESI_jNS0_19identity_decomposerENS1_16block_id_wrapperIjLb1EEEEE10hipError_tT1_PNSt15iterator_traitsISN_E10value_typeET2_T3_PNSO_IST_E10value_typeET4_T5_PSY_SZ_PNS1_23onesweep_lookback_stateEbbT6_jjT7_P12ihipStream_tbENKUlT_T0_SN_SS_E_clISG_PjSI_PS9_EEDaS16_S17_SN_SS_EUlS16_E_NS1_11comp_targetILNS1_3genE4ELNS1_11target_archE910ELNS1_3gpuE8ELNS1_3repE0EEENS1_47radix_sort_onesweep_sort_config_static_selectorELNS0_4arch9wavefront6targetE0EEEvSN_,"axG",@progbits,_ZN7rocprim17ROCPRIM_400000_NS6detail17trampoline_kernelINS0_14default_configENS1_35radix_sort_onesweep_config_selectorIjN6thrust23THRUST_200600_302600_NS5tupleIffNS6_9null_typeES8_S8_S8_S8_S8_S8_S8_EEEEZZNS1_29radix_sort_onesweep_iterationIS3_Lb0ENS6_6detail15normal_iteratorINS6_10device_ptrIjEEEESG_NSD_INSE_IS9_EEEESI_jNS0_19identity_decomposerENS1_16block_id_wrapperIjLb1EEEEE10hipError_tT1_PNSt15iterator_traitsISN_E10value_typeET2_T3_PNSO_IST_E10value_typeET4_T5_PSY_SZ_PNS1_23onesweep_lookback_stateEbbT6_jjT7_P12ihipStream_tbENKUlT_T0_SN_SS_E_clISG_PjSI_PS9_EEDaS16_S17_SN_SS_EUlS16_E_NS1_11comp_targetILNS1_3genE4ELNS1_11target_archE910ELNS1_3gpuE8ELNS1_3repE0EEENS1_47radix_sort_onesweep_sort_config_static_selectorELNS0_4arch9wavefront6targetE0EEEvSN_,comdat
	.protected	_ZN7rocprim17ROCPRIM_400000_NS6detail17trampoline_kernelINS0_14default_configENS1_35radix_sort_onesweep_config_selectorIjN6thrust23THRUST_200600_302600_NS5tupleIffNS6_9null_typeES8_S8_S8_S8_S8_S8_S8_EEEEZZNS1_29radix_sort_onesweep_iterationIS3_Lb0ENS6_6detail15normal_iteratorINS6_10device_ptrIjEEEESG_NSD_INSE_IS9_EEEESI_jNS0_19identity_decomposerENS1_16block_id_wrapperIjLb1EEEEE10hipError_tT1_PNSt15iterator_traitsISN_E10value_typeET2_T3_PNSO_IST_E10value_typeET4_T5_PSY_SZ_PNS1_23onesweep_lookback_stateEbbT6_jjT7_P12ihipStream_tbENKUlT_T0_SN_SS_E_clISG_PjSI_PS9_EEDaS16_S17_SN_SS_EUlS16_E_NS1_11comp_targetILNS1_3genE4ELNS1_11target_archE910ELNS1_3gpuE8ELNS1_3repE0EEENS1_47radix_sort_onesweep_sort_config_static_selectorELNS0_4arch9wavefront6targetE0EEEvSN_ ; -- Begin function _ZN7rocprim17ROCPRIM_400000_NS6detail17trampoline_kernelINS0_14default_configENS1_35radix_sort_onesweep_config_selectorIjN6thrust23THRUST_200600_302600_NS5tupleIffNS6_9null_typeES8_S8_S8_S8_S8_S8_S8_EEEEZZNS1_29radix_sort_onesweep_iterationIS3_Lb0ENS6_6detail15normal_iteratorINS6_10device_ptrIjEEEESG_NSD_INSE_IS9_EEEESI_jNS0_19identity_decomposerENS1_16block_id_wrapperIjLb1EEEEE10hipError_tT1_PNSt15iterator_traitsISN_E10value_typeET2_T3_PNSO_IST_E10value_typeET4_T5_PSY_SZ_PNS1_23onesweep_lookback_stateEbbT6_jjT7_P12ihipStream_tbENKUlT_T0_SN_SS_E_clISG_PjSI_PS9_EEDaS16_S17_SN_SS_EUlS16_E_NS1_11comp_targetILNS1_3genE4ELNS1_11target_archE910ELNS1_3gpuE8ELNS1_3repE0EEENS1_47radix_sort_onesweep_sort_config_static_selectorELNS0_4arch9wavefront6targetE0EEEvSN_
	.globl	_ZN7rocprim17ROCPRIM_400000_NS6detail17trampoline_kernelINS0_14default_configENS1_35radix_sort_onesweep_config_selectorIjN6thrust23THRUST_200600_302600_NS5tupleIffNS6_9null_typeES8_S8_S8_S8_S8_S8_S8_EEEEZZNS1_29radix_sort_onesweep_iterationIS3_Lb0ENS6_6detail15normal_iteratorINS6_10device_ptrIjEEEESG_NSD_INSE_IS9_EEEESI_jNS0_19identity_decomposerENS1_16block_id_wrapperIjLb1EEEEE10hipError_tT1_PNSt15iterator_traitsISN_E10value_typeET2_T3_PNSO_IST_E10value_typeET4_T5_PSY_SZ_PNS1_23onesweep_lookback_stateEbbT6_jjT7_P12ihipStream_tbENKUlT_T0_SN_SS_E_clISG_PjSI_PS9_EEDaS16_S17_SN_SS_EUlS16_E_NS1_11comp_targetILNS1_3genE4ELNS1_11target_archE910ELNS1_3gpuE8ELNS1_3repE0EEENS1_47radix_sort_onesweep_sort_config_static_selectorELNS0_4arch9wavefront6targetE0EEEvSN_
	.p2align	8
	.type	_ZN7rocprim17ROCPRIM_400000_NS6detail17trampoline_kernelINS0_14default_configENS1_35radix_sort_onesweep_config_selectorIjN6thrust23THRUST_200600_302600_NS5tupleIffNS6_9null_typeES8_S8_S8_S8_S8_S8_S8_EEEEZZNS1_29radix_sort_onesweep_iterationIS3_Lb0ENS6_6detail15normal_iteratorINS6_10device_ptrIjEEEESG_NSD_INSE_IS9_EEEESI_jNS0_19identity_decomposerENS1_16block_id_wrapperIjLb1EEEEE10hipError_tT1_PNSt15iterator_traitsISN_E10value_typeET2_T3_PNSO_IST_E10value_typeET4_T5_PSY_SZ_PNS1_23onesweep_lookback_stateEbbT6_jjT7_P12ihipStream_tbENKUlT_T0_SN_SS_E_clISG_PjSI_PS9_EEDaS16_S17_SN_SS_EUlS16_E_NS1_11comp_targetILNS1_3genE4ELNS1_11target_archE910ELNS1_3gpuE8ELNS1_3repE0EEENS1_47radix_sort_onesweep_sort_config_static_selectorELNS0_4arch9wavefront6targetE0EEEvSN_,@function
_ZN7rocprim17ROCPRIM_400000_NS6detail17trampoline_kernelINS0_14default_configENS1_35radix_sort_onesweep_config_selectorIjN6thrust23THRUST_200600_302600_NS5tupleIffNS6_9null_typeES8_S8_S8_S8_S8_S8_S8_EEEEZZNS1_29radix_sort_onesweep_iterationIS3_Lb0ENS6_6detail15normal_iteratorINS6_10device_ptrIjEEEESG_NSD_INSE_IS9_EEEESI_jNS0_19identity_decomposerENS1_16block_id_wrapperIjLb1EEEEE10hipError_tT1_PNSt15iterator_traitsISN_E10value_typeET2_T3_PNSO_IST_E10value_typeET4_T5_PSY_SZ_PNS1_23onesweep_lookback_stateEbbT6_jjT7_P12ihipStream_tbENKUlT_T0_SN_SS_E_clISG_PjSI_PS9_EEDaS16_S17_SN_SS_EUlS16_E_NS1_11comp_targetILNS1_3genE4ELNS1_11target_archE910ELNS1_3gpuE8ELNS1_3repE0EEENS1_47radix_sort_onesweep_sort_config_static_selectorELNS0_4arch9wavefront6targetE0EEEvSN_: ; @_ZN7rocprim17ROCPRIM_400000_NS6detail17trampoline_kernelINS0_14default_configENS1_35radix_sort_onesweep_config_selectorIjN6thrust23THRUST_200600_302600_NS5tupleIffNS6_9null_typeES8_S8_S8_S8_S8_S8_S8_EEEEZZNS1_29radix_sort_onesweep_iterationIS3_Lb0ENS6_6detail15normal_iteratorINS6_10device_ptrIjEEEESG_NSD_INSE_IS9_EEEESI_jNS0_19identity_decomposerENS1_16block_id_wrapperIjLb1EEEEE10hipError_tT1_PNSt15iterator_traitsISN_E10value_typeET2_T3_PNSO_IST_E10value_typeET4_T5_PSY_SZ_PNS1_23onesweep_lookback_stateEbbT6_jjT7_P12ihipStream_tbENKUlT_T0_SN_SS_E_clISG_PjSI_PS9_EEDaS16_S17_SN_SS_EUlS16_E_NS1_11comp_targetILNS1_3genE4ELNS1_11target_archE910ELNS1_3gpuE8ELNS1_3repE0EEENS1_47radix_sort_onesweep_sort_config_static_selectorELNS0_4arch9wavefront6targetE0EEEvSN_
; %bb.0:
	.section	.rodata,"a",@progbits
	.p2align	6, 0x0
	.amdhsa_kernel _ZN7rocprim17ROCPRIM_400000_NS6detail17trampoline_kernelINS0_14default_configENS1_35radix_sort_onesweep_config_selectorIjN6thrust23THRUST_200600_302600_NS5tupleIffNS6_9null_typeES8_S8_S8_S8_S8_S8_S8_EEEEZZNS1_29radix_sort_onesweep_iterationIS3_Lb0ENS6_6detail15normal_iteratorINS6_10device_ptrIjEEEESG_NSD_INSE_IS9_EEEESI_jNS0_19identity_decomposerENS1_16block_id_wrapperIjLb1EEEEE10hipError_tT1_PNSt15iterator_traitsISN_E10value_typeET2_T3_PNSO_IST_E10value_typeET4_T5_PSY_SZ_PNS1_23onesweep_lookback_stateEbbT6_jjT7_P12ihipStream_tbENKUlT_T0_SN_SS_E_clISG_PjSI_PS9_EEDaS16_S17_SN_SS_EUlS16_E_NS1_11comp_targetILNS1_3genE4ELNS1_11target_archE910ELNS1_3gpuE8ELNS1_3repE0EEENS1_47radix_sort_onesweep_sort_config_static_selectorELNS0_4arch9wavefront6targetE0EEEvSN_
		.amdhsa_group_segment_fixed_size 0
		.amdhsa_private_segment_fixed_size 0
		.amdhsa_kernarg_size 88
		.amdhsa_user_sgpr_count 2
		.amdhsa_user_sgpr_dispatch_ptr 0
		.amdhsa_user_sgpr_queue_ptr 0
		.amdhsa_user_sgpr_kernarg_segment_ptr 1
		.amdhsa_user_sgpr_dispatch_id 0
		.amdhsa_user_sgpr_kernarg_preload_length 0
		.amdhsa_user_sgpr_kernarg_preload_offset 0
		.amdhsa_user_sgpr_private_segment_size 0
		.amdhsa_wavefront_size32 1
		.amdhsa_uses_dynamic_stack 0
		.amdhsa_enable_private_segment 0
		.amdhsa_system_sgpr_workgroup_id_x 1
		.amdhsa_system_sgpr_workgroup_id_y 0
		.amdhsa_system_sgpr_workgroup_id_z 0
		.amdhsa_system_sgpr_workgroup_info 0
		.amdhsa_system_vgpr_workitem_id 0
		.amdhsa_next_free_vgpr 1
		.amdhsa_next_free_sgpr 1
		.amdhsa_named_barrier_count 0
		.amdhsa_reserve_vcc 0
		.amdhsa_float_round_mode_32 0
		.amdhsa_float_round_mode_16_64 0
		.amdhsa_float_denorm_mode_32 3
		.amdhsa_float_denorm_mode_16_64 3
		.amdhsa_fp16_overflow 0
		.amdhsa_memory_ordered 1
		.amdhsa_forward_progress 1
		.amdhsa_inst_pref_size 0
		.amdhsa_round_robin_scheduling 0
		.amdhsa_exception_fp_ieee_invalid_op 0
		.amdhsa_exception_fp_denorm_src 0
		.amdhsa_exception_fp_ieee_div_zero 0
		.amdhsa_exception_fp_ieee_overflow 0
		.amdhsa_exception_fp_ieee_underflow 0
		.amdhsa_exception_fp_ieee_inexact 0
		.amdhsa_exception_int_div_zero 0
	.end_amdhsa_kernel
	.section	.text._ZN7rocprim17ROCPRIM_400000_NS6detail17trampoline_kernelINS0_14default_configENS1_35radix_sort_onesweep_config_selectorIjN6thrust23THRUST_200600_302600_NS5tupleIffNS6_9null_typeES8_S8_S8_S8_S8_S8_S8_EEEEZZNS1_29radix_sort_onesweep_iterationIS3_Lb0ENS6_6detail15normal_iteratorINS6_10device_ptrIjEEEESG_NSD_INSE_IS9_EEEESI_jNS0_19identity_decomposerENS1_16block_id_wrapperIjLb1EEEEE10hipError_tT1_PNSt15iterator_traitsISN_E10value_typeET2_T3_PNSO_IST_E10value_typeET4_T5_PSY_SZ_PNS1_23onesweep_lookback_stateEbbT6_jjT7_P12ihipStream_tbENKUlT_T0_SN_SS_E_clISG_PjSI_PS9_EEDaS16_S17_SN_SS_EUlS16_E_NS1_11comp_targetILNS1_3genE4ELNS1_11target_archE910ELNS1_3gpuE8ELNS1_3repE0EEENS1_47radix_sort_onesweep_sort_config_static_selectorELNS0_4arch9wavefront6targetE0EEEvSN_,"axG",@progbits,_ZN7rocprim17ROCPRIM_400000_NS6detail17trampoline_kernelINS0_14default_configENS1_35radix_sort_onesweep_config_selectorIjN6thrust23THRUST_200600_302600_NS5tupleIffNS6_9null_typeES8_S8_S8_S8_S8_S8_S8_EEEEZZNS1_29radix_sort_onesweep_iterationIS3_Lb0ENS6_6detail15normal_iteratorINS6_10device_ptrIjEEEESG_NSD_INSE_IS9_EEEESI_jNS0_19identity_decomposerENS1_16block_id_wrapperIjLb1EEEEE10hipError_tT1_PNSt15iterator_traitsISN_E10value_typeET2_T3_PNSO_IST_E10value_typeET4_T5_PSY_SZ_PNS1_23onesweep_lookback_stateEbbT6_jjT7_P12ihipStream_tbENKUlT_T0_SN_SS_E_clISG_PjSI_PS9_EEDaS16_S17_SN_SS_EUlS16_E_NS1_11comp_targetILNS1_3genE4ELNS1_11target_archE910ELNS1_3gpuE8ELNS1_3repE0EEENS1_47radix_sort_onesweep_sort_config_static_selectorELNS0_4arch9wavefront6targetE0EEEvSN_,comdat
.Lfunc_end188:
	.size	_ZN7rocprim17ROCPRIM_400000_NS6detail17trampoline_kernelINS0_14default_configENS1_35radix_sort_onesweep_config_selectorIjN6thrust23THRUST_200600_302600_NS5tupleIffNS6_9null_typeES8_S8_S8_S8_S8_S8_S8_EEEEZZNS1_29radix_sort_onesweep_iterationIS3_Lb0ENS6_6detail15normal_iteratorINS6_10device_ptrIjEEEESG_NSD_INSE_IS9_EEEESI_jNS0_19identity_decomposerENS1_16block_id_wrapperIjLb1EEEEE10hipError_tT1_PNSt15iterator_traitsISN_E10value_typeET2_T3_PNSO_IST_E10value_typeET4_T5_PSY_SZ_PNS1_23onesweep_lookback_stateEbbT6_jjT7_P12ihipStream_tbENKUlT_T0_SN_SS_E_clISG_PjSI_PS9_EEDaS16_S17_SN_SS_EUlS16_E_NS1_11comp_targetILNS1_3genE4ELNS1_11target_archE910ELNS1_3gpuE8ELNS1_3repE0EEENS1_47radix_sort_onesweep_sort_config_static_selectorELNS0_4arch9wavefront6targetE0EEEvSN_, .Lfunc_end188-_ZN7rocprim17ROCPRIM_400000_NS6detail17trampoline_kernelINS0_14default_configENS1_35radix_sort_onesweep_config_selectorIjN6thrust23THRUST_200600_302600_NS5tupleIffNS6_9null_typeES8_S8_S8_S8_S8_S8_S8_EEEEZZNS1_29radix_sort_onesweep_iterationIS3_Lb0ENS6_6detail15normal_iteratorINS6_10device_ptrIjEEEESG_NSD_INSE_IS9_EEEESI_jNS0_19identity_decomposerENS1_16block_id_wrapperIjLb1EEEEE10hipError_tT1_PNSt15iterator_traitsISN_E10value_typeET2_T3_PNSO_IST_E10value_typeET4_T5_PSY_SZ_PNS1_23onesweep_lookback_stateEbbT6_jjT7_P12ihipStream_tbENKUlT_T0_SN_SS_E_clISG_PjSI_PS9_EEDaS16_S17_SN_SS_EUlS16_E_NS1_11comp_targetILNS1_3genE4ELNS1_11target_archE910ELNS1_3gpuE8ELNS1_3repE0EEENS1_47radix_sort_onesweep_sort_config_static_selectorELNS0_4arch9wavefront6targetE0EEEvSN_
                                        ; -- End function
	.set _ZN7rocprim17ROCPRIM_400000_NS6detail17trampoline_kernelINS0_14default_configENS1_35radix_sort_onesweep_config_selectorIjN6thrust23THRUST_200600_302600_NS5tupleIffNS6_9null_typeES8_S8_S8_S8_S8_S8_S8_EEEEZZNS1_29radix_sort_onesweep_iterationIS3_Lb0ENS6_6detail15normal_iteratorINS6_10device_ptrIjEEEESG_NSD_INSE_IS9_EEEESI_jNS0_19identity_decomposerENS1_16block_id_wrapperIjLb1EEEEE10hipError_tT1_PNSt15iterator_traitsISN_E10value_typeET2_T3_PNSO_IST_E10value_typeET4_T5_PSY_SZ_PNS1_23onesweep_lookback_stateEbbT6_jjT7_P12ihipStream_tbENKUlT_T0_SN_SS_E_clISG_PjSI_PS9_EEDaS16_S17_SN_SS_EUlS16_E_NS1_11comp_targetILNS1_3genE4ELNS1_11target_archE910ELNS1_3gpuE8ELNS1_3repE0EEENS1_47radix_sort_onesweep_sort_config_static_selectorELNS0_4arch9wavefront6targetE0EEEvSN_.num_vgpr, 0
	.set _ZN7rocprim17ROCPRIM_400000_NS6detail17trampoline_kernelINS0_14default_configENS1_35radix_sort_onesweep_config_selectorIjN6thrust23THRUST_200600_302600_NS5tupleIffNS6_9null_typeES8_S8_S8_S8_S8_S8_S8_EEEEZZNS1_29radix_sort_onesweep_iterationIS3_Lb0ENS6_6detail15normal_iteratorINS6_10device_ptrIjEEEESG_NSD_INSE_IS9_EEEESI_jNS0_19identity_decomposerENS1_16block_id_wrapperIjLb1EEEEE10hipError_tT1_PNSt15iterator_traitsISN_E10value_typeET2_T3_PNSO_IST_E10value_typeET4_T5_PSY_SZ_PNS1_23onesweep_lookback_stateEbbT6_jjT7_P12ihipStream_tbENKUlT_T0_SN_SS_E_clISG_PjSI_PS9_EEDaS16_S17_SN_SS_EUlS16_E_NS1_11comp_targetILNS1_3genE4ELNS1_11target_archE910ELNS1_3gpuE8ELNS1_3repE0EEENS1_47radix_sort_onesweep_sort_config_static_selectorELNS0_4arch9wavefront6targetE0EEEvSN_.num_agpr, 0
	.set _ZN7rocprim17ROCPRIM_400000_NS6detail17trampoline_kernelINS0_14default_configENS1_35radix_sort_onesweep_config_selectorIjN6thrust23THRUST_200600_302600_NS5tupleIffNS6_9null_typeES8_S8_S8_S8_S8_S8_S8_EEEEZZNS1_29radix_sort_onesweep_iterationIS3_Lb0ENS6_6detail15normal_iteratorINS6_10device_ptrIjEEEESG_NSD_INSE_IS9_EEEESI_jNS0_19identity_decomposerENS1_16block_id_wrapperIjLb1EEEEE10hipError_tT1_PNSt15iterator_traitsISN_E10value_typeET2_T3_PNSO_IST_E10value_typeET4_T5_PSY_SZ_PNS1_23onesweep_lookback_stateEbbT6_jjT7_P12ihipStream_tbENKUlT_T0_SN_SS_E_clISG_PjSI_PS9_EEDaS16_S17_SN_SS_EUlS16_E_NS1_11comp_targetILNS1_3genE4ELNS1_11target_archE910ELNS1_3gpuE8ELNS1_3repE0EEENS1_47radix_sort_onesweep_sort_config_static_selectorELNS0_4arch9wavefront6targetE0EEEvSN_.numbered_sgpr, 0
	.set _ZN7rocprim17ROCPRIM_400000_NS6detail17trampoline_kernelINS0_14default_configENS1_35radix_sort_onesweep_config_selectorIjN6thrust23THRUST_200600_302600_NS5tupleIffNS6_9null_typeES8_S8_S8_S8_S8_S8_S8_EEEEZZNS1_29radix_sort_onesweep_iterationIS3_Lb0ENS6_6detail15normal_iteratorINS6_10device_ptrIjEEEESG_NSD_INSE_IS9_EEEESI_jNS0_19identity_decomposerENS1_16block_id_wrapperIjLb1EEEEE10hipError_tT1_PNSt15iterator_traitsISN_E10value_typeET2_T3_PNSO_IST_E10value_typeET4_T5_PSY_SZ_PNS1_23onesweep_lookback_stateEbbT6_jjT7_P12ihipStream_tbENKUlT_T0_SN_SS_E_clISG_PjSI_PS9_EEDaS16_S17_SN_SS_EUlS16_E_NS1_11comp_targetILNS1_3genE4ELNS1_11target_archE910ELNS1_3gpuE8ELNS1_3repE0EEENS1_47radix_sort_onesweep_sort_config_static_selectorELNS0_4arch9wavefront6targetE0EEEvSN_.num_named_barrier, 0
	.set _ZN7rocprim17ROCPRIM_400000_NS6detail17trampoline_kernelINS0_14default_configENS1_35radix_sort_onesweep_config_selectorIjN6thrust23THRUST_200600_302600_NS5tupleIffNS6_9null_typeES8_S8_S8_S8_S8_S8_S8_EEEEZZNS1_29radix_sort_onesweep_iterationIS3_Lb0ENS6_6detail15normal_iteratorINS6_10device_ptrIjEEEESG_NSD_INSE_IS9_EEEESI_jNS0_19identity_decomposerENS1_16block_id_wrapperIjLb1EEEEE10hipError_tT1_PNSt15iterator_traitsISN_E10value_typeET2_T3_PNSO_IST_E10value_typeET4_T5_PSY_SZ_PNS1_23onesweep_lookback_stateEbbT6_jjT7_P12ihipStream_tbENKUlT_T0_SN_SS_E_clISG_PjSI_PS9_EEDaS16_S17_SN_SS_EUlS16_E_NS1_11comp_targetILNS1_3genE4ELNS1_11target_archE910ELNS1_3gpuE8ELNS1_3repE0EEENS1_47radix_sort_onesweep_sort_config_static_selectorELNS0_4arch9wavefront6targetE0EEEvSN_.private_seg_size, 0
	.set _ZN7rocprim17ROCPRIM_400000_NS6detail17trampoline_kernelINS0_14default_configENS1_35radix_sort_onesweep_config_selectorIjN6thrust23THRUST_200600_302600_NS5tupleIffNS6_9null_typeES8_S8_S8_S8_S8_S8_S8_EEEEZZNS1_29radix_sort_onesweep_iterationIS3_Lb0ENS6_6detail15normal_iteratorINS6_10device_ptrIjEEEESG_NSD_INSE_IS9_EEEESI_jNS0_19identity_decomposerENS1_16block_id_wrapperIjLb1EEEEE10hipError_tT1_PNSt15iterator_traitsISN_E10value_typeET2_T3_PNSO_IST_E10value_typeET4_T5_PSY_SZ_PNS1_23onesweep_lookback_stateEbbT6_jjT7_P12ihipStream_tbENKUlT_T0_SN_SS_E_clISG_PjSI_PS9_EEDaS16_S17_SN_SS_EUlS16_E_NS1_11comp_targetILNS1_3genE4ELNS1_11target_archE910ELNS1_3gpuE8ELNS1_3repE0EEENS1_47radix_sort_onesweep_sort_config_static_selectorELNS0_4arch9wavefront6targetE0EEEvSN_.uses_vcc, 0
	.set _ZN7rocprim17ROCPRIM_400000_NS6detail17trampoline_kernelINS0_14default_configENS1_35radix_sort_onesweep_config_selectorIjN6thrust23THRUST_200600_302600_NS5tupleIffNS6_9null_typeES8_S8_S8_S8_S8_S8_S8_EEEEZZNS1_29radix_sort_onesweep_iterationIS3_Lb0ENS6_6detail15normal_iteratorINS6_10device_ptrIjEEEESG_NSD_INSE_IS9_EEEESI_jNS0_19identity_decomposerENS1_16block_id_wrapperIjLb1EEEEE10hipError_tT1_PNSt15iterator_traitsISN_E10value_typeET2_T3_PNSO_IST_E10value_typeET4_T5_PSY_SZ_PNS1_23onesweep_lookback_stateEbbT6_jjT7_P12ihipStream_tbENKUlT_T0_SN_SS_E_clISG_PjSI_PS9_EEDaS16_S17_SN_SS_EUlS16_E_NS1_11comp_targetILNS1_3genE4ELNS1_11target_archE910ELNS1_3gpuE8ELNS1_3repE0EEENS1_47radix_sort_onesweep_sort_config_static_selectorELNS0_4arch9wavefront6targetE0EEEvSN_.uses_flat_scratch, 0
	.set _ZN7rocprim17ROCPRIM_400000_NS6detail17trampoline_kernelINS0_14default_configENS1_35radix_sort_onesweep_config_selectorIjN6thrust23THRUST_200600_302600_NS5tupleIffNS6_9null_typeES8_S8_S8_S8_S8_S8_S8_EEEEZZNS1_29radix_sort_onesweep_iterationIS3_Lb0ENS6_6detail15normal_iteratorINS6_10device_ptrIjEEEESG_NSD_INSE_IS9_EEEESI_jNS0_19identity_decomposerENS1_16block_id_wrapperIjLb1EEEEE10hipError_tT1_PNSt15iterator_traitsISN_E10value_typeET2_T3_PNSO_IST_E10value_typeET4_T5_PSY_SZ_PNS1_23onesweep_lookback_stateEbbT6_jjT7_P12ihipStream_tbENKUlT_T0_SN_SS_E_clISG_PjSI_PS9_EEDaS16_S17_SN_SS_EUlS16_E_NS1_11comp_targetILNS1_3genE4ELNS1_11target_archE910ELNS1_3gpuE8ELNS1_3repE0EEENS1_47radix_sort_onesweep_sort_config_static_selectorELNS0_4arch9wavefront6targetE0EEEvSN_.has_dyn_sized_stack, 0
	.set _ZN7rocprim17ROCPRIM_400000_NS6detail17trampoline_kernelINS0_14default_configENS1_35radix_sort_onesweep_config_selectorIjN6thrust23THRUST_200600_302600_NS5tupleIffNS6_9null_typeES8_S8_S8_S8_S8_S8_S8_EEEEZZNS1_29radix_sort_onesweep_iterationIS3_Lb0ENS6_6detail15normal_iteratorINS6_10device_ptrIjEEEESG_NSD_INSE_IS9_EEEESI_jNS0_19identity_decomposerENS1_16block_id_wrapperIjLb1EEEEE10hipError_tT1_PNSt15iterator_traitsISN_E10value_typeET2_T3_PNSO_IST_E10value_typeET4_T5_PSY_SZ_PNS1_23onesweep_lookback_stateEbbT6_jjT7_P12ihipStream_tbENKUlT_T0_SN_SS_E_clISG_PjSI_PS9_EEDaS16_S17_SN_SS_EUlS16_E_NS1_11comp_targetILNS1_3genE4ELNS1_11target_archE910ELNS1_3gpuE8ELNS1_3repE0EEENS1_47radix_sort_onesweep_sort_config_static_selectorELNS0_4arch9wavefront6targetE0EEEvSN_.has_recursion, 0
	.set _ZN7rocprim17ROCPRIM_400000_NS6detail17trampoline_kernelINS0_14default_configENS1_35radix_sort_onesweep_config_selectorIjN6thrust23THRUST_200600_302600_NS5tupleIffNS6_9null_typeES8_S8_S8_S8_S8_S8_S8_EEEEZZNS1_29radix_sort_onesweep_iterationIS3_Lb0ENS6_6detail15normal_iteratorINS6_10device_ptrIjEEEESG_NSD_INSE_IS9_EEEESI_jNS0_19identity_decomposerENS1_16block_id_wrapperIjLb1EEEEE10hipError_tT1_PNSt15iterator_traitsISN_E10value_typeET2_T3_PNSO_IST_E10value_typeET4_T5_PSY_SZ_PNS1_23onesweep_lookback_stateEbbT6_jjT7_P12ihipStream_tbENKUlT_T0_SN_SS_E_clISG_PjSI_PS9_EEDaS16_S17_SN_SS_EUlS16_E_NS1_11comp_targetILNS1_3genE4ELNS1_11target_archE910ELNS1_3gpuE8ELNS1_3repE0EEENS1_47radix_sort_onesweep_sort_config_static_selectorELNS0_4arch9wavefront6targetE0EEEvSN_.has_indirect_call, 0
	.section	.AMDGPU.csdata,"",@progbits
; Kernel info:
; codeLenInByte = 0
; TotalNumSgprs: 0
; NumVgprs: 0
; ScratchSize: 0
; MemoryBound: 0
; FloatMode: 240
; IeeeMode: 1
; LDSByteSize: 0 bytes/workgroup (compile time only)
; SGPRBlocks: 0
; VGPRBlocks: 0
; NumSGPRsForWavesPerEU: 1
; NumVGPRsForWavesPerEU: 1
; NamedBarCnt: 0
; Occupancy: 16
; WaveLimiterHint : 0
; COMPUTE_PGM_RSRC2:SCRATCH_EN: 0
; COMPUTE_PGM_RSRC2:USER_SGPR: 2
; COMPUTE_PGM_RSRC2:TRAP_HANDLER: 0
; COMPUTE_PGM_RSRC2:TGID_X_EN: 1
; COMPUTE_PGM_RSRC2:TGID_Y_EN: 0
; COMPUTE_PGM_RSRC2:TGID_Z_EN: 0
; COMPUTE_PGM_RSRC2:TIDIG_COMP_CNT: 0
	.section	.text._ZN7rocprim17ROCPRIM_400000_NS6detail17trampoline_kernelINS0_14default_configENS1_35radix_sort_onesweep_config_selectorIjN6thrust23THRUST_200600_302600_NS5tupleIffNS6_9null_typeES8_S8_S8_S8_S8_S8_S8_EEEEZZNS1_29radix_sort_onesweep_iterationIS3_Lb0ENS6_6detail15normal_iteratorINS6_10device_ptrIjEEEESG_NSD_INSE_IS9_EEEESI_jNS0_19identity_decomposerENS1_16block_id_wrapperIjLb1EEEEE10hipError_tT1_PNSt15iterator_traitsISN_E10value_typeET2_T3_PNSO_IST_E10value_typeET4_T5_PSY_SZ_PNS1_23onesweep_lookback_stateEbbT6_jjT7_P12ihipStream_tbENKUlT_T0_SN_SS_E_clISG_PjSI_PS9_EEDaS16_S17_SN_SS_EUlS16_E_NS1_11comp_targetILNS1_3genE3ELNS1_11target_archE908ELNS1_3gpuE7ELNS1_3repE0EEENS1_47radix_sort_onesweep_sort_config_static_selectorELNS0_4arch9wavefront6targetE0EEEvSN_,"axG",@progbits,_ZN7rocprim17ROCPRIM_400000_NS6detail17trampoline_kernelINS0_14default_configENS1_35radix_sort_onesweep_config_selectorIjN6thrust23THRUST_200600_302600_NS5tupleIffNS6_9null_typeES8_S8_S8_S8_S8_S8_S8_EEEEZZNS1_29radix_sort_onesweep_iterationIS3_Lb0ENS6_6detail15normal_iteratorINS6_10device_ptrIjEEEESG_NSD_INSE_IS9_EEEESI_jNS0_19identity_decomposerENS1_16block_id_wrapperIjLb1EEEEE10hipError_tT1_PNSt15iterator_traitsISN_E10value_typeET2_T3_PNSO_IST_E10value_typeET4_T5_PSY_SZ_PNS1_23onesweep_lookback_stateEbbT6_jjT7_P12ihipStream_tbENKUlT_T0_SN_SS_E_clISG_PjSI_PS9_EEDaS16_S17_SN_SS_EUlS16_E_NS1_11comp_targetILNS1_3genE3ELNS1_11target_archE908ELNS1_3gpuE7ELNS1_3repE0EEENS1_47radix_sort_onesweep_sort_config_static_selectorELNS0_4arch9wavefront6targetE0EEEvSN_,comdat
	.protected	_ZN7rocprim17ROCPRIM_400000_NS6detail17trampoline_kernelINS0_14default_configENS1_35radix_sort_onesweep_config_selectorIjN6thrust23THRUST_200600_302600_NS5tupleIffNS6_9null_typeES8_S8_S8_S8_S8_S8_S8_EEEEZZNS1_29radix_sort_onesweep_iterationIS3_Lb0ENS6_6detail15normal_iteratorINS6_10device_ptrIjEEEESG_NSD_INSE_IS9_EEEESI_jNS0_19identity_decomposerENS1_16block_id_wrapperIjLb1EEEEE10hipError_tT1_PNSt15iterator_traitsISN_E10value_typeET2_T3_PNSO_IST_E10value_typeET4_T5_PSY_SZ_PNS1_23onesweep_lookback_stateEbbT6_jjT7_P12ihipStream_tbENKUlT_T0_SN_SS_E_clISG_PjSI_PS9_EEDaS16_S17_SN_SS_EUlS16_E_NS1_11comp_targetILNS1_3genE3ELNS1_11target_archE908ELNS1_3gpuE7ELNS1_3repE0EEENS1_47radix_sort_onesweep_sort_config_static_selectorELNS0_4arch9wavefront6targetE0EEEvSN_ ; -- Begin function _ZN7rocprim17ROCPRIM_400000_NS6detail17trampoline_kernelINS0_14default_configENS1_35radix_sort_onesweep_config_selectorIjN6thrust23THRUST_200600_302600_NS5tupleIffNS6_9null_typeES8_S8_S8_S8_S8_S8_S8_EEEEZZNS1_29radix_sort_onesweep_iterationIS3_Lb0ENS6_6detail15normal_iteratorINS6_10device_ptrIjEEEESG_NSD_INSE_IS9_EEEESI_jNS0_19identity_decomposerENS1_16block_id_wrapperIjLb1EEEEE10hipError_tT1_PNSt15iterator_traitsISN_E10value_typeET2_T3_PNSO_IST_E10value_typeET4_T5_PSY_SZ_PNS1_23onesweep_lookback_stateEbbT6_jjT7_P12ihipStream_tbENKUlT_T0_SN_SS_E_clISG_PjSI_PS9_EEDaS16_S17_SN_SS_EUlS16_E_NS1_11comp_targetILNS1_3genE3ELNS1_11target_archE908ELNS1_3gpuE7ELNS1_3repE0EEENS1_47radix_sort_onesweep_sort_config_static_selectorELNS0_4arch9wavefront6targetE0EEEvSN_
	.globl	_ZN7rocprim17ROCPRIM_400000_NS6detail17trampoline_kernelINS0_14default_configENS1_35radix_sort_onesweep_config_selectorIjN6thrust23THRUST_200600_302600_NS5tupleIffNS6_9null_typeES8_S8_S8_S8_S8_S8_S8_EEEEZZNS1_29radix_sort_onesweep_iterationIS3_Lb0ENS6_6detail15normal_iteratorINS6_10device_ptrIjEEEESG_NSD_INSE_IS9_EEEESI_jNS0_19identity_decomposerENS1_16block_id_wrapperIjLb1EEEEE10hipError_tT1_PNSt15iterator_traitsISN_E10value_typeET2_T3_PNSO_IST_E10value_typeET4_T5_PSY_SZ_PNS1_23onesweep_lookback_stateEbbT6_jjT7_P12ihipStream_tbENKUlT_T0_SN_SS_E_clISG_PjSI_PS9_EEDaS16_S17_SN_SS_EUlS16_E_NS1_11comp_targetILNS1_3genE3ELNS1_11target_archE908ELNS1_3gpuE7ELNS1_3repE0EEENS1_47radix_sort_onesweep_sort_config_static_selectorELNS0_4arch9wavefront6targetE0EEEvSN_
	.p2align	8
	.type	_ZN7rocprim17ROCPRIM_400000_NS6detail17trampoline_kernelINS0_14default_configENS1_35radix_sort_onesweep_config_selectorIjN6thrust23THRUST_200600_302600_NS5tupleIffNS6_9null_typeES8_S8_S8_S8_S8_S8_S8_EEEEZZNS1_29radix_sort_onesweep_iterationIS3_Lb0ENS6_6detail15normal_iteratorINS6_10device_ptrIjEEEESG_NSD_INSE_IS9_EEEESI_jNS0_19identity_decomposerENS1_16block_id_wrapperIjLb1EEEEE10hipError_tT1_PNSt15iterator_traitsISN_E10value_typeET2_T3_PNSO_IST_E10value_typeET4_T5_PSY_SZ_PNS1_23onesweep_lookback_stateEbbT6_jjT7_P12ihipStream_tbENKUlT_T0_SN_SS_E_clISG_PjSI_PS9_EEDaS16_S17_SN_SS_EUlS16_E_NS1_11comp_targetILNS1_3genE3ELNS1_11target_archE908ELNS1_3gpuE7ELNS1_3repE0EEENS1_47radix_sort_onesweep_sort_config_static_selectorELNS0_4arch9wavefront6targetE0EEEvSN_,@function
_ZN7rocprim17ROCPRIM_400000_NS6detail17trampoline_kernelINS0_14default_configENS1_35radix_sort_onesweep_config_selectorIjN6thrust23THRUST_200600_302600_NS5tupleIffNS6_9null_typeES8_S8_S8_S8_S8_S8_S8_EEEEZZNS1_29radix_sort_onesweep_iterationIS3_Lb0ENS6_6detail15normal_iteratorINS6_10device_ptrIjEEEESG_NSD_INSE_IS9_EEEESI_jNS0_19identity_decomposerENS1_16block_id_wrapperIjLb1EEEEE10hipError_tT1_PNSt15iterator_traitsISN_E10value_typeET2_T3_PNSO_IST_E10value_typeET4_T5_PSY_SZ_PNS1_23onesweep_lookback_stateEbbT6_jjT7_P12ihipStream_tbENKUlT_T0_SN_SS_E_clISG_PjSI_PS9_EEDaS16_S17_SN_SS_EUlS16_E_NS1_11comp_targetILNS1_3genE3ELNS1_11target_archE908ELNS1_3gpuE7ELNS1_3repE0EEENS1_47radix_sort_onesweep_sort_config_static_selectorELNS0_4arch9wavefront6targetE0EEEvSN_: ; @_ZN7rocprim17ROCPRIM_400000_NS6detail17trampoline_kernelINS0_14default_configENS1_35radix_sort_onesweep_config_selectorIjN6thrust23THRUST_200600_302600_NS5tupleIffNS6_9null_typeES8_S8_S8_S8_S8_S8_S8_EEEEZZNS1_29radix_sort_onesweep_iterationIS3_Lb0ENS6_6detail15normal_iteratorINS6_10device_ptrIjEEEESG_NSD_INSE_IS9_EEEESI_jNS0_19identity_decomposerENS1_16block_id_wrapperIjLb1EEEEE10hipError_tT1_PNSt15iterator_traitsISN_E10value_typeET2_T3_PNSO_IST_E10value_typeET4_T5_PSY_SZ_PNS1_23onesweep_lookback_stateEbbT6_jjT7_P12ihipStream_tbENKUlT_T0_SN_SS_E_clISG_PjSI_PS9_EEDaS16_S17_SN_SS_EUlS16_E_NS1_11comp_targetILNS1_3genE3ELNS1_11target_archE908ELNS1_3gpuE7ELNS1_3repE0EEENS1_47radix_sort_onesweep_sort_config_static_selectorELNS0_4arch9wavefront6targetE0EEEvSN_
; %bb.0:
	.section	.rodata,"a",@progbits
	.p2align	6, 0x0
	.amdhsa_kernel _ZN7rocprim17ROCPRIM_400000_NS6detail17trampoline_kernelINS0_14default_configENS1_35radix_sort_onesweep_config_selectorIjN6thrust23THRUST_200600_302600_NS5tupleIffNS6_9null_typeES8_S8_S8_S8_S8_S8_S8_EEEEZZNS1_29radix_sort_onesweep_iterationIS3_Lb0ENS6_6detail15normal_iteratorINS6_10device_ptrIjEEEESG_NSD_INSE_IS9_EEEESI_jNS0_19identity_decomposerENS1_16block_id_wrapperIjLb1EEEEE10hipError_tT1_PNSt15iterator_traitsISN_E10value_typeET2_T3_PNSO_IST_E10value_typeET4_T5_PSY_SZ_PNS1_23onesweep_lookback_stateEbbT6_jjT7_P12ihipStream_tbENKUlT_T0_SN_SS_E_clISG_PjSI_PS9_EEDaS16_S17_SN_SS_EUlS16_E_NS1_11comp_targetILNS1_3genE3ELNS1_11target_archE908ELNS1_3gpuE7ELNS1_3repE0EEENS1_47radix_sort_onesweep_sort_config_static_selectorELNS0_4arch9wavefront6targetE0EEEvSN_
		.amdhsa_group_segment_fixed_size 0
		.amdhsa_private_segment_fixed_size 0
		.amdhsa_kernarg_size 88
		.amdhsa_user_sgpr_count 2
		.amdhsa_user_sgpr_dispatch_ptr 0
		.amdhsa_user_sgpr_queue_ptr 0
		.amdhsa_user_sgpr_kernarg_segment_ptr 1
		.amdhsa_user_sgpr_dispatch_id 0
		.amdhsa_user_sgpr_kernarg_preload_length 0
		.amdhsa_user_sgpr_kernarg_preload_offset 0
		.amdhsa_user_sgpr_private_segment_size 0
		.amdhsa_wavefront_size32 1
		.amdhsa_uses_dynamic_stack 0
		.amdhsa_enable_private_segment 0
		.amdhsa_system_sgpr_workgroup_id_x 1
		.amdhsa_system_sgpr_workgroup_id_y 0
		.amdhsa_system_sgpr_workgroup_id_z 0
		.amdhsa_system_sgpr_workgroup_info 0
		.amdhsa_system_vgpr_workitem_id 0
		.amdhsa_next_free_vgpr 1
		.amdhsa_next_free_sgpr 1
		.amdhsa_named_barrier_count 0
		.amdhsa_reserve_vcc 0
		.amdhsa_float_round_mode_32 0
		.amdhsa_float_round_mode_16_64 0
		.amdhsa_float_denorm_mode_32 3
		.amdhsa_float_denorm_mode_16_64 3
		.amdhsa_fp16_overflow 0
		.amdhsa_memory_ordered 1
		.amdhsa_forward_progress 1
		.amdhsa_inst_pref_size 0
		.amdhsa_round_robin_scheduling 0
		.amdhsa_exception_fp_ieee_invalid_op 0
		.amdhsa_exception_fp_denorm_src 0
		.amdhsa_exception_fp_ieee_div_zero 0
		.amdhsa_exception_fp_ieee_overflow 0
		.amdhsa_exception_fp_ieee_underflow 0
		.amdhsa_exception_fp_ieee_inexact 0
		.amdhsa_exception_int_div_zero 0
	.end_amdhsa_kernel
	.section	.text._ZN7rocprim17ROCPRIM_400000_NS6detail17trampoline_kernelINS0_14default_configENS1_35radix_sort_onesweep_config_selectorIjN6thrust23THRUST_200600_302600_NS5tupleIffNS6_9null_typeES8_S8_S8_S8_S8_S8_S8_EEEEZZNS1_29radix_sort_onesweep_iterationIS3_Lb0ENS6_6detail15normal_iteratorINS6_10device_ptrIjEEEESG_NSD_INSE_IS9_EEEESI_jNS0_19identity_decomposerENS1_16block_id_wrapperIjLb1EEEEE10hipError_tT1_PNSt15iterator_traitsISN_E10value_typeET2_T3_PNSO_IST_E10value_typeET4_T5_PSY_SZ_PNS1_23onesweep_lookback_stateEbbT6_jjT7_P12ihipStream_tbENKUlT_T0_SN_SS_E_clISG_PjSI_PS9_EEDaS16_S17_SN_SS_EUlS16_E_NS1_11comp_targetILNS1_3genE3ELNS1_11target_archE908ELNS1_3gpuE7ELNS1_3repE0EEENS1_47radix_sort_onesweep_sort_config_static_selectorELNS0_4arch9wavefront6targetE0EEEvSN_,"axG",@progbits,_ZN7rocprim17ROCPRIM_400000_NS6detail17trampoline_kernelINS0_14default_configENS1_35radix_sort_onesweep_config_selectorIjN6thrust23THRUST_200600_302600_NS5tupleIffNS6_9null_typeES8_S8_S8_S8_S8_S8_S8_EEEEZZNS1_29radix_sort_onesweep_iterationIS3_Lb0ENS6_6detail15normal_iteratorINS6_10device_ptrIjEEEESG_NSD_INSE_IS9_EEEESI_jNS0_19identity_decomposerENS1_16block_id_wrapperIjLb1EEEEE10hipError_tT1_PNSt15iterator_traitsISN_E10value_typeET2_T3_PNSO_IST_E10value_typeET4_T5_PSY_SZ_PNS1_23onesweep_lookback_stateEbbT6_jjT7_P12ihipStream_tbENKUlT_T0_SN_SS_E_clISG_PjSI_PS9_EEDaS16_S17_SN_SS_EUlS16_E_NS1_11comp_targetILNS1_3genE3ELNS1_11target_archE908ELNS1_3gpuE7ELNS1_3repE0EEENS1_47radix_sort_onesweep_sort_config_static_selectorELNS0_4arch9wavefront6targetE0EEEvSN_,comdat
.Lfunc_end189:
	.size	_ZN7rocprim17ROCPRIM_400000_NS6detail17trampoline_kernelINS0_14default_configENS1_35radix_sort_onesweep_config_selectorIjN6thrust23THRUST_200600_302600_NS5tupleIffNS6_9null_typeES8_S8_S8_S8_S8_S8_S8_EEEEZZNS1_29radix_sort_onesweep_iterationIS3_Lb0ENS6_6detail15normal_iteratorINS6_10device_ptrIjEEEESG_NSD_INSE_IS9_EEEESI_jNS0_19identity_decomposerENS1_16block_id_wrapperIjLb1EEEEE10hipError_tT1_PNSt15iterator_traitsISN_E10value_typeET2_T3_PNSO_IST_E10value_typeET4_T5_PSY_SZ_PNS1_23onesweep_lookback_stateEbbT6_jjT7_P12ihipStream_tbENKUlT_T0_SN_SS_E_clISG_PjSI_PS9_EEDaS16_S17_SN_SS_EUlS16_E_NS1_11comp_targetILNS1_3genE3ELNS1_11target_archE908ELNS1_3gpuE7ELNS1_3repE0EEENS1_47radix_sort_onesweep_sort_config_static_selectorELNS0_4arch9wavefront6targetE0EEEvSN_, .Lfunc_end189-_ZN7rocprim17ROCPRIM_400000_NS6detail17trampoline_kernelINS0_14default_configENS1_35radix_sort_onesweep_config_selectorIjN6thrust23THRUST_200600_302600_NS5tupleIffNS6_9null_typeES8_S8_S8_S8_S8_S8_S8_EEEEZZNS1_29radix_sort_onesweep_iterationIS3_Lb0ENS6_6detail15normal_iteratorINS6_10device_ptrIjEEEESG_NSD_INSE_IS9_EEEESI_jNS0_19identity_decomposerENS1_16block_id_wrapperIjLb1EEEEE10hipError_tT1_PNSt15iterator_traitsISN_E10value_typeET2_T3_PNSO_IST_E10value_typeET4_T5_PSY_SZ_PNS1_23onesweep_lookback_stateEbbT6_jjT7_P12ihipStream_tbENKUlT_T0_SN_SS_E_clISG_PjSI_PS9_EEDaS16_S17_SN_SS_EUlS16_E_NS1_11comp_targetILNS1_3genE3ELNS1_11target_archE908ELNS1_3gpuE7ELNS1_3repE0EEENS1_47radix_sort_onesweep_sort_config_static_selectorELNS0_4arch9wavefront6targetE0EEEvSN_
                                        ; -- End function
	.set _ZN7rocprim17ROCPRIM_400000_NS6detail17trampoline_kernelINS0_14default_configENS1_35radix_sort_onesweep_config_selectorIjN6thrust23THRUST_200600_302600_NS5tupleIffNS6_9null_typeES8_S8_S8_S8_S8_S8_S8_EEEEZZNS1_29radix_sort_onesweep_iterationIS3_Lb0ENS6_6detail15normal_iteratorINS6_10device_ptrIjEEEESG_NSD_INSE_IS9_EEEESI_jNS0_19identity_decomposerENS1_16block_id_wrapperIjLb1EEEEE10hipError_tT1_PNSt15iterator_traitsISN_E10value_typeET2_T3_PNSO_IST_E10value_typeET4_T5_PSY_SZ_PNS1_23onesweep_lookback_stateEbbT6_jjT7_P12ihipStream_tbENKUlT_T0_SN_SS_E_clISG_PjSI_PS9_EEDaS16_S17_SN_SS_EUlS16_E_NS1_11comp_targetILNS1_3genE3ELNS1_11target_archE908ELNS1_3gpuE7ELNS1_3repE0EEENS1_47radix_sort_onesweep_sort_config_static_selectorELNS0_4arch9wavefront6targetE0EEEvSN_.num_vgpr, 0
	.set _ZN7rocprim17ROCPRIM_400000_NS6detail17trampoline_kernelINS0_14default_configENS1_35radix_sort_onesweep_config_selectorIjN6thrust23THRUST_200600_302600_NS5tupleIffNS6_9null_typeES8_S8_S8_S8_S8_S8_S8_EEEEZZNS1_29radix_sort_onesweep_iterationIS3_Lb0ENS6_6detail15normal_iteratorINS6_10device_ptrIjEEEESG_NSD_INSE_IS9_EEEESI_jNS0_19identity_decomposerENS1_16block_id_wrapperIjLb1EEEEE10hipError_tT1_PNSt15iterator_traitsISN_E10value_typeET2_T3_PNSO_IST_E10value_typeET4_T5_PSY_SZ_PNS1_23onesweep_lookback_stateEbbT6_jjT7_P12ihipStream_tbENKUlT_T0_SN_SS_E_clISG_PjSI_PS9_EEDaS16_S17_SN_SS_EUlS16_E_NS1_11comp_targetILNS1_3genE3ELNS1_11target_archE908ELNS1_3gpuE7ELNS1_3repE0EEENS1_47radix_sort_onesweep_sort_config_static_selectorELNS0_4arch9wavefront6targetE0EEEvSN_.num_agpr, 0
	.set _ZN7rocprim17ROCPRIM_400000_NS6detail17trampoline_kernelINS0_14default_configENS1_35radix_sort_onesweep_config_selectorIjN6thrust23THRUST_200600_302600_NS5tupleIffNS6_9null_typeES8_S8_S8_S8_S8_S8_S8_EEEEZZNS1_29radix_sort_onesweep_iterationIS3_Lb0ENS6_6detail15normal_iteratorINS6_10device_ptrIjEEEESG_NSD_INSE_IS9_EEEESI_jNS0_19identity_decomposerENS1_16block_id_wrapperIjLb1EEEEE10hipError_tT1_PNSt15iterator_traitsISN_E10value_typeET2_T3_PNSO_IST_E10value_typeET4_T5_PSY_SZ_PNS1_23onesweep_lookback_stateEbbT6_jjT7_P12ihipStream_tbENKUlT_T0_SN_SS_E_clISG_PjSI_PS9_EEDaS16_S17_SN_SS_EUlS16_E_NS1_11comp_targetILNS1_3genE3ELNS1_11target_archE908ELNS1_3gpuE7ELNS1_3repE0EEENS1_47radix_sort_onesweep_sort_config_static_selectorELNS0_4arch9wavefront6targetE0EEEvSN_.numbered_sgpr, 0
	.set _ZN7rocprim17ROCPRIM_400000_NS6detail17trampoline_kernelINS0_14default_configENS1_35radix_sort_onesweep_config_selectorIjN6thrust23THRUST_200600_302600_NS5tupleIffNS6_9null_typeES8_S8_S8_S8_S8_S8_S8_EEEEZZNS1_29radix_sort_onesweep_iterationIS3_Lb0ENS6_6detail15normal_iteratorINS6_10device_ptrIjEEEESG_NSD_INSE_IS9_EEEESI_jNS0_19identity_decomposerENS1_16block_id_wrapperIjLb1EEEEE10hipError_tT1_PNSt15iterator_traitsISN_E10value_typeET2_T3_PNSO_IST_E10value_typeET4_T5_PSY_SZ_PNS1_23onesweep_lookback_stateEbbT6_jjT7_P12ihipStream_tbENKUlT_T0_SN_SS_E_clISG_PjSI_PS9_EEDaS16_S17_SN_SS_EUlS16_E_NS1_11comp_targetILNS1_3genE3ELNS1_11target_archE908ELNS1_3gpuE7ELNS1_3repE0EEENS1_47radix_sort_onesweep_sort_config_static_selectorELNS0_4arch9wavefront6targetE0EEEvSN_.num_named_barrier, 0
	.set _ZN7rocprim17ROCPRIM_400000_NS6detail17trampoline_kernelINS0_14default_configENS1_35radix_sort_onesweep_config_selectorIjN6thrust23THRUST_200600_302600_NS5tupleIffNS6_9null_typeES8_S8_S8_S8_S8_S8_S8_EEEEZZNS1_29radix_sort_onesweep_iterationIS3_Lb0ENS6_6detail15normal_iteratorINS6_10device_ptrIjEEEESG_NSD_INSE_IS9_EEEESI_jNS0_19identity_decomposerENS1_16block_id_wrapperIjLb1EEEEE10hipError_tT1_PNSt15iterator_traitsISN_E10value_typeET2_T3_PNSO_IST_E10value_typeET4_T5_PSY_SZ_PNS1_23onesweep_lookback_stateEbbT6_jjT7_P12ihipStream_tbENKUlT_T0_SN_SS_E_clISG_PjSI_PS9_EEDaS16_S17_SN_SS_EUlS16_E_NS1_11comp_targetILNS1_3genE3ELNS1_11target_archE908ELNS1_3gpuE7ELNS1_3repE0EEENS1_47radix_sort_onesweep_sort_config_static_selectorELNS0_4arch9wavefront6targetE0EEEvSN_.private_seg_size, 0
	.set _ZN7rocprim17ROCPRIM_400000_NS6detail17trampoline_kernelINS0_14default_configENS1_35radix_sort_onesweep_config_selectorIjN6thrust23THRUST_200600_302600_NS5tupleIffNS6_9null_typeES8_S8_S8_S8_S8_S8_S8_EEEEZZNS1_29radix_sort_onesweep_iterationIS3_Lb0ENS6_6detail15normal_iteratorINS6_10device_ptrIjEEEESG_NSD_INSE_IS9_EEEESI_jNS0_19identity_decomposerENS1_16block_id_wrapperIjLb1EEEEE10hipError_tT1_PNSt15iterator_traitsISN_E10value_typeET2_T3_PNSO_IST_E10value_typeET4_T5_PSY_SZ_PNS1_23onesweep_lookback_stateEbbT6_jjT7_P12ihipStream_tbENKUlT_T0_SN_SS_E_clISG_PjSI_PS9_EEDaS16_S17_SN_SS_EUlS16_E_NS1_11comp_targetILNS1_3genE3ELNS1_11target_archE908ELNS1_3gpuE7ELNS1_3repE0EEENS1_47radix_sort_onesweep_sort_config_static_selectorELNS0_4arch9wavefront6targetE0EEEvSN_.uses_vcc, 0
	.set _ZN7rocprim17ROCPRIM_400000_NS6detail17trampoline_kernelINS0_14default_configENS1_35radix_sort_onesweep_config_selectorIjN6thrust23THRUST_200600_302600_NS5tupleIffNS6_9null_typeES8_S8_S8_S8_S8_S8_S8_EEEEZZNS1_29radix_sort_onesweep_iterationIS3_Lb0ENS6_6detail15normal_iteratorINS6_10device_ptrIjEEEESG_NSD_INSE_IS9_EEEESI_jNS0_19identity_decomposerENS1_16block_id_wrapperIjLb1EEEEE10hipError_tT1_PNSt15iterator_traitsISN_E10value_typeET2_T3_PNSO_IST_E10value_typeET4_T5_PSY_SZ_PNS1_23onesweep_lookback_stateEbbT6_jjT7_P12ihipStream_tbENKUlT_T0_SN_SS_E_clISG_PjSI_PS9_EEDaS16_S17_SN_SS_EUlS16_E_NS1_11comp_targetILNS1_3genE3ELNS1_11target_archE908ELNS1_3gpuE7ELNS1_3repE0EEENS1_47radix_sort_onesweep_sort_config_static_selectorELNS0_4arch9wavefront6targetE0EEEvSN_.uses_flat_scratch, 0
	.set _ZN7rocprim17ROCPRIM_400000_NS6detail17trampoline_kernelINS0_14default_configENS1_35radix_sort_onesweep_config_selectorIjN6thrust23THRUST_200600_302600_NS5tupleIffNS6_9null_typeES8_S8_S8_S8_S8_S8_S8_EEEEZZNS1_29radix_sort_onesweep_iterationIS3_Lb0ENS6_6detail15normal_iteratorINS6_10device_ptrIjEEEESG_NSD_INSE_IS9_EEEESI_jNS0_19identity_decomposerENS1_16block_id_wrapperIjLb1EEEEE10hipError_tT1_PNSt15iterator_traitsISN_E10value_typeET2_T3_PNSO_IST_E10value_typeET4_T5_PSY_SZ_PNS1_23onesweep_lookback_stateEbbT6_jjT7_P12ihipStream_tbENKUlT_T0_SN_SS_E_clISG_PjSI_PS9_EEDaS16_S17_SN_SS_EUlS16_E_NS1_11comp_targetILNS1_3genE3ELNS1_11target_archE908ELNS1_3gpuE7ELNS1_3repE0EEENS1_47radix_sort_onesweep_sort_config_static_selectorELNS0_4arch9wavefront6targetE0EEEvSN_.has_dyn_sized_stack, 0
	.set _ZN7rocprim17ROCPRIM_400000_NS6detail17trampoline_kernelINS0_14default_configENS1_35radix_sort_onesweep_config_selectorIjN6thrust23THRUST_200600_302600_NS5tupleIffNS6_9null_typeES8_S8_S8_S8_S8_S8_S8_EEEEZZNS1_29radix_sort_onesweep_iterationIS3_Lb0ENS6_6detail15normal_iteratorINS6_10device_ptrIjEEEESG_NSD_INSE_IS9_EEEESI_jNS0_19identity_decomposerENS1_16block_id_wrapperIjLb1EEEEE10hipError_tT1_PNSt15iterator_traitsISN_E10value_typeET2_T3_PNSO_IST_E10value_typeET4_T5_PSY_SZ_PNS1_23onesweep_lookback_stateEbbT6_jjT7_P12ihipStream_tbENKUlT_T0_SN_SS_E_clISG_PjSI_PS9_EEDaS16_S17_SN_SS_EUlS16_E_NS1_11comp_targetILNS1_3genE3ELNS1_11target_archE908ELNS1_3gpuE7ELNS1_3repE0EEENS1_47radix_sort_onesweep_sort_config_static_selectorELNS0_4arch9wavefront6targetE0EEEvSN_.has_recursion, 0
	.set _ZN7rocprim17ROCPRIM_400000_NS6detail17trampoline_kernelINS0_14default_configENS1_35radix_sort_onesweep_config_selectorIjN6thrust23THRUST_200600_302600_NS5tupleIffNS6_9null_typeES8_S8_S8_S8_S8_S8_S8_EEEEZZNS1_29radix_sort_onesweep_iterationIS3_Lb0ENS6_6detail15normal_iteratorINS6_10device_ptrIjEEEESG_NSD_INSE_IS9_EEEESI_jNS0_19identity_decomposerENS1_16block_id_wrapperIjLb1EEEEE10hipError_tT1_PNSt15iterator_traitsISN_E10value_typeET2_T3_PNSO_IST_E10value_typeET4_T5_PSY_SZ_PNS1_23onesweep_lookback_stateEbbT6_jjT7_P12ihipStream_tbENKUlT_T0_SN_SS_E_clISG_PjSI_PS9_EEDaS16_S17_SN_SS_EUlS16_E_NS1_11comp_targetILNS1_3genE3ELNS1_11target_archE908ELNS1_3gpuE7ELNS1_3repE0EEENS1_47radix_sort_onesweep_sort_config_static_selectorELNS0_4arch9wavefront6targetE0EEEvSN_.has_indirect_call, 0
	.section	.AMDGPU.csdata,"",@progbits
; Kernel info:
; codeLenInByte = 0
; TotalNumSgprs: 0
; NumVgprs: 0
; ScratchSize: 0
; MemoryBound: 0
; FloatMode: 240
; IeeeMode: 1
; LDSByteSize: 0 bytes/workgroup (compile time only)
; SGPRBlocks: 0
; VGPRBlocks: 0
; NumSGPRsForWavesPerEU: 1
; NumVGPRsForWavesPerEU: 1
; NamedBarCnt: 0
; Occupancy: 16
; WaveLimiterHint : 0
; COMPUTE_PGM_RSRC2:SCRATCH_EN: 0
; COMPUTE_PGM_RSRC2:USER_SGPR: 2
; COMPUTE_PGM_RSRC2:TRAP_HANDLER: 0
; COMPUTE_PGM_RSRC2:TGID_X_EN: 1
; COMPUTE_PGM_RSRC2:TGID_Y_EN: 0
; COMPUTE_PGM_RSRC2:TGID_Z_EN: 0
; COMPUTE_PGM_RSRC2:TIDIG_COMP_CNT: 0
	.section	.text._ZN7rocprim17ROCPRIM_400000_NS6detail17trampoline_kernelINS0_14default_configENS1_35radix_sort_onesweep_config_selectorIjN6thrust23THRUST_200600_302600_NS5tupleIffNS6_9null_typeES8_S8_S8_S8_S8_S8_S8_EEEEZZNS1_29radix_sort_onesweep_iterationIS3_Lb0ENS6_6detail15normal_iteratorINS6_10device_ptrIjEEEESG_NSD_INSE_IS9_EEEESI_jNS0_19identity_decomposerENS1_16block_id_wrapperIjLb1EEEEE10hipError_tT1_PNSt15iterator_traitsISN_E10value_typeET2_T3_PNSO_IST_E10value_typeET4_T5_PSY_SZ_PNS1_23onesweep_lookback_stateEbbT6_jjT7_P12ihipStream_tbENKUlT_T0_SN_SS_E_clISG_PjSI_PS9_EEDaS16_S17_SN_SS_EUlS16_E_NS1_11comp_targetILNS1_3genE10ELNS1_11target_archE1201ELNS1_3gpuE5ELNS1_3repE0EEENS1_47radix_sort_onesweep_sort_config_static_selectorELNS0_4arch9wavefront6targetE0EEEvSN_,"axG",@progbits,_ZN7rocprim17ROCPRIM_400000_NS6detail17trampoline_kernelINS0_14default_configENS1_35radix_sort_onesweep_config_selectorIjN6thrust23THRUST_200600_302600_NS5tupleIffNS6_9null_typeES8_S8_S8_S8_S8_S8_S8_EEEEZZNS1_29radix_sort_onesweep_iterationIS3_Lb0ENS6_6detail15normal_iteratorINS6_10device_ptrIjEEEESG_NSD_INSE_IS9_EEEESI_jNS0_19identity_decomposerENS1_16block_id_wrapperIjLb1EEEEE10hipError_tT1_PNSt15iterator_traitsISN_E10value_typeET2_T3_PNSO_IST_E10value_typeET4_T5_PSY_SZ_PNS1_23onesweep_lookback_stateEbbT6_jjT7_P12ihipStream_tbENKUlT_T0_SN_SS_E_clISG_PjSI_PS9_EEDaS16_S17_SN_SS_EUlS16_E_NS1_11comp_targetILNS1_3genE10ELNS1_11target_archE1201ELNS1_3gpuE5ELNS1_3repE0EEENS1_47radix_sort_onesweep_sort_config_static_selectorELNS0_4arch9wavefront6targetE0EEEvSN_,comdat
	.protected	_ZN7rocprim17ROCPRIM_400000_NS6detail17trampoline_kernelINS0_14default_configENS1_35radix_sort_onesweep_config_selectorIjN6thrust23THRUST_200600_302600_NS5tupleIffNS6_9null_typeES8_S8_S8_S8_S8_S8_S8_EEEEZZNS1_29radix_sort_onesweep_iterationIS3_Lb0ENS6_6detail15normal_iteratorINS6_10device_ptrIjEEEESG_NSD_INSE_IS9_EEEESI_jNS0_19identity_decomposerENS1_16block_id_wrapperIjLb1EEEEE10hipError_tT1_PNSt15iterator_traitsISN_E10value_typeET2_T3_PNSO_IST_E10value_typeET4_T5_PSY_SZ_PNS1_23onesweep_lookback_stateEbbT6_jjT7_P12ihipStream_tbENKUlT_T0_SN_SS_E_clISG_PjSI_PS9_EEDaS16_S17_SN_SS_EUlS16_E_NS1_11comp_targetILNS1_3genE10ELNS1_11target_archE1201ELNS1_3gpuE5ELNS1_3repE0EEENS1_47radix_sort_onesweep_sort_config_static_selectorELNS0_4arch9wavefront6targetE0EEEvSN_ ; -- Begin function _ZN7rocprim17ROCPRIM_400000_NS6detail17trampoline_kernelINS0_14default_configENS1_35radix_sort_onesweep_config_selectorIjN6thrust23THRUST_200600_302600_NS5tupleIffNS6_9null_typeES8_S8_S8_S8_S8_S8_S8_EEEEZZNS1_29radix_sort_onesweep_iterationIS3_Lb0ENS6_6detail15normal_iteratorINS6_10device_ptrIjEEEESG_NSD_INSE_IS9_EEEESI_jNS0_19identity_decomposerENS1_16block_id_wrapperIjLb1EEEEE10hipError_tT1_PNSt15iterator_traitsISN_E10value_typeET2_T3_PNSO_IST_E10value_typeET4_T5_PSY_SZ_PNS1_23onesweep_lookback_stateEbbT6_jjT7_P12ihipStream_tbENKUlT_T0_SN_SS_E_clISG_PjSI_PS9_EEDaS16_S17_SN_SS_EUlS16_E_NS1_11comp_targetILNS1_3genE10ELNS1_11target_archE1201ELNS1_3gpuE5ELNS1_3repE0EEENS1_47radix_sort_onesweep_sort_config_static_selectorELNS0_4arch9wavefront6targetE0EEEvSN_
	.globl	_ZN7rocprim17ROCPRIM_400000_NS6detail17trampoline_kernelINS0_14default_configENS1_35radix_sort_onesweep_config_selectorIjN6thrust23THRUST_200600_302600_NS5tupleIffNS6_9null_typeES8_S8_S8_S8_S8_S8_S8_EEEEZZNS1_29radix_sort_onesweep_iterationIS3_Lb0ENS6_6detail15normal_iteratorINS6_10device_ptrIjEEEESG_NSD_INSE_IS9_EEEESI_jNS0_19identity_decomposerENS1_16block_id_wrapperIjLb1EEEEE10hipError_tT1_PNSt15iterator_traitsISN_E10value_typeET2_T3_PNSO_IST_E10value_typeET4_T5_PSY_SZ_PNS1_23onesweep_lookback_stateEbbT6_jjT7_P12ihipStream_tbENKUlT_T0_SN_SS_E_clISG_PjSI_PS9_EEDaS16_S17_SN_SS_EUlS16_E_NS1_11comp_targetILNS1_3genE10ELNS1_11target_archE1201ELNS1_3gpuE5ELNS1_3repE0EEENS1_47radix_sort_onesweep_sort_config_static_selectorELNS0_4arch9wavefront6targetE0EEEvSN_
	.p2align	8
	.type	_ZN7rocprim17ROCPRIM_400000_NS6detail17trampoline_kernelINS0_14default_configENS1_35radix_sort_onesweep_config_selectorIjN6thrust23THRUST_200600_302600_NS5tupleIffNS6_9null_typeES8_S8_S8_S8_S8_S8_S8_EEEEZZNS1_29radix_sort_onesweep_iterationIS3_Lb0ENS6_6detail15normal_iteratorINS6_10device_ptrIjEEEESG_NSD_INSE_IS9_EEEESI_jNS0_19identity_decomposerENS1_16block_id_wrapperIjLb1EEEEE10hipError_tT1_PNSt15iterator_traitsISN_E10value_typeET2_T3_PNSO_IST_E10value_typeET4_T5_PSY_SZ_PNS1_23onesweep_lookback_stateEbbT6_jjT7_P12ihipStream_tbENKUlT_T0_SN_SS_E_clISG_PjSI_PS9_EEDaS16_S17_SN_SS_EUlS16_E_NS1_11comp_targetILNS1_3genE10ELNS1_11target_archE1201ELNS1_3gpuE5ELNS1_3repE0EEENS1_47radix_sort_onesweep_sort_config_static_selectorELNS0_4arch9wavefront6targetE0EEEvSN_,@function
_ZN7rocprim17ROCPRIM_400000_NS6detail17trampoline_kernelINS0_14default_configENS1_35radix_sort_onesweep_config_selectorIjN6thrust23THRUST_200600_302600_NS5tupleIffNS6_9null_typeES8_S8_S8_S8_S8_S8_S8_EEEEZZNS1_29radix_sort_onesweep_iterationIS3_Lb0ENS6_6detail15normal_iteratorINS6_10device_ptrIjEEEESG_NSD_INSE_IS9_EEEESI_jNS0_19identity_decomposerENS1_16block_id_wrapperIjLb1EEEEE10hipError_tT1_PNSt15iterator_traitsISN_E10value_typeET2_T3_PNSO_IST_E10value_typeET4_T5_PSY_SZ_PNS1_23onesweep_lookback_stateEbbT6_jjT7_P12ihipStream_tbENKUlT_T0_SN_SS_E_clISG_PjSI_PS9_EEDaS16_S17_SN_SS_EUlS16_E_NS1_11comp_targetILNS1_3genE10ELNS1_11target_archE1201ELNS1_3gpuE5ELNS1_3repE0EEENS1_47radix_sort_onesweep_sort_config_static_selectorELNS0_4arch9wavefront6targetE0EEEvSN_: ; @_ZN7rocprim17ROCPRIM_400000_NS6detail17trampoline_kernelINS0_14default_configENS1_35radix_sort_onesweep_config_selectorIjN6thrust23THRUST_200600_302600_NS5tupleIffNS6_9null_typeES8_S8_S8_S8_S8_S8_S8_EEEEZZNS1_29radix_sort_onesweep_iterationIS3_Lb0ENS6_6detail15normal_iteratorINS6_10device_ptrIjEEEESG_NSD_INSE_IS9_EEEESI_jNS0_19identity_decomposerENS1_16block_id_wrapperIjLb1EEEEE10hipError_tT1_PNSt15iterator_traitsISN_E10value_typeET2_T3_PNSO_IST_E10value_typeET4_T5_PSY_SZ_PNS1_23onesweep_lookback_stateEbbT6_jjT7_P12ihipStream_tbENKUlT_T0_SN_SS_E_clISG_PjSI_PS9_EEDaS16_S17_SN_SS_EUlS16_E_NS1_11comp_targetILNS1_3genE10ELNS1_11target_archE1201ELNS1_3gpuE5ELNS1_3repE0EEENS1_47radix_sort_onesweep_sort_config_static_selectorELNS0_4arch9wavefront6targetE0EEEvSN_
; %bb.0:
	.section	.rodata,"a",@progbits
	.p2align	6, 0x0
	.amdhsa_kernel _ZN7rocprim17ROCPRIM_400000_NS6detail17trampoline_kernelINS0_14default_configENS1_35radix_sort_onesweep_config_selectorIjN6thrust23THRUST_200600_302600_NS5tupleIffNS6_9null_typeES8_S8_S8_S8_S8_S8_S8_EEEEZZNS1_29radix_sort_onesweep_iterationIS3_Lb0ENS6_6detail15normal_iteratorINS6_10device_ptrIjEEEESG_NSD_INSE_IS9_EEEESI_jNS0_19identity_decomposerENS1_16block_id_wrapperIjLb1EEEEE10hipError_tT1_PNSt15iterator_traitsISN_E10value_typeET2_T3_PNSO_IST_E10value_typeET4_T5_PSY_SZ_PNS1_23onesweep_lookback_stateEbbT6_jjT7_P12ihipStream_tbENKUlT_T0_SN_SS_E_clISG_PjSI_PS9_EEDaS16_S17_SN_SS_EUlS16_E_NS1_11comp_targetILNS1_3genE10ELNS1_11target_archE1201ELNS1_3gpuE5ELNS1_3repE0EEENS1_47radix_sort_onesweep_sort_config_static_selectorELNS0_4arch9wavefront6targetE0EEEvSN_
		.amdhsa_group_segment_fixed_size 0
		.amdhsa_private_segment_fixed_size 0
		.amdhsa_kernarg_size 88
		.amdhsa_user_sgpr_count 2
		.amdhsa_user_sgpr_dispatch_ptr 0
		.amdhsa_user_sgpr_queue_ptr 0
		.amdhsa_user_sgpr_kernarg_segment_ptr 1
		.amdhsa_user_sgpr_dispatch_id 0
		.amdhsa_user_sgpr_kernarg_preload_length 0
		.amdhsa_user_sgpr_kernarg_preload_offset 0
		.amdhsa_user_sgpr_private_segment_size 0
		.amdhsa_wavefront_size32 1
		.amdhsa_uses_dynamic_stack 0
		.amdhsa_enable_private_segment 0
		.amdhsa_system_sgpr_workgroup_id_x 1
		.amdhsa_system_sgpr_workgroup_id_y 0
		.amdhsa_system_sgpr_workgroup_id_z 0
		.amdhsa_system_sgpr_workgroup_info 0
		.amdhsa_system_vgpr_workitem_id 0
		.amdhsa_next_free_vgpr 1
		.amdhsa_next_free_sgpr 1
		.amdhsa_named_barrier_count 0
		.amdhsa_reserve_vcc 0
		.amdhsa_float_round_mode_32 0
		.amdhsa_float_round_mode_16_64 0
		.amdhsa_float_denorm_mode_32 3
		.amdhsa_float_denorm_mode_16_64 3
		.amdhsa_fp16_overflow 0
		.amdhsa_memory_ordered 1
		.amdhsa_forward_progress 1
		.amdhsa_inst_pref_size 0
		.amdhsa_round_robin_scheduling 0
		.amdhsa_exception_fp_ieee_invalid_op 0
		.amdhsa_exception_fp_denorm_src 0
		.amdhsa_exception_fp_ieee_div_zero 0
		.amdhsa_exception_fp_ieee_overflow 0
		.amdhsa_exception_fp_ieee_underflow 0
		.amdhsa_exception_fp_ieee_inexact 0
		.amdhsa_exception_int_div_zero 0
	.end_amdhsa_kernel
	.section	.text._ZN7rocprim17ROCPRIM_400000_NS6detail17trampoline_kernelINS0_14default_configENS1_35radix_sort_onesweep_config_selectorIjN6thrust23THRUST_200600_302600_NS5tupleIffNS6_9null_typeES8_S8_S8_S8_S8_S8_S8_EEEEZZNS1_29radix_sort_onesweep_iterationIS3_Lb0ENS6_6detail15normal_iteratorINS6_10device_ptrIjEEEESG_NSD_INSE_IS9_EEEESI_jNS0_19identity_decomposerENS1_16block_id_wrapperIjLb1EEEEE10hipError_tT1_PNSt15iterator_traitsISN_E10value_typeET2_T3_PNSO_IST_E10value_typeET4_T5_PSY_SZ_PNS1_23onesweep_lookback_stateEbbT6_jjT7_P12ihipStream_tbENKUlT_T0_SN_SS_E_clISG_PjSI_PS9_EEDaS16_S17_SN_SS_EUlS16_E_NS1_11comp_targetILNS1_3genE10ELNS1_11target_archE1201ELNS1_3gpuE5ELNS1_3repE0EEENS1_47radix_sort_onesweep_sort_config_static_selectorELNS0_4arch9wavefront6targetE0EEEvSN_,"axG",@progbits,_ZN7rocprim17ROCPRIM_400000_NS6detail17trampoline_kernelINS0_14default_configENS1_35radix_sort_onesweep_config_selectorIjN6thrust23THRUST_200600_302600_NS5tupleIffNS6_9null_typeES8_S8_S8_S8_S8_S8_S8_EEEEZZNS1_29radix_sort_onesweep_iterationIS3_Lb0ENS6_6detail15normal_iteratorINS6_10device_ptrIjEEEESG_NSD_INSE_IS9_EEEESI_jNS0_19identity_decomposerENS1_16block_id_wrapperIjLb1EEEEE10hipError_tT1_PNSt15iterator_traitsISN_E10value_typeET2_T3_PNSO_IST_E10value_typeET4_T5_PSY_SZ_PNS1_23onesweep_lookback_stateEbbT6_jjT7_P12ihipStream_tbENKUlT_T0_SN_SS_E_clISG_PjSI_PS9_EEDaS16_S17_SN_SS_EUlS16_E_NS1_11comp_targetILNS1_3genE10ELNS1_11target_archE1201ELNS1_3gpuE5ELNS1_3repE0EEENS1_47radix_sort_onesweep_sort_config_static_selectorELNS0_4arch9wavefront6targetE0EEEvSN_,comdat
.Lfunc_end190:
	.size	_ZN7rocprim17ROCPRIM_400000_NS6detail17trampoline_kernelINS0_14default_configENS1_35radix_sort_onesweep_config_selectorIjN6thrust23THRUST_200600_302600_NS5tupleIffNS6_9null_typeES8_S8_S8_S8_S8_S8_S8_EEEEZZNS1_29radix_sort_onesweep_iterationIS3_Lb0ENS6_6detail15normal_iteratorINS6_10device_ptrIjEEEESG_NSD_INSE_IS9_EEEESI_jNS0_19identity_decomposerENS1_16block_id_wrapperIjLb1EEEEE10hipError_tT1_PNSt15iterator_traitsISN_E10value_typeET2_T3_PNSO_IST_E10value_typeET4_T5_PSY_SZ_PNS1_23onesweep_lookback_stateEbbT6_jjT7_P12ihipStream_tbENKUlT_T0_SN_SS_E_clISG_PjSI_PS9_EEDaS16_S17_SN_SS_EUlS16_E_NS1_11comp_targetILNS1_3genE10ELNS1_11target_archE1201ELNS1_3gpuE5ELNS1_3repE0EEENS1_47radix_sort_onesweep_sort_config_static_selectorELNS0_4arch9wavefront6targetE0EEEvSN_, .Lfunc_end190-_ZN7rocprim17ROCPRIM_400000_NS6detail17trampoline_kernelINS0_14default_configENS1_35radix_sort_onesweep_config_selectorIjN6thrust23THRUST_200600_302600_NS5tupleIffNS6_9null_typeES8_S8_S8_S8_S8_S8_S8_EEEEZZNS1_29radix_sort_onesweep_iterationIS3_Lb0ENS6_6detail15normal_iteratorINS6_10device_ptrIjEEEESG_NSD_INSE_IS9_EEEESI_jNS0_19identity_decomposerENS1_16block_id_wrapperIjLb1EEEEE10hipError_tT1_PNSt15iterator_traitsISN_E10value_typeET2_T3_PNSO_IST_E10value_typeET4_T5_PSY_SZ_PNS1_23onesweep_lookback_stateEbbT6_jjT7_P12ihipStream_tbENKUlT_T0_SN_SS_E_clISG_PjSI_PS9_EEDaS16_S17_SN_SS_EUlS16_E_NS1_11comp_targetILNS1_3genE10ELNS1_11target_archE1201ELNS1_3gpuE5ELNS1_3repE0EEENS1_47radix_sort_onesweep_sort_config_static_selectorELNS0_4arch9wavefront6targetE0EEEvSN_
                                        ; -- End function
	.set _ZN7rocprim17ROCPRIM_400000_NS6detail17trampoline_kernelINS0_14default_configENS1_35radix_sort_onesweep_config_selectorIjN6thrust23THRUST_200600_302600_NS5tupleIffNS6_9null_typeES8_S8_S8_S8_S8_S8_S8_EEEEZZNS1_29radix_sort_onesweep_iterationIS3_Lb0ENS6_6detail15normal_iteratorINS6_10device_ptrIjEEEESG_NSD_INSE_IS9_EEEESI_jNS0_19identity_decomposerENS1_16block_id_wrapperIjLb1EEEEE10hipError_tT1_PNSt15iterator_traitsISN_E10value_typeET2_T3_PNSO_IST_E10value_typeET4_T5_PSY_SZ_PNS1_23onesweep_lookback_stateEbbT6_jjT7_P12ihipStream_tbENKUlT_T0_SN_SS_E_clISG_PjSI_PS9_EEDaS16_S17_SN_SS_EUlS16_E_NS1_11comp_targetILNS1_3genE10ELNS1_11target_archE1201ELNS1_3gpuE5ELNS1_3repE0EEENS1_47radix_sort_onesweep_sort_config_static_selectorELNS0_4arch9wavefront6targetE0EEEvSN_.num_vgpr, 0
	.set _ZN7rocprim17ROCPRIM_400000_NS6detail17trampoline_kernelINS0_14default_configENS1_35radix_sort_onesweep_config_selectorIjN6thrust23THRUST_200600_302600_NS5tupleIffNS6_9null_typeES8_S8_S8_S8_S8_S8_S8_EEEEZZNS1_29radix_sort_onesweep_iterationIS3_Lb0ENS6_6detail15normal_iteratorINS6_10device_ptrIjEEEESG_NSD_INSE_IS9_EEEESI_jNS0_19identity_decomposerENS1_16block_id_wrapperIjLb1EEEEE10hipError_tT1_PNSt15iterator_traitsISN_E10value_typeET2_T3_PNSO_IST_E10value_typeET4_T5_PSY_SZ_PNS1_23onesweep_lookback_stateEbbT6_jjT7_P12ihipStream_tbENKUlT_T0_SN_SS_E_clISG_PjSI_PS9_EEDaS16_S17_SN_SS_EUlS16_E_NS1_11comp_targetILNS1_3genE10ELNS1_11target_archE1201ELNS1_3gpuE5ELNS1_3repE0EEENS1_47radix_sort_onesweep_sort_config_static_selectorELNS0_4arch9wavefront6targetE0EEEvSN_.num_agpr, 0
	.set _ZN7rocprim17ROCPRIM_400000_NS6detail17trampoline_kernelINS0_14default_configENS1_35radix_sort_onesweep_config_selectorIjN6thrust23THRUST_200600_302600_NS5tupleIffNS6_9null_typeES8_S8_S8_S8_S8_S8_S8_EEEEZZNS1_29radix_sort_onesweep_iterationIS3_Lb0ENS6_6detail15normal_iteratorINS6_10device_ptrIjEEEESG_NSD_INSE_IS9_EEEESI_jNS0_19identity_decomposerENS1_16block_id_wrapperIjLb1EEEEE10hipError_tT1_PNSt15iterator_traitsISN_E10value_typeET2_T3_PNSO_IST_E10value_typeET4_T5_PSY_SZ_PNS1_23onesweep_lookback_stateEbbT6_jjT7_P12ihipStream_tbENKUlT_T0_SN_SS_E_clISG_PjSI_PS9_EEDaS16_S17_SN_SS_EUlS16_E_NS1_11comp_targetILNS1_3genE10ELNS1_11target_archE1201ELNS1_3gpuE5ELNS1_3repE0EEENS1_47radix_sort_onesweep_sort_config_static_selectorELNS0_4arch9wavefront6targetE0EEEvSN_.numbered_sgpr, 0
	.set _ZN7rocprim17ROCPRIM_400000_NS6detail17trampoline_kernelINS0_14default_configENS1_35radix_sort_onesweep_config_selectorIjN6thrust23THRUST_200600_302600_NS5tupleIffNS6_9null_typeES8_S8_S8_S8_S8_S8_S8_EEEEZZNS1_29radix_sort_onesweep_iterationIS3_Lb0ENS6_6detail15normal_iteratorINS6_10device_ptrIjEEEESG_NSD_INSE_IS9_EEEESI_jNS0_19identity_decomposerENS1_16block_id_wrapperIjLb1EEEEE10hipError_tT1_PNSt15iterator_traitsISN_E10value_typeET2_T3_PNSO_IST_E10value_typeET4_T5_PSY_SZ_PNS1_23onesweep_lookback_stateEbbT6_jjT7_P12ihipStream_tbENKUlT_T0_SN_SS_E_clISG_PjSI_PS9_EEDaS16_S17_SN_SS_EUlS16_E_NS1_11comp_targetILNS1_3genE10ELNS1_11target_archE1201ELNS1_3gpuE5ELNS1_3repE0EEENS1_47radix_sort_onesweep_sort_config_static_selectorELNS0_4arch9wavefront6targetE0EEEvSN_.num_named_barrier, 0
	.set _ZN7rocprim17ROCPRIM_400000_NS6detail17trampoline_kernelINS0_14default_configENS1_35radix_sort_onesweep_config_selectorIjN6thrust23THRUST_200600_302600_NS5tupleIffNS6_9null_typeES8_S8_S8_S8_S8_S8_S8_EEEEZZNS1_29radix_sort_onesweep_iterationIS3_Lb0ENS6_6detail15normal_iteratorINS6_10device_ptrIjEEEESG_NSD_INSE_IS9_EEEESI_jNS0_19identity_decomposerENS1_16block_id_wrapperIjLb1EEEEE10hipError_tT1_PNSt15iterator_traitsISN_E10value_typeET2_T3_PNSO_IST_E10value_typeET4_T5_PSY_SZ_PNS1_23onesweep_lookback_stateEbbT6_jjT7_P12ihipStream_tbENKUlT_T0_SN_SS_E_clISG_PjSI_PS9_EEDaS16_S17_SN_SS_EUlS16_E_NS1_11comp_targetILNS1_3genE10ELNS1_11target_archE1201ELNS1_3gpuE5ELNS1_3repE0EEENS1_47radix_sort_onesweep_sort_config_static_selectorELNS0_4arch9wavefront6targetE0EEEvSN_.private_seg_size, 0
	.set _ZN7rocprim17ROCPRIM_400000_NS6detail17trampoline_kernelINS0_14default_configENS1_35radix_sort_onesweep_config_selectorIjN6thrust23THRUST_200600_302600_NS5tupleIffNS6_9null_typeES8_S8_S8_S8_S8_S8_S8_EEEEZZNS1_29radix_sort_onesweep_iterationIS3_Lb0ENS6_6detail15normal_iteratorINS6_10device_ptrIjEEEESG_NSD_INSE_IS9_EEEESI_jNS0_19identity_decomposerENS1_16block_id_wrapperIjLb1EEEEE10hipError_tT1_PNSt15iterator_traitsISN_E10value_typeET2_T3_PNSO_IST_E10value_typeET4_T5_PSY_SZ_PNS1_23onesweep_lookback_stateEbbT6_jjT7_P12ihipStream_tbENKUlT_T0_SN_SS_E_clISG_PjSI_PS9_EEDaS16_S17_SN_SS_EUlS16_E_NS1_11comp_targetILNS1_3genE10ELNS1_11target_archE1201ELNS1_3gpuE5ELNS1_3repE0EEENS1_47radix_sort_onesweep_sort_config_static_selectorELNS0_4arch9wavefront6targetE0EEEvSN_.uses_vcc, 0
	.set _ZN7rocprim17ROCPRIM_400000_NS6detail17trampoline_kernelINS0_14default_configENS1_35radix_sort_onesweep_config_selectorIjN6thrust23THRUST_200600_302600_NS5tupleIffNS6_9null_typeES8_S8_S8_S8_S8_S8_S8_EEEEZZNS1_29radix_sort_onesweep_iterationIS3_Lb0ENS6_6detail15normal_iteratorINS6_10device_ptrIjEEEESG_NSD_INSE_IS9_EEEESI_jNS0_19identity_decomposerENS1_16block_id_wrapperIjLb1EEEEE10hipError_tT1_PNSt15iterator_traitsISN_E10value_typeET2_T3_PNSO_IST_E10value_typeET4_T5_PSY_SZ_PNS1_23onesweep_lookback_stateEbbT6_jjT7_P12ihipStream_tbENKUlT_T0_SN_SS_E_clISG_PjSI_PS9_EEDaS16_S17_SN_SS_EUlS16_E_NS1_11comp_targetILNS1_3genE10ELNS1_11target_archE1201ELNS1_3gpuE5ELNS1_3repE0EEENS1_47radix_sort_onesweep_sort_config_static_selectorELNS0_4arch9wavefront6targetE0EEEvSN_.uses_flat_scratch, 0
	.set _ZN7rocprim17ROCPRIM_400000_NS6detail17trampoline_kernelINS0_14default_configENS1_35radix_sort_onesweep_config_selectorIjN6thrust23THRUST_200600_302600_NS5tupleIffNS6_9null_typeES8_S8_S8_S8_S8_S8_S8_EEEEZZNS1_29radix_sort_onesweep_iterationIS3_Lb0ENS6_6detail15normal_iteratorINS6_10device_ptrIjEEEESG_NSD_INSE_IS9_EEEESI_jNS0_19identity_decomposerENS1_16block_id_wrapperIjLb1EEEEE10hipError_tT1_PNSt15iterator_traitsISN_E10value_typeET2_T3_PNSO_IST_E10value_typeET4_T5_PSY_SZ_PNS1_23onesweep_lookback_stateEbbT6_jjT7_P12ihipStream_tbENKUlT_T0_SN_SS_E_clISG_PjSI_PS9_EEDaS16_S17_SN_SS_EUlS16_E_NS1_11comp_targetILNS1_3genE10ELNS1_11target_archE1201ELNS1_3gpuE5ELNS1_3repE0EEENS1_47radix_sort_onesweep_sort_config_static_selectorELNS0_4arch9wavefront6targetE0EEEvSN_.has_dyn_sized_stack, 0
	.set _ZN7rocprim17ROCPRIM_400000_NS6detail17trampoline_kernelINS0_14default_configENS1_35radix_sort_onesweep_config_selectorIjN6thrust23THRUST_200600_302600_NS5tupleIffNS6_9null_typeES8_S8_S8_S8_S8_S8_S8_EEEEZZNS1_29radix_sort_onesweep_iterationIS3_Lb0ENS6_6detail15normal_iteratorINS6_10device_ptrIjEEEESG_NSD_INSE_IS9_EEEESI_jNS0_19identity_decomposerENS1_16block_id_wrapperIjLb1EEEEE10hipError_tT1_PNSt15iterator_traitsISN_E10value_typeET2_T3_PNSO_IST_E10value_typeET4_T5_PSY_SZ_PNS1_23onesweep_lookback_stateEbbT6_jjT7_P12ihipStream_tbENKUlT_T0_SN_SS_E_clISG_PjSI_PS9_EEDaS16_S17_SN_SS_EUlS16_E_NS1_11comp_targetILNS1_3genE10ELNS1_11target_archE1201ELNS1_3gpuE5ELNS1_3repE0EEENS1_47radix_sort_onesweep_sort_config_static_selectorELNS0_4arch9wavefront6targetE0EEEvSN_.has_recursion, 0
	.set _ZN7rocprim17ROCPRIM_400000_NS6detail17trampoline_kernelINS0_14default_configENS1_35radix_sort_onesweep_config_selectorIjN6thrust23THRUST_200600_302600_NS5tupleIffNS6_9null_typeES8_S8_S8_S8_S8_S8_S8_EEEEZZNS1_29radix_sort_onesweep_iterationIS3_Lb0ENS6_6detail15normal_iteratorINS6_10device_ptrIjEEEESG_NSD_INSE_IS9_EEEESI_jNS0_19identity_decomposerENS1_16block_id_wrapperIjLb1EEEEE10hipError_tT1_PNSt15iterator_traitsISN_E10value_typeET2_T3_PNSO_IST_E10value_typeET4_T5_PSY_SZ_PNS1_23onesweep_lookback_stateEbbT6_jjT7_P12ihipStream_tbENKUlT_T0_SN_SS_E_clISG_PjSI_PS9_EEDaS16_S17_SN_SS_EUlS16_E_NS1_11comp_targetILNS1_3genE10ELNS1_11target_archE1201ELNS1_3gpuE5ELNS1_3repE0EEENS1_47radix_sort_onesweep_sort_config_static_selectorELNS0_4arch9wavefront6targetE0EEEvSN_.has_indirect_call, 0
	.section	.AMDGPU.csdata,"",@progbits
; Kernel info:
; codeLenInByte = 0
; TotalNumSgprs: 0
; NumVgprs: 0
; ScratchSize: 0
; MemoryBound: 0
; FloatMode: 240
; IeeeMode: 1
; LDSByteSize: 0 bytes/workgroup (compile time only)
; SGPRBlocks: 0
; VGPRBlocks: 0
; NumSGPRsForWavesPerEU: 1
; NumVGPRsForWavesPerEU: 1
; NamedBarCnt: 0
; Occupancy: 16
; WaveLimiterHint : 0
; COMPUTE_PGM_RSRC2:SCRATCH_EN: 0
; COMPUTE_PGM_RSRC2:USER_SGPR: 2
; COMPUTE_PGM_RSRC2:TRAP_HANDLER: 0
; COMPUTE_PGM_RSRC2:TGID_X_EN: 1
; COMPUTE_PGM_RSRC2:TGID_Y_EN: 0
; COMPUTE_PGM_RSRC2:TGID_Z_EN: 0
; COMPUTE_PGM_RSRC2:TIDIG_COMP_CNT: 0
	.section	.text._ZN7rocprim17ROCPRIM_400000_NS6detail17trampoline_kernelINS0_14default_configENS1_35radix_sort_onesweep_config_selectorIjN6thrust23THRUST_200600_302600_NS5tupleIffNS6_9null_typeES8_S8_S8_S8_S8_S8_S8_EEEEZZNS1_29radix_sort_onesweep_iterationIS3_Lb0ENS6_6detail15normal_iteratorINS6_10device_ptrIjEEEESG_NSD_INSE_IS9_EEEESI_jNS0_19identity_decomposerENS1_16block_id_wrapperIjLb1EEEEE10hipError_tT1_PNSt15iterator_traitsISN_E10value_typeET2_T3_PNSO_IST_E10value_typeET4_T5_PSY_SZ_PNS1_23onesweep_lookback_stateEbbT6_jjT7_P12ihipStream_tbENKUlT_T0_SN_SS_E_clISG_PjSI_PS9_EEDaS16_S17_SN_SS_EUlS16_E_NS1_11comp_targetILNS1_3genE9ELNS1_11target_archE1100ELNS1_3gpuE3ELNS1_3repE0EEENS1_47radix_sort_onesweep_sort_config_static_selectorELNS0_4arch9wavefront6targetE0EEEvSN_,"axG",@progbits,_ZN7rocprim17ROCPRIM_400000_NS6detail17trampoline_kernelINS0_14default_configENS1_35radix_sort_onesweep_config_selectorIjN6thrust23THRUST_200600_302600_NS5tupleIffNS6_9null_typeES8_S8_S8_S8_S8_S8_S8_EEEEZZNS1_29radix_sort_onesweep_iterationIS3_Lb0ENS6_6detail15normal_iteratorINS6_10device_ptrIjEEEESG_NSD_INSE_IS9_EEEESI_jNS0_19identity_decomposerENS1_16block_id_wrapperIjLb1EEEEE10hipError_tT1_PNSt15iterator_traitsISN_E10value_typeET2_T3_PNSO_IST_E10value_typeET4_T5_PSY_SZ_PNS1_23onesweep_lookback_stateEbbT6_jjT7_P12ihipStream_tbENKUlT_T0_SN_SS_E_clISG_PjSI_PS9_EEDaS16_S17_SN_SS_EUlS16_E_NS1_11comp_targetILNS1_3genE9ELNS1_11target_archE1100ELNS1_3gpuE3ELNS1_3repE0EEENS1_47radix_sort_onesweep_sort_config_static_selectorELNS0_4arch9wavefront6targetE0EEEvSN_,comdat
	.protected	_ZN7rocprim17ROCPRIM_400000_NS6detail17trampoline_kernelINS0_14default_configENS1_35radix_sort_onesweep_config_selectorIjN6thrust23THRUST_200600_302600_NS5tupleIffNS6_9null_typeES8_S8_S8_S8_S8_S8_S8_EEEEZZNS1_29radix_sort_onesweep_iterationIS3_Lb0ENS6_6detail15normal_iteratorINS6_10device_ptrIjEEEESG_NSD_INSE_IS9_EEEESI_jNS0_19identity_decomposerENS1_16block_id_wrapperIjLb1EEEEE10hipError_tT1_PNSt15iterator_traitsISN_E10value_typeET2_T3_PNSO_IST_E10value_typeET4_T5_PSY_SZ_PNS1_23onesweep_lookback_stateEbbT6_jjT7_P12ihipStream_tbENKUlT_T0_SN_SS_E_clISG_PjSI_PS9_EEDaS16_S17_SN_SS_EUlS16_E_NS1_11comp_targetILNS1_3genE9ELNS1_11target_archE1100ELNS1_3gpuE3ELNS1_3repE0EEENS1_47radix_sort_onesweep_sort_config_static_selectorELNS0_4arch9wavefront6targetE0EEEvSN_ ; -- Begin function _ZN7rocprim17ROCPRIM_400000_NS6detail17trampoline_kernelINS0_14default_configENS1_35radix_sort_onesweep_config_selectorIjN6thrust23THRUST_200600_302600_NS5tupleIffNS6_9null_typeES8_S8_S8_S8_S8_S8_S8_EEEEZZNS1_29radix_sort_onesweep_iterationIS3_Lb0ENS6_6detail15normal_iteratorINS6_10device_ptrIjEEEESG_NSD_INSE_IS9_EEEESI_jNS0_19identity_decomposerENS1_16block_id_wrapperIjLb1EEEEE10hipError_tT1_PNSt15iterator_traitsISN_E10value_typeET2_T3_PNSO_IST_E10value_typeET4_T5_PSY_SZ_PNS1_23onesweep_lookback_stateEbbT6_jjT7_P12ihipStream_tbENKUlT_T0_SN_SS_E_clISG_PjSI_PS9_EEDaS16_S17_SN_SS_EUlS16_E_NS1_11comp_targetILNS1_3genE9ELNS1_11target_archE1100ELNS1_3gpuE3ELNS1_3repE0EEENS1_47radix_sort_onesweep_sort_config_static_selectorELNS0_4arch9wavefront6targetE0EEEvSN_
	.globl	_ZN7rocprim17ROCPRIM_400000_NS6detail17trampoline_kernelINS0_14default_configENS1_35radix_sort_onesweep_config_selectorIjN6thrust23THRUST_200600_302600_NS5tupleIffNS6_9null_typeES8_S8_S8_S8_S8_S8_S8_EEEEZZNS1_29radix_sort_onesweep_iterationIS3_Lb0ENS6_6detail15normal_iteratorINS6_10device_ptrIjEEEESG_NSD_INSE_IS9_EEEESI_jNS0_19identity_decomposerENS1_16block_id_wrapperIjLb1EEEEE10hipError_tT1_PNSt15iterator_traitsISN_E10value_typeET2_T3_PNSO_IST_E10value_typeET4_T5_PSY_SZ_PNS1_23onesweep_lookback_stateEbbT6_jjT7_P12ihipStream_tbENKUlT_T0_SN_SS_E_clISG_PjSI_PS9_EEDaS16_S17_SN_SS_EUlS16_E_NS1_11comp_targetILNS1_3genE9ELNS1_11target_archE1100ELNS1_3gpuE3ELNS1_3repE0EEENS1_47radix_sort_onesweep_sort_config_static_selectorELNS0_4arch9wavefront6targetE0EEEvSN_
	.p2align	8
	.type	_ZN7rocprim17ROCPRIM_400000_NS6detail17trampoline_kernelINS0_14default_configENS1_35radix_sort_onesweep_config_selectorIjN6thrust23THRUST_200600_302600_NS5tupleIffNS6_9null_typeES8_S8_S8_S8_S8_S8_S8_EEEEZZNS1_29radix_sort_onesweep_iterationIS3_Lb0ENS6_6detail15normal_iteratorINS6_10device_ptrIjEEEESG_NSD_INSE_IS9_EEEESI_jNS0_19identity_decomposerENS1_16block_id_wrapperIjLb1EEEEE10hipError_tT1_PNSt15iterator_traitsISN_E10value_typeET2_T3_PNSO_IST_E10value_typeET4_T5_PSY_SZ_PNS1_23onesweep_lookback_stateEbbT6_jjT7_P12ihipStream_tbENKUlT_T0_SN_SS_E_clISG_PjSI_PS9_EEDaS16_S17_SN_SS_EUlS16_E_NS1_11comp_targetILNS1_3genE9ELNS1_11target_archE1100ELNS1_3gpuE3ELNS1_3repE0EEENS1_47radix_sort_onesweep_sort_config_static_selectorELNS0_4arch9wavefront6targetE0EEEvSN_,@function
_ZN7rocprim17ROCPRIM_400000_NS6detail17trampoline_kernelINS0_14default_configENS1_35radix_sort_onesweep_config_selectorIjN6thrust23THRUST_200600_302600_NS5tupleIffNS6_9null_typeES8_S8_S8_S8_S8_S8_S8_EEEEZZNS1_29radix_sort_onesweep_iterationIS3_Lb0ENS6_6detail15normal_iteratorINS6_10device_ptrIjEEEESG_NSD_INSE_IS9_EEEESI_jNS0_19identity_decomposerENS1_16block_id_wrapperIjLb1EEEEE10hipError_tT1_PNSt15iterator_traitsISN_E10value_typeET2_T3_PNSO_IST_E10value_typeET4_T5_PSY_SZ_PNS1_23onesweep_lookback_stateEbbT6_jjT7_P12ihipStream_tbENKUlT_T0_SN_SS_E_clISG_PjSI_PS9_EEDaS16_S17_SN_SS_EUlS16_E_NS1_11comp_targetILNS1_3genE9ELNS1_11target_archE1100ELNS1_3gpuE3ELNS1_3repE0EEENS1_47radix_sort_onesweep_sort_config_static_selectorELNS0_4arch9wavefront6targetE0EEEvSN_: ; @_ZN7rocprim17ROCPRIM_400000_NS6detail17trampoline_kernelINS0_14default_configENS1_35radix_sort_onesweep_config_selectorIjN6thrust23THRUST_200600_302600_NS5tupleIffNS6_9null_typeES8_S8_S8_S8_S8_S8_S8_EEEEZZNS1_29radix_sort_onesweep_iterationIS3_Lb0ENS6_6detail15normal_iteratorINS6_10device_ptrIjEEEESG_NSD_INSE_IS9_EEEESI_jNS0_19identity_decomposerENS1_16block_id_wrapperIjLb1EEEEE10hipError_tT1_PNSt15iterator_traitsISN_E10value_typeET2_T3_PNSO_IST_E10value_typeET4_T5_PSY_SZ_PNS1_23onesweep_lookback_stateEbbT6_jjT7_P12ihipStream_tbENKUlT_T0_SN_SS_E_clISG_PjSI_PS9_EEDaS16_S17_SN_SS_EUlS16_E_NS1_11comp_targetILNS1_3genE9ELNS1_11target_archE1100ELNS1_3gpuE3ELNS1_3repE0EEENS1_47radix_sort_onesweep_sort_config_static_selectorELNS0_4arch9wavefront6targetE0EEEvSN_
; %bb.0:
	.section	.rodata,"a",@progbits
	.p2align	6, 0x0
	.amdhsa_kernel _ZN7rocprim17ROCPRIM_400000_NS6detail17trampoline_kernelINS0_14default_configENS1_35radix_sort_onesweep_config_selectorIjN6thrust23THRUST_200600_302600_NS5tupleIffNS6_9null_typeES8_S8_S8_S8_S8_S8_S8_EEEEZZNS1_29radix_sort_onesweep_iterationIS3_Lb0ENS6_6detail15normal_iteratorINS6_10device_ptrIjEEEESG_NSD_INSE_IS9_EEEESI_jNS0_19identity_decomposerENS1_16block_id_wrapperIjLb1EEEEE10hipError_tT1_PNSt15iterator_traitsISN_E10value_typeET2_T3_PNSO_IST_E10value_typeET4_T5_PSY_SZ_PNS1_23onesweep_lookback_stateEbbT6_jjT7_P12ihipStream_tbENKUlT_T0_SN_SS_E_clISG_PjSI_PS9_EEDaS16_S17_SN_SS_EUlS16_E_NS1_11comp_targetILNS1_3genE9ELNS1_11target_archE1100ELNS1_3gpuE3ELNS1_3repE0EEENS1_47radix_sort_onesweep_sort_config_static_selectorELNS0_4arch9wavefront6targetE0EEEvSN_
		.amdhsa_group_segment_fixed_size 0
		.amdhsa_private_segment_fixed_size 0
		.amdhsa_kernarg_size 88
		.amdhsa_user_sgpr_count 2
		.amdhsa_user_sgpr_dispatch_ptr 0
		.amdhsa_user_sgpr_queue_ptr 0
		.amdhsa_user_sgpr_kernarg_segment_ptr 1
		.amdhsa_user_sgpr_dispatch_id 0
		.amdhsa_user_sgpr_kernarg_preload_length 0
		.amdhsa_user_sgpr_kernarg_preload_offset 0
		.amdhsa_user_sgpr_private_segment_size 0
		.amdhsa_wavefront_size32 1
		.amdhsa_uses_dynamic_stack 0
		.amdhsa_enable_private_segment 0
		.amdhsa_system_sgpr_workgroup_id_x 1
		.amdhsa_system_sgpr_workgroup_id_y 0
		.amdhsa_system_sgpr_workgroup_id_z 0
		.amdhsa_system_sgpr_workgroup_info 0
		.amdhsa_system_vgpr_workitem_id 0
		.amdhsa_next_free_vgpr 1
		.amdhsa_next_free_sgpr 1
		.amdhsa_named_barrier_count 0
		.amdhsa_reserve_vcc 0
		.amdhsa_float_round_mode_32 0
		.amdhsa_float_round_mode_16_64 0
		.amdhsa_float_denorm_mode_32 3
		.amdhsa_float_denorm_mode_16_64 3
		.amdhsa_fp16_overflow 0
		.amdhsa_memory_ordered 1
		.amdhsa_forward_progress 1
		.amdhsa_inst_pref_size 0
		.amdhsa_round_robin_scheduling 0
		.amdhsa_exception_fp_ieee_invalid_op 0
		.amdhsa_exception_fp_denorm_src 0
		.amdhsa_exception_fp_ieee_div_zero 0
		.amdhsa_exception_fp_ieee_overflow 0
		.amdhsa_exception_fp_ieee_underflow 0
		.amdhsa_exception_fp_ieee_inexact 0
		.amdhsa_exception_int_div_zero 0
	.end_amdhsa_kernel
	.section	.text._ZN7rocprim17ROCPRIM_400000_NS6detail17trampoline_kernelINS0_14default_configENS1_35radix_sort_onesweep_config_selectorIjN6thrust23THRUST_200600_302600_NS5tupleIffNS6_9null_typeES8_S8_S8_S8_S8_S8_S8_EEEEZZNS1_29radix_sort_onesweep_iterationIS3_Lb0ENS6_6detail15normal_iteratorINS6_10device_ptrIjEEEESG_NSD_INSE_IS9_EEEESI_jNS0_19identity_decomposerENS1_16block_id_wrapperIjLb1EEEEE10hipError_tT1_PNSt15iterator_traitsISN_E10value_typeET2_T3_PNSO_IST_E10value_typeET4_T5_PSY_SZ_PNS1_23onesweep_lookback_stateEbbT6_jjT7_P12ihipStream_tbENKUlT_T0_SN_SS_E_clISG_PjSI_PS9_EEDaS16_S17_SN_SS_EUlS16_E_NS1_11comp_targetILNS1_3genE9ELNS1_11target_archE1100ELNS1_3gpuE3ELNS1_3repE0EEENS1_47radix_sort_onesweep_sort_config_static_selectorELNS0_4arch9wavefront6targetE0EEEvSN_,"axG",@progbits,_ZN7rocprim17ROCPRIM_400000_NS6detail17trampoline_kernelINS0_14default_configENS1_35radix_sort_onesweep_config_selectorIjN6thrust23THRUST_200600_302600_NS5tupleIffNS6_9null_typeES8_S8_S8_S8_S8_S8_S8_EEEEZZNS1_29radix_sort_onesweep_iterationIS3_Lb0ENS6_6detail15normal_iteratorINS6_10device_ptrIjEEEESG_NSD_INSE_IS9_EEEESI_jNS0_19identity_decomposerENS1_16block_id_wrapperIjLb1EEEEE10hipError_tT1_PNSt15iterator_traitsISN_E10value_typeET2_T3_PNSO_IST_E10value_typeET4_T5_PSY_SZ_PNS1_23onesweep_lookback_stateEbbT6_jjT7_P12ihipStream_tbENKUlT_T0_SN_SS_E_clISG_PjSI_PS9_EEDaS16_S17_SN_SS_EUlS16_E_NS1_11comp_targetILNS1_3genE9ELNS1_11target_archE1100ELNS1_3gpuE3ELNS1_3repE0EEENS1_47radix_sort_onesweep_sort_config_static_selectorELNS0_4arch9wavefront6targetE0EEEvSN_,comdat
.Lfunc_end191:
	.size	_ZN7rocprim17ROCPRIM_400000_NS6detail17trampoline_kernelINS0_14default_configENS1_35radix_sort_onesweep_config_selectorIjN6thrust23THRUST_200600_302600_NS5tupleIffNS6_9null_typeES8_S8_S8_S8_S8_S8_S8_EEEEZZNS1_29radix_sort_onesweep_iterationIS3_Lb0ENS6_6detail15normal_iteratorINS6_10device_ptrIjEEEESG_NSD_INSE_IS9_EEEESI_jNS0_19identity_decomposerENS1_16block_id_wrapperIjLb1EEEEE10hipError_tT1_PNSt15iterator_traitsISN_E10value_typeET2_T3_PNSO_IST_E10value_typeET4_T5_PSY_SZ_PNS1_23onesweep_lookback_stateEbbT6_jjT7_P12ihipStream_tbENKUlT_T0_SN_SS_E_clISG_PjSI_PS9_EEDaS16_S17_SN_SS_EUlS16_E_NS1_11comp_targetILNS1_3genE9ELNS1_11target_archE1100ELNS1_3gpuE3ELNS1_3repE0EEENS1_47radix_sort_onesweep_sort_config_static_selectorELNS0_4arch9wavefront6targetE0EEEvSN_, .Lfunc_end191-_ZN7rocprim17ROCPRIM_400000_NS6detail17trampoline_kernelINS0_14default_configENS1_35radix_sort_onesweep_config_selectorIjN6thrust23THRUST_200600_302600_NS5tupleIffNS6_9null_typeES8_S8_S8_S8_S8_S8_S8_EEEEZZNS1_29radix_sort_onesweep_iterationIS3_Lb0ENS6_6detail15normal_iteratorINS6_10device_ptrIjEEEESG_NSD_INSE_IS9_EEEESI_jNS0_19identity_decomposerENS1_16block_id_wrapperIjLb1EEEEE10hipError_tT1_PNSt15iterator_traitsISN_E10value_typeET2_T3_PNSO_IST_E10value_typeET4_T5_PSY_SZ_PNS1_23onesweep_lookback_stateEbbT6_jjT7_P12ihipStream_tbENKUlT_T0_SN_SS_E_clISG_PjSI_PS9_EEDaS16_S17_SN_SS_EUlS16_E_NS1_11comp_targetILNS1_3genE9ELNS1_11target_archE1100ELNS1_3gpuE3ELNS1_3repE0EEENS1_47radix_sort_onesweep_sort_config_static_selectorELNS0_4arch9wavefront6targetE0EEEvSN_
                                        ; -- End function
	.set _ZN7rocprim17ROCPRIM_400000_NS6detail17trampoline_kernelINS0_14default_configENS1_35radix_sort_onesweep_config_selectorIjN6thrust23THRUST_200600_302600_NS5tupleIffNS6_9null_typeES8_S8_S8_S8_S8_S8_S8_EEEEZZNS1_29radix_sort_onesweep_iterationIS3_Lb0ENS6_6detail15normal_iteratorINS6_10device_ptrIjEEEESG_NSD_INSE_IS9_EEEESI_jNS0_19identity_decomposerENS1_16block_id_wrapperIjLb1EEEEE10hipError_tT1_PNSt15iterator_traitsISN_E10value_typeET2_T3_PNSO_IST_E10value_typeET4_T5_PSY_SZ_PNS1_23onesweep_lookback_stateEbbT6_jjT7_P12ihipStream_tbENKUlT_T0_SN_SS_E_clISG_PjSI_PS9_EEDaS16_S17_SN_SS_EUlS16_E_NS1_11comp_targetILNS1_3genE9ELNS1_11target_archE1100ELNS1_3gpuE3ELNS1_3repE0EEENS1_47radix_sort_onesweep_sort_config_static_selectorELNS0_4arch9wavefront6targetE0EEEvSN_.num_vgpr, 0
	.set _ZN7rocprim17ROCPRIM_400000_NS6detail17trampoline_kernelINS0_14default_configENS1_35radix_sort_onesweep_config_selectorIjN6thrust23THRUST_200600_302600_NS5tupleIffNS6_9null_typeES8_S8_S8_S8_S8_S8_S8_EEEEZZNS1_29radix_sort_onesweep_iterationIS3_Lb0ENS6_6detail15normal_iteratorINS6_10device_ptrIjEEEESG_NSD_INSE_IS9_EEEESI_jNS0_19identity_decomposerENS1_16block_id_wrapperIjLb1EEEEE10hipError_tT1_PNSt15iterator_traitsISN_E10value_typeET2_T3_PNSO_IST_E10value_typeET4_T5_PSY_SZ_PNS1_23onesweep_lookback_stateEbbT6_jjT7_P12ihipStream_tbENKUlT_T0_SN_SS_E_clISG_PjSI_PS9_EEDaS16_S17_SN_SS_EUlS16_E_NS1_11comp_targetILNS1_3genE9ELNS1_11target_archE1100ELNS1_3gpuE3ELNS1_3repE0EEENS1_47radix_sort_onesweep_sort_config_static_selectorELNS0_4arch9wavefront6targetE0EEEvSN_.num_agpr, 0
	.set _ZN7rocprim17ROCPRIM_400000_NS6detail17trampoline_kernelINS0_14default_configENS1_35radix_sort_onesweep_config_selectorIjN6thrust23THRUST_200600_302600_NS5tupleIffNS6_9null_typeES8_S8_S8_S8_S8_S8_S8_EEEEZZNS1_29radix_sort_onesweep_iterationIS3_Lb0ENS6_6detail15normal_iteratorINS6_10device_ptrIjEEEESG_NSD_INSE_IS9_EEEESI_jNS0_19identity_decomposerENS1_16block_id_wrapperIjLb1EEEEE10hipError_tT1_PNSt15iterator_traitsISN_E10value_typeET2_T3_PNSO_IST_E10value_typeET4_T5_PSY_SZ_PNS1_23onesweep_lookback_stateEbbT6_jjT7_P12ihipStream_tbENKUlT_T0_SN_SS_E_clISG_PjSI_PS9_EEDaS16_S17_SN_SS_EUlS16_E_NS1_11comp_targetILNS1_3genE9ELNS1_11target_archE1100ELNS1_3gpuE3ELNS1_3repE0EEENS1_47radix_sort_onesweep_sort_config_static_selectorELNS0_4arch9wavefront6targetE0EEEvSN_.numbered_sgpr, 0
	.set _ZN7rocprim17ROCPRIM_400000_NS6detail17trampoline_kernelINS0_14default_configENS1_35radix_sort_onesweep_config_selectorIjN6thrust23THRUST_200600_302600_NS5tupleIffNS6_9null_typeES8_S8_S8_S8_S8_S8_S8_EEEEZZNS1_29radix_sort_onesweep_iterationIS3_Lb0ENS6_6detail15normal_iteratorINS6_10device_ptrIjEEEESG_NSD_INSE_IS9_EEEESI_jNS0_19identity_decomposerENS1_16block_id_wrapperIjLb1EEEEE10hipError_tT1_PNSt15iterator_traitsISN_E10value_typeET2_T3_PNSO_IST_E10value_typeET4_T5_PSY_SZ_PNS1_23onesweep_lookback_stateEbbT6_jjT7_P12ihipStream_tbENKUlT_T0_SN_SS_E_clISG_PjSI_PS9_EEDaS16_S17_SN_SS_EUlS16_E_NS1_11comp_targetILNS1_3genE9ELNS1_11target_archE1100ELNS1_3gpuE3ELNS1_3repE0EEENS1_47radix_sort_onesweep_sort_config_static_selectorELNS0_4arch9wavefront6targetE0EEEvSN_.num_named_barrier, 0
	.set _ZN7rocprim17ROCPRIM_400000_NS6detail17trampoline_kernelINS0_14default_configENS1_35radix_sort_onesweep_config_selectorIjN6thrust23THRUST_200600_302600_NS5tupleIffNS6_9null_typeES8_S8_S8_S8_S8_S8_S8_EEEEZZNS1_29radix_sort_onesweep_iterationIS3_Lb0ENS6_6detail15normal_iteratorINS6_10device_ptrIjEEEESG_NSD_INSE_IS9_EEEESI_jNS0_19identity_decomposerENS1_16block_id_wrapperIjLb1EEEEE10hipError_tT1_PNSt15iterator_traitsISN_E10value_typeET2_T3_PNSO_IST_E10value_typeET4_T5_PSY_SZ_PNS1_23onesweep_lookback_stateEbbT6_jjT7_P12ihipStream_tbENKUlT_T0_SN_SS_E_clISG_PjSI_PS9_EEDaS16_S17_SN_SS_EUlS16_E_NS1_11comp_targetILNS1_3genE9ELNS1_11target_archE1100ELNS1_3gpuE3ELNS1_3repE0EEENS1_47radix_sort_onesweep_sort_config_static_selectorELNS0_4arch9wavefront6targetE0EEEvSN_.private_seg_size, 0
	.set _ZN7rocprim17ROCPRIM_400000_NS6detail17trampoline_kernelINS0_14default_configENS1_35radix_sort_onesweep_config_selectorIjN6thrust23THRUST_200600_302600_NS5tupleIffNS6_9null_typeES8_S8_S8_S8_S8_S8_S8_EEEEZZNS1_29radix_sort_onesweep_iterationIS3_Lb0ENS6_6detail15normal_iteratorINS6_10device_ptrIjEEEESG_NSD_INSE_IS9_EEEESI_jNS0_19identity_decomposerENS1_16block_id_wrapperIjLb1EEEEE10hipError_tT1_PNSt15iterator_traitsISN_E10value_typeET2_T3_PNSO_IST_E10value_typeET4_T5_PSY_SZ_PNS1_23onesweep_lookback_stateEbbT6_jjT7_P12ihipStream_tbENKUlT_T0_SN_SS_E_clISG_PjSI_PS9_EEDaS16_S17_SN_SS_EUlS16_E_NS1_11comp_targetILNS1_3genE9ELNS1_11target_archE1100ELNS1_3gpuE3ELNS1_3repE0EEENS1_47radix_sort_onesweep_sort_config_static_selectorELNS0_4arch9wavefront6targetE0EEEvSN_.uses_vcc, 0
	.set _ZN7rocprim17ROCPRIM_400000_NS6detail17trampoline_kernelINS0_14default_configENS1_35radix_sort_onesweep_config_selectorIjN6thrust23THRUST_200600_302600_NS5tupleIffNS6_9null_typeES8_S8_S8_S8_S8_S8_S8_EEEEZZNS1_29radix_sort_onesweep_iterationIS3_Lb0ENS6_6detail15normal_iteratorINS6_10device_ptrIjEEEESG_NSD_INSE_IS9_EEEESI_jNS0_19identity_decomposerENS1_16block_id_wrapperIjLb1EEEEE10hipError_tT1_PNSt15iterator_traitsISN_E10value_typeET2_T3_PNSO_IST_E10value_typeET4_T5_PSY_SZ_PNS1_23onesweep_lookback_stateEbbT6_jjT7_P12ihipStream_tbENKUlT_T0_SN_SS_E_clISG_PjSI_PS9_EEDaS16_S17_SN_SS_EUlS16_E_NS1_11comp_targetILNS1_3genE9ELNS1_11target_archE1100ELNS1_3gpuE3ELNS1_3repE0EEENS1_47radix_sort_onesweep_sort_config_static_selectorELNS0_4arch9wavefront6targetE0EEEvSN_.uses_flat_scratch, 0
	.set _ZN7rocprim17ROCPRIM_400000_NS6detail17trampoline_kernelINS0_14default_configENS1_35radix_sort_onesweep_config_selectorIjN6thrust23THRUST_200600_302600_NS5tupleIffNS6_9null_typeES8_S8_S8_S8_S8_S8_S8_EEEEZZNS1_29radix_sort_onesweep_iterationIS3_Lb0ENS6_6detail15normal_iteratorINS6_10device_ptrIjEEEESG_NSD_INSE_IS9_EEEESI_jNS0_19identity_decomposerENS1_16block_id_wrapperIjLb1EEEEE10hipError_tT1_PNSt15iterator_traitsISN_E10value_typeET2_T3_PNSO_IST_E10value_typeET4_T5_PSY_SZ_PNS1_23onesweep_lookback_stateEbbT6_jjT7_P12ihipStream_tbENKUlT_T0_SN_SS_E_clISG_PjSI_PS9_EEDaS16_S17_SN_SS_EUlS16_E_NS1_11comp_targetILNS1_3genE9ELNS1_11target_archE1100ELNS1_3gpuE3ELNS1_3repE0EEENS1_47radix_sort_onesweep_sort_config_static_selectorELNS0_4arch9wavefront6targetE0EEEvSN_.has_dyn_sized_stack, 0
	.set _ZN7rocprim17ROCPRIM_400000_NS6detail17trampoline_kernelINS0_14default_configENS1_35radix_sort_onesweep_config_selectorIjN6thrust23THRUST_200600_302600_NS5tupleIffNS6_9null_typeES8_S8_S8_S8_S8_S8_S8_EEEEZZNS1_29radix_sort_onesweep_iterationIS3_Lb0ENS6_6detail15normal_iteratorINS6_10device_ptrIjEEEESG_NSD_INSE_IS9_EEEESI_jNS0_19identity_decomposerENS1_16block_id_wrapperIjLb1EEEEE10hipError_tT1_PNSt15iterator_traitsISN_E10value_typeET2_T3_PNSO_IST_E10value_typeET4_T5_PSY_SZ_PNS1_23onesweep_lookback_stateEbbT6_jjT7_P12ihipStream_tbENKUlT_T0_SN_SS_E_clISG_PjSI_PS9_EEDaS16_S17_SN_SS_EUlS16_E_NS1_11comp_targetILNS1_3genE9ELNS1_11target_archE1100ELNS1_3gpuE3ELNS1_3repE0EEENS1_47radix_sort_onesweep_sort_config_static_selectorELNS0_4arch9wavefront6targetE0EEEvSN_.has_recursion, 0
	.set _ZN7rocprim17ROCPRIM_400000_NS6detail17trampoline_kernelINS0_14default_configENS1_35radix_sort_onesweep_config_selectorIjN6thrust23THRUST_200600_302600_NS5tupleIffNS6_9null_typeES8_S8_S8_S8_S8_S8_S8_EEEEZZNS1_29radix_sort_onesweep_iterationIS3_Lb0ENS6_6detail15normal_iteratorINS6_10device_ptrIjEEEESG_NSD_INSE_IS9_EEEESI_jNS0_19identity_decomposerENS1_16block_id_wrapperIjLb1EEEEE10hipError_tT1_PNSt15iterator_traitsISN_E10value_typeET2_T3_PNSO_IST_E10value_typeET4_T5_PSY_SZ_PNS1_23onesweep_lookback_stateEbbT6_jjT7_P12ihipStream_tbENKUlT_T0_SN_SS_E_clISG_PjSI_PS9_EEDaS16_S17_SN_SS_EUlS16_E_NS1_11comp_targetILNS1_3genE9ELNS1_11target_archE1100ELNS1_3gpuE3ELNS1_3repE0EEENS1_47radix_sort_onesweep_sort_config_static_selectorELNS0_4arch9wavefront6targetE0EEEvSN_.has_indirect_call, 0
	.section	.AMDGPU.csdata,"",@progbits
; Kernel info:
; codeLenInByte = 0
; TotalNumSgprs: 0
; NumVgprs: 0
; ScratchSize: 0
; MemoryBound: 0
; FloatMode: 240
; IeeeMode: 1
; LDSByteSize: 0 bytes/workgroup (compile time only)
; SGPRBlocks: 0
; VGPRBlocks: 0
; NumSGPRsForWavesPerEU: 1
; NumVGPRsForWavesPerEU: 1
; NamedBarCnt: 0
; Occupancy: 16
; WaveLimiterHint : 0
; COMPUTE_PGM_RSRC2:SCRATCH_EN: 0
; COMPUTE_PGM_RSRC2:USER_SGPR: 2
; COMPUTE_PGM_RSRC2:TRAP_HANDLER: 0
; COMPUTE_PGM_RSRC2:TGID_X_EN: 1
; COMPUTE_PGM_RSRC2:TGID_Y_EN: 0
; COMPUTE_PGM_RSRC2:TGID_Z_EN: 0
; COMPUTE_PGM_RSRC2:TIDIG_COMP_CNT: 0
	.section	.text._ZN7rocprim17ROCPRIM_400000_NS6detail17trampoline_kernelINS0_14default_configENS1_35radix_sort_onesweep_config_selectorIjN6thrust23THRUST_200600_302600_NS5tupleIffNS6_9null_typeES8_S8_S8_S8_S8_S8_S8_EEEEZZNS1_29radix_sort_onesweep_iterationIS3_Lb0ENS6_6detail15normal_iteratorINS6_10device_ptrIjEEEESG_NSD_INSE_IS9_EEEESI_jNS0_19identity_decomposerENS1_16block_id_wrapperIjLb1EEEEE10hipError_tT1_PNSt15iterator_traitsISN_E10value_typeET2_T3_PNSO_IST_E10value_typeET4_T5_PSY_SZ_PNS1_23onesweep_lookback_stateEbbT6_jjT7_P12ihipStream_tbENKUlT_T0_SN_SS_E_clISG_PjSI_PS9_EEDaS16_S17_SN_SS_EUlS16_E_NS1_11comp_targetILNS1_3genE8ELNS1_11target_archE1030ELNS1_3gpuE2ELNS1_3repE0EEENS1_47radix_sort_onesweep_sort_config_static_selectorELNS0_4arch9wavefront6targetE0EEEvSN_,"axG",@progbits,_ZN7rocprim17ROCPRIM_400000_NS6detail17trampoline_kernelINS0_14default_configENS1_35radix_sort_onesweep_config_selectorIjN6thrust23THRUST_200600_302600_NS5tupleIffNS6_9null_typeES8_S8_S8_S8_S8_S8_S8_EEEEZZNS1_29radix_sort_onesweep_iterationIS3_Lb0ENS6_6detail15normal_iteratorINS6_10device_ptrIjEEEESG_NSD_INSE_IS9_EEEESI_jNS0_19identity_decomposerENS1_16block_id_wrapperIjLb1EEEEE10hipError_tT1_PNSt15iterator_traitsISN_E10value_typeET2_T3_PNSO_IST_E10value_typeET4_T5_PSY_SZ_PNS1_23onesweep_lookback_stateEbbT6_jjT7_P12ihipStream_tbENKUlT_T0_SN_SS_E_clISG_PjSI_PS9_EEDaS16_S17_SN_SS_EUlS16_E_NS1_11comp_targetILNS1_3genE8ELNS1_11target_archE1030ELNS1_3gpuE2ELNS1_3repE0EEENS1_47radix_sort_onesweep_sort_config_static_selectorELNS0_4arch9wavefront6targetE0EEEvSN_,comdat
	.protected	_ZN7rocprim17ROCPRIM_400000_NS6detail17trampoline_kernelINS0_14default_configENS1_35radix_sort_onesweep_config_selectorIjN6thrust23THRUST_200600_302600_NS5tupleIffNS6_9null_typeES8_S8_S8_S8_S8_S8_S8_EEEEZZNS1_29radix_sort_onesweep_iterationIS3_Lb0ENS6_6detail15normal_iteratorINS6_10device_ptrIjEEEESG_NSD_INSE_IS9_EEEESI_jNS0_19identity_decomposerENS1_16block_id_wrapperIjLb1EEEEE10hipError_tT1_PNSt15iterator_traitsISN_E10value_typeET2_T3_PNSO_IST_E10value_typeET4_T5_PSY_SZ_PNS1_23onesweep_lookback_stateEbbT6_jjT7_P12ihipStream_tbENKUlT_T0_SN_SS_E_clISG_PjSI_PS9_EEDaS16_S17_SN_SS_EUlS16_E_NS1_11comp_targetILNS1_3genE8ELNS1_11target_archE1030ELNS1_3gpuE2ELNS1_3repE0EEENS1_47radix_sort_onesweep_sort_config_static_selectorELNS0_4arch9wavefront6targetE0EEEvSN_ ; -- Begin function _ZN7rocprim17ROCPRIM_400000_NS6detail17trampoline_kernelINS0_14default_configENS1_35radix_sort_onesweep_config_selectorIjN6thrust23THRUST_200600_302600_NS5tupleIffNS6_9null_typeES8_S8_S8_S8_S8_S8_S8_EEEEZZNS1_29radix_sort_onesweep_iterationIS3_Lb0ENS6_6detail15normal_iteratorINS6_10device_ptrIjEEEESG_NSD_INSE_IS9_EEEESI_jNS0_19identity_decomposerENS1_16block_id_wrapperIjLb1EEEEE10hipError_tT1_PNSt15iterator_traitsISN_E10value_typeET2_T3_PNSO_IST_E10value_typeET4_T5_PSY_SZ_PNS1_23onesweep_lookback_stateEbbT6_jjT7_P12ihipStream_tbENKUlT_T0_SN_SS_E_clISG_PjSI_PS9_EEDaS16_S17_SN_SS_EUlS16_E_NS1_11comp_targetILNS1_3genE8ELNS1_11target_archE1030ELNS1_3gpuE2ELNS1_3repE0EEENS1_47radix_sort_onesweep_sort_config_static_selectorELNS0_4arch9wavefront6targetE0EEEvSN_
	.globl	_ZN7rocprim17ROCPRIM_400000_NS6detail17trampoline_kernelINS0_14default_configENS1_35radix_sort_onesweep_config_selectorIjN6thrust23THRUST_200600_302600_NS5tupleIffNS6_9null_typeES8_S8_S8_S8_S8_S8_S8_EEEEZZNS1_29radix_sort_onesweep_iterationIS3_Lb0ENS6_6detail15normal_iteratorINS6_10device_ptrIjEEEESG_NSD_INSE_IS9_EEEESI_jNS0_19identity_decomposerENS1_16block_id_wrapperIjLb1EEEEE10hipError_tT1_PNSt15iterator_traitsISN_E10value_typeET2_T3_PNSO_IST_E10value_typeET4_T5_PSY_SZ_PNS1_23onesweep_lookback_stateEbbT6_jjT7_P12ihipStream_tbENKUlT_T0_SN_SS_E_clISG_PjSI_PS9_EEDaS16_S17_SN_SS_EUlS16_E_NS1_11comp_targetILNS1_3genE8ELNS1_11target_archE1030ELNS1_3gpuE2ELNS1_3repE0EEENS1_47radix_sort_onesweep_sort_config_static_selectorELNS0_4arch9wavefront6targetE0EEEvSN_
	.p2align	8
	.type	_ZN7rocprim17ROCPRIM_400000_NS6detail17trampoline_kernelINS0_14default_configENS1_35radix_sort_onesweep_config_selectorIjN6thrust23THRUST_200600_302600_NS5tupleIffNS6_9null_typeES8_S8_S8_S8_S8_S8_S8_EEEEZZNS1_29radix_sort_onesweep_iterationIS3_Lb0ENS6_6detail15normal_iteratorINS6_10device_ptrIjEEEESG_NSD_INSE_IS9_EEEESI_jNS0_19identity_decomposerENS1_16block_id_wrapperIjLb1EEEEE10hipError_tT1_PNSt15iterator_traitsISN_E10value_typeET2_T3_PNSO_IST_E10value_typeET4_T5_PSY_SZ_PNS1_23onesweep_lookback_stateEbbT6_jjT7_P12ihipStream_tbENKUlT_T0_SN_SS_E_clISG_PjSI_PS9_EEDaS16_S17_SN_SS_EUlS16_E_NS1_11comp_targetILNS1_3genE8ELNS1_11target_archE1030ELNS1_3gpuE2ELNS1_3repE0EEENS1_47radix_sort_onesweep_sort_config_static_selectorELNS0_4arch9wavefront6targetE0EEEvSN_,@function
_ZN7rocprim17ROCPRIM_400000_NS6detail17trampoline_kernelINS0_14default_configENS1_35radix_sort_onesweep_config_selectorIjN6thrust23THRUST_200600_302600_NS5tupleIffNS6_9null_typeES8_S8_S8_S8_S8_S8_S8_EEEEZZNS1_29radix_sort_onesweep_iterationIS3_Lb0ENS6_6detail15normal_iteratorINS6_10device_ptrIjEEEESG_NSD_INSE_IS9_EEEESI_jNS0_19identity_decomposerENS1_16block_id_wrapperIjLb1EEEEE10hipError_tT1_PNSt15iterator_traitsISN_E10value_typeET2_T3_PNSO_IST_E10value_typeET4_T5_PSY_SZ_PNS1_23onesweep_lookback_stateEbbT6_jjT7_P12ihipStream_tbENKUlT_T0_SN_SS_E_clISG_PjSI_PS9_EEDaS16_S17_SN_SS_EUlS16_E_NS1_11comp_targetILNS1_3genE8ELNS1_11target_archE1030ELNS1_3gpuE2ELNS1_3repE0EEENS1_47radix_sort_onesweep_sort_config_static_selectorELNS0_4arch9wavefront6targetE0EEEvSN_: ; @_ZN7rocprim17ROCPRIM_400000_NS6detail17trampoline_kernelINS0_14default_configENS1_35radix_sort_onesweep_config_selectorIjN6thrust23THRUST_200600_302600_NS5tupleIffNS6_9null_typeES8_S8_S8_S8_S8_S8_S8_EEEEZZNS1_29radix_sort_onesweep_iterationIS3_Lb0ENS6_6detail15normal_iteratorINS6_10device_ptrIjEEEESG_NSD_INSE_IS9_EEEESI_jNS0_19identity_decomposerENS1_16block_id_wrapperIjLb1EEEEE10hipError_tT1_PNSt15iterator_traitsISN_E10value_typeET2_T3_PNSO_IST_E10value_typeET4_T5_PSY_SZ_PNS1_23onesweep_lookback_stateEbbT6_jjT7_P12ihipStream_tbENKUlT_T0_SN_SS_E_clISG_PjSI_PS9_EEDaS16_S17_SN_SS_EUlS16_E_NS1_11comp_targetILNS1_3genE8ELNS1_11target_archE1030ELNS1_3gpuE2ELNS1_3repE0EEENS1_47radix_sort_onesweep_sort_config_static_selectorELNS0_4arch9wavefront6targetE0EEEvSN_
; %bb.0:
	.section	.rodata,"a",@progbits
	.p2align	6, 0x0
	.amdhsa_kernel _ZN7rocprim17ROCPRIM_400000_NS6detail17trampoline_kernelINS0_14default_configENS1_35radix_sort_onesweep_config_selectorIjN6thrust23THRUST_200600_302600_NS5tupleIffNS6_9null_typeES8_S8_S8_S8_S8_S8_S8_EEEEZZNS1_29radix_sort_onesweep_iterationIS3_Lb0ENS6_6detail15normal_iteratorINS6_10device_ptrIjEEEESG_NSD_INSE_IS9_EEEESI_jNS0_19identity_decomposerENS1_16block_id_wrapperIjLb1EEEEE10hipError_tT1_PNSt15iterator_traitsISN_E10value_typeET2_T3_PNSO_IST_E10value_typeET4_T5_PSY_SZ_PNS1_23onesweep_lookback_stateEbbT6_jjT7_P12ihipStream_tbENKUlT_T0_SN_SS_E_clISG_PjSI_PS9_EEDaS16_S17_SN_SS_EUlS16_E_NS1_11comp_targetILNS1_3genE8ELNS1_11target_archE1030ELNS1_3gpuE2ELNS1_3repE0EEENS1_47radix_sort_onesweep_sort_config_static_selectorELNS0_4arch9wavefront6targetE0EEEvSN_
		.amdhsa_group_segment_fixed_size 0
		.amdhsa_private_segment_fixed_size 0
		.amdhsa_kernarg_size 88
		.amdhsa_user_sgpr_count 2
		.amdhsa_user_sgpr_dispatch_ptr 0
		.amdhsa_user_sgpr_queue_ptr 0
		.amdhsa_user_sgpr_kernarg_segment_ptr 1
		.amdhsa_user_sgpr_dispatch_id 0
		.amdhsa_user_sgpr_kernarg_preload_length 0
		.amdhsa_user_sgpr_kernarg_preload_offset 0
		.amdhsa_user_sgpr_private_segment_size 0
		.amdhsa_wavefront_size32 1
		.amdhsa_uses_dynamic_stack 0
		.amdhsa_enable_private_segment 0
		.amdhsa_system_sgpr_workgroup_id_x 1
		.amdhsa_system_sgpr_workgroup_id_y 0
		.amdhsa_system_sgpr_workgroup_id_z 0
		.amdhsa_system_sgpr_workgroup_info 0
		.amdhsa_system_vgpr_workitem_id 0
		.amdhsa_next_free_vgpr 1
		.amdhsa_next_free_sgpr 1
		.amdhsa_named_barrier_count 0
		.amdhsa_reserve_vcc 0
		.amdhsa_float_round_mode_32 0
		.amdhsa_float_round_mode_16_64 0
		.amdhsa_float_denorm_mode_32 3
		.amdhsa_float_denorm_mode_16_64 3
		.amdhsa_fp16_overflow 0
		.amdhsa_memory_ordered 1
		.amdhsa_forward_progress 1
		.amdhsa_inst_pref_size 0
		.amdhsa_round_robin_scheduling 0
		.amdhsa_exception_fp_ieee_invalid_op 0
		.amdhsa_exception_fp_denorm_src 0
		.amdhsa_exception_fp_ieee_div_zero 0
		.amdhsa_exception_fp_ieee_overflow 0
		.amdhsa_exception_fp_ieee_underflow 0
		.amdhsa_exception_fp_ieee_inexact 0
		.amdhsa_exception_int_div_zero 0
	.end_amdhsa_kernel
	.section	.text._ZN7rocprim17ROCPRIM_400000_NS6detail17trampoline_kernelINS0_14default_configENS1_35radix_sort_onesweep_config_selectorIjN6thrust23THRUST_200600_302600_NS5tupleIffNS6_9null_typeES8_S8_S8_S8_S8_S8_S8_EEEEZZNS1_29radix_sort_onesweep_iterationIS3_Lb0ENS6_6detail15normal_iteratorINS6_10device_ptrIjEEEESG_NSD_INSE_IS9_EEEESI_jNS0_19identity_decomposerENS1_16block_id_wrapperIjLb1EEEEE10hipError_tT1_PNSt15iterator_traitsISN_E10value_typeET2_T3_PNSO_IST_E10value_typeET4_T5_PSY_SZ_PNS1_23onesweep_lookback_stateEbbT6_jjT7_P12ihipStream_tbENKUlT_T0_SN_SS_E_clISG_PjSI_PS9_EEDaS16_S17_SN_SS_EUlS16_E_NS1_11comp_targetILNS1_3genE8ELNS1_11target_archE1030ELNS1_3gpuE2ELNS1_3repE0EEENS1_47radix_sort_onesweep_sort_config_static_selectorELNS0_4arch9wavefront6targetE0EEEvSN_,"axG",@progbits,_ZN7rocprim17ROCPRIM_400000_NS6detail17trampoline_kernelINS0_14default_configENS1_35radix_sort_onesweep_config_selectorIjN6thrust23THRUST_200600_302600_NS5tupleIffNS6_9null_typeES8_S8_S8_S8_S8_S8_S8_EEEEZZNS1_29radix_sort_onesweep_iterationIS3_Lb0ENS6_6detail15normal_iteratorINS6_10device_ptrIjEEEESG_NSD_INSE_IS9_EEEESI_jNS0_19identity_decomposerENS1_16block_id_wrapperIjLb1EEEEE10hipError_tT1_PNSt15iterator_traitsISN_E10value_typeET2_T3_PNSO_IST_E10value_typeET4_T5_PSY_SZ_PNS1_23onesweep_lookback_stateEbbT6_jjT7_P12ihipStream_tbENKUlT_T0_SN_SS_E_clISG_PjSI_PS9_EEDaS16_S17_SN_SS_EUlS16_E_NS1_11comp_targetILNS1_3genE8ELNS1_11target_archE1030ELNS1_3gpuE2ELNS1_3repE0EEENS1_47radix_sort_onesweep_sort_config_static_selectorELNS0_4arch9wavefront6targetE0EEEvSN_,comdat
.Lfunc_end192:
	.size	_ZN7rocprim17ROCPRIM_400000_NS6detail17trampoline_kernelINS0_14default_configENS1_35radix_sort_onesweep_config_selectorIjN6thrust23THRUST_200600_302600_NS5tupleIffNS6_9null_typeES8_S8_S8_S8_S8_S8_S8_EEEEZZNS1_29radix_sort_onesweep_iterationIS3_Lb0ENS6_6detail15normal_iteratorINS6_10device_ptrIjEEEESG_NSD_INSE_IS9_EEEESI_jNS0_19identity_decomposerENS1_16block_id_wrapperIjLb1EEEEE10hipError_tT1_PNSt15iterator_traitsISN_E10value_typeET2_T3_PNSO_IST_E10value_typeET4_T5_PSY_SZ_PNS1_23onesweep_lookback_stateEbbT6_jjT7_P12ihipStream_tbENKUlT_T0_SN_SS_E_clISG_PjSI_PS9_EEDaS16_S17_SN_SS_EUlS16_E_NS1_11comp_targetILNS1_3genE8ELNS1_11target_archE1030ELNS1_3gpuE2ELNS1_3repE0EEENS1_47radix_sort_onesweep_sort_config_static_selectorELNS0_4arch9wavefront6targetE0EEEvSN_, .Lfunc_end192-_ZN7rocprim17ROCPRIM_400000_NS6detail17trampoline_kernelINS0_14default_configENS1_35radix_sort_onesweep_config_selectorIjN6thrust23THRUST_200600_302600_NS5tupleIffNS6_9null_typeES8_S8_S8_S8_S8_S8_S8_EEEEZZNS1_29radix_sort_onesweep_iterationIS3_Lb0ENS6_6detail15normal_iteratorINS6_10device_ptrIjEEEESG_NSD_INSE_IS9_EEEESI_jNS0_19identity_decomposerENS1_16block_id_wrapperIjLb1EEEEE10hipError_tT1_PNSt15iterator_traitsISN_E10value_typeET2_T3_PNSO_IST_E10value_typeET4_T5_PSY_SZ_PNS1_23onesweep_lookback_stateEbbT6_jjT7_P12ihipStream_tbENKUlT_T0_SN_SS_E_clISG_PjSI_PS9_EEDaS16_S17_SN_SS_EUlS16_E_NS1_11comp_targetILNS1_3genE8ELNS1_11target_archE1030ELNS1_3gpuE2ELNS1_3repE0EEENS1_47radix_sort_onesweep_sort_config_static_selectorELNS0_4arch9wavefront6targetE0EEEvSN_
                                        ; -- End function
	.set _ZN7rocprim17ROCPRIM_400000_NS6detail17trampoline_kernelINS0_14default_configENS1_35radix_sort_onesweep_config_selectorIjN6thrust23THRUST_200600_302600_NS5tupleIffNS6_9null_typeES8_S8_S8_S8_S8_S8_S8_EEEEZZNS1_29radix_sort_onesweep_iterationIS3_Lb0ENS6_6detail15normal_iteratorINS6_10device_ptrIjEEEESG_NSD_INSE_IS9_EEEESI_jNS0_19identity_decomposerENS1_16block_id_wrapperIjLb1EEEEE10hipError_tT1_PNSt15iterator_traitsISN_E10value_typeET2_T3_PNSO_IST_E10value_typeET4_T5_PSY_SZ_PNS1_23onesweep_lookback_stateEbbT6_jjT7_P12ihipStream_tbENKUlT_T0_SN_SS_E_clISG_PjSI_PS9_EEDaS16_S17_SN_SS_EUlS16_E_NS1_11comp_targetILNS1_3genE8ELNS1_11target_archE1030ELNS1_3gpuE2ELNS1_3repE0EEENS1_47radix_sort_onesweep_sort_config_static_selectorELNS0_4arch9wavefront6targetE0EEEvSN_.num_vgpr, 0
	.set _ZN7rocprim17ROCPRIM_400000_NS6detail17trampoline_kernelINS0_14default_configENS1_35radix_sort_onesweep_config_selectorIjN6thrust23THRUST_200600_302600_NS5tupleIffNS6_9null_typeES8_S8_S8_S8_S8_S8_S8_EEEEZZNS1_29radix_sort_onesweep_iterationIS3_Lb0ENS6_6detail15normal_iteratorINS6_10device_ptrIjEEEESG_NSD_INSE_IS9_EEEESI_jNS0_19identity_decomposerENS1_16block_id_wrapperIjLb1EEEEE10hipError_tT1_PNSt15iterator_traitsISN_E10value_typeET2_T3_PNSO_IST_E10value_typeET4_T5_PSY_SZ_PNS1_23onesweep_lookback_stateEbbT6_jjT7_P12ihipStream_tbENKUlT_T0_SN_SS_E_clISG_PjSI_PS9_EEDaS16_S17_SN_SS_EUlS16_E_NS1_11comp_targetILNS1_3genE8ELNS1_11target_archE1030ELNS1_3gpuE2ELNS1_3repE0EEENS1_47radix_sort_onesweep_sort_config_static_selectorELNS0_4arch9wavefront6targetE0EEEvSN_.num_agpr, 0
	.set _ZN7rocprim17ROCPRIM_400000_NS6detail17trampoline_kernelINS0_14default_configENS1_35radix_sort_onesweep_config_selectorIjN6thrust23THRUST_200600_302600_NS5tupleIffNS6_9null_typeES8_S8_S8_S8_S8_S8_S8_EEEEZZNS1_29radix_sort_onesweep_iterationIS3_Lb0ENS6_6detail15normal_iteratorINS6_10device_ptrIjEEEESG_NSD_INSE_IS9_EEEESI_jNS0_19identity_decomposerENS1_16block_id_wrapperIjLb1EEEEE10hipError_tT1_PNSt15iterator_traitsISN_E10value_typeET2_T3_PNSO_IST_E10value_typeET4_T5_PSY_SZ_PNS1_23onesweep_lookback_stateEbbT6_jjT7_P12ihipStream_tbENKUlT_T0_SN_SS_E_clISG_PjSI_PS9_EEDaS16_S17_SN_SS_EUlS16_E_NS1_11comp_targetILNS1_3genE8ELNS1_11target_archE1030ELNS1_3gpuE2ELNS1_3repE0EEENS1_47radix_sort_onesweep_sort_config_static_selectorELNS0_4arch9wavefront6targetE0EEEvSN_.numbered_sgpr, 0
	.set _ZN7rocprim17ROCPRIM_400000_NS6detail17trampoline_kernelINS0_14default_configENS1_35radix_sort_onesweep_config_selectorIjN6thrust23THRUST_200600_302600_NS5tupleIffNS6_9null_typeES8_S8_S8_S8_S8_S8_S8_EEEEZZNS1_29radix_sort_onesweep_iterationIS3_Lb0ENS6_6detail15normal_iteratorINS6_10device_ptrIjEEEESG_NSD_INSE_IS9_EEEESI_jNS0_19identity_decomposerENS1_16block_id_wrapperIjLb1EEEEE10hipError_tT1_PNSt15iterator_traitsISN_E10value_typeET2_T3_PNSO_IST_E10value_typeET4_T5_PSY_SZ_PNS1_23onesweep_lookback_stateEbbT6_jjT7_P12ihipStream_tbENKUlT_T0_SN_SS_E_clISG_PjSI_PS9_EEDaS16_S17_SN_SS_EUlS16_E_NS1_11comp_targetILNS1_3genE8ELNS1_11target_archE1030ELNS1_3gpuE2ELNS1_3repE0EEENS1_47radix_sort_onesweep_sort_config_static_selectorELNS0_4arch9wavefront6targetE0EEEvSN_.num_named_barrier, 0
	.set _ZN7rocprim17ROCPRIM_400000_NS6detail17trampoline_kernelINS0_14default_configENS1_35radix_sort_onesweep_config_selectorIjN6thrust23THRUST_200600_302600_NS5tupleIffNS6_9null_typeES8_S8_S8_S8_S8_S8_S8_EEEEZZNS1_29radix_sort_onesweep_iterationIS3_Lb0ENS6_6detail15normal_iteratorINS6_10device_ptrIjEEEESG_NSD_INSE_IS9_EEEESI_jNS0_19identity_decomposerENS1_16block_id_wrapperIjLb1EEEEE10hipError_tT1_PNSt15iterator_traitsISN_E10value_typeET2_T3_PNSO_IST_E10value_typeET4_T5_PSY_SZ_PNS1_23onesweep_lookback_stateEbbT6_jjT7_P12ihipStream_tbENKUlT_T0_SN_SS_E_clISG_PjSI_PS9_EEDaS16_S17_SN_SS_EUlS16_E_NS1_11comp_targetILNS1_3genE8ELNS1_11target_archE1030ELNS1_3gpuE2ELNS1_3repE0EEENS1_47radix_sort_onesweep_sort_config_static_selectorELNS0_4arch9wavefront6targetE0EEEvSN_.private_seg_size, 0
	.set _ZN7rocprim17ROCPRIM_400000_NS6detail17trampoline_kernelINS0_14default_configENS1_35radix_sort_onesweep_config_selectorIjN6thrust23THRUST_200600_302600_NS5tupleIffNS6_9null_typeES8_S8_S8_S8_S8_S8_S8_EEEEZZNS1_29radix_sort_onesweep_iterationIS3_Lb0ENS6_6detail15normal_iteratorINS6_10device_ptrIjEEEESG_NSD_INSE_IS9_EEEESI_jNS0_19identity_decomposerENS1_16block_id_wrapperIjLb1EEEEE10hipError_tT1_PNSt15iterator_traitsISN_E10value_typeET2_T3_PNSO_IST_E10value_typeET4_T5_PSY_SZ_PNS1_23onesweep_lookback_stateEbbT6_jjT7_P12ihipStream_tbENKUlT_T0_SN_SS_E_clISG_PjSI_PS9_EEDaS16_S17_SN_SS_EUlS16_E_NS1_11comp_targetILNS1_3genE8ELNS1_11target_archE1030ELNS1_3gpuE2ELNS1_3repE0EEENS1_47radix_sort_onesweep_sort_config_static_selectorELNS0_4arch9wavefront6targetE0EEEvSN_.uses_vcc, 0
	.set _ZN7rocprim17ROCPRIM_400000_NS6detail17trampoline_kernelINS0_14default_configENS1_35radix_sort_onesweep_config_selectorIjN6thrust23THRUST_200600_302600_NS5tupleIffNS6_9null_typeES8_S8_S8_S8_S8_S8_S8_EEEEZZNS1_29radix_sort_onesweep_iterationIS3_Lb0ENS6_6detail15normal_iteratorINS6_10device_ptrIjEEEESG_NSD_INSE_IS9_EEEESI_jNS0_19identity_decomposerENS1_16block_id_wrapperIjLb1EEEEE10hipError_tT1_PNSt15iterator_traitsISN_E10value_typeET2_T3_PNSO_IST_E10value_typeET4_T5_PSY_SZ_PNS1_23onesweep_lookback_stateEbbT6_jjT7_P12ihipStream_tbENKUlT_T0_SN_SS_E_clISG_PjSI_PS9_EEDaS16_S17_SN_SS_EUlS16_E_NS1_11comp_targetILNS1_3genE8ELNS1_11target_archE1030ELNS1_3gpuE2ELNS1_3repE0EEENS1_47radix_sort_onesweep_sort_config_static_selectorELNS0_4arch9wavefront6targetE0EEEvSN_.uses_flat_scratch, 0
	.set _ZN7rocprim17ROCPRIM_400000_NS6detail17trampoline_kernelINS0_14default_configENS1_35radix_sort_onesweep_config_selectorIjN6thrust23THRUST_200600_302600_NS5tupleIffNS6_9null_typeES8_S8_S8_S8_S8_S8_S8_EEEEZZNS1_29radix_sort_onesweep_iterationIS3_Lb0ENS6_6detail15normal_iteratorINS6_10device_ptrIjEEEESG_NSD_INSE_IS9_EEEESI_jNS0_19identity_decomposerENS1_16block_id_wrapperIjLb1EEEEE10hipError_tT1_PNSt15iterator_traitsISN_E10value_typeET2_T3_PNSO_IST_E10value_typeET4_T5_PSY_SZ_PNS1_23onesweep_lookback_stateEbbT6_jjT7_P12ihipStream_tbENKUlT_T0_SN_SS_E_clISG_PjSI_PS9_EEDaS16_S17_SN_SS_EUlS16_E_NS1_11comp_targetILNS1_3genE8ELNS1_11target_archE1030ELNS1_3gpuE2ELNS1_3repE0EEENS1_47radix_sort_onesweep_sort_config_static_selectorELNS0_4arch9wavefront6targetE0EEEvSN_.has_dyn_sized_stack, 0
	.set _ZN7rocprim17ROCPRIM_400000_NS6detail17trampoline_kernelINS0_14default_configENS1_35radix_sort_onesweep_config_selectorIjN6thrust23THRUST_200600_302600_NS5tupleIffNS6_9null_typeES8_S8_S8_S8_S8_S8_S8_EEEEZZNS1_29radix_sort_onesweep_iterationIS3_Lb0ENS6_6detail15normal_iteratorINS6_10device_ptrIjEEEESG_NSD_INSE_IS9_EEEESI_jNS0_19identity_decomposerENS1_16block_id_wrapperIjLb1EEEEE10hipError_tT1_PNSt15iterator_traitsISN_E10value_typeET2_T3_PNSO_IST_E10value_typeET4_T5_PSY_SZ_PNS1_23onesweep_lookback_stateEbbT6_jjT7_P12ihipStream_tbENKUlT_T0_SN_SS_E_clISG_PjSI_PS9_EEDaS16_S17_SN_SS_EUlS16_E_NS1_11comp_targetILNS1_3genE8ELNS1_11target_archE1030ELNS1_3gpuE2ELNS1_3repE0EEENS1_47radix_sort_onesweep_sort_config_static_selectorELNS0_4arch9wavefront6targetE0EEEvSN_.has_recursion, 0
	.set _ZN7rocprim17ROCPRIM_400000_NS6detail17trampoline_kernelINS0_14default_configENS1_35radix_sort_onesweep_config_selectorIjN6thrust23THRUST_200600_302600_NS5tupleIffNS6_9null_typeES8_S8_S8_S8_S8_S8_S8_EEEEZZNS1_29radix_sort_onesweep_iterationIS3_Lb0ENS6_6detail15normal_iteratorINS6_10device_ptrIjEEEESG_NSD_INSE_IS9_EEEESI_jNS0_19identity_decomposerENS1_16block_id_wrapperIjLb1EEEEE10hipError_tT1_PNSt15iterator_traitsISN_E10value_typeET2_T3_PNSO_IST_E10value_typeET4_T5_PSY_SZ_PNS1_23onesweep_lookback_stateEbbT6_jjT7_P12ihipStream_tbENKUlT_T0_SN_SS_E_clISG_PjSI_PS9_EEDaS16_S17_SN_SS_EUlS16_E_NS1_11comp_targetILNS1_3genE8ELNS1_11target_archE1030ELNS1_3gpuE2ELNS1_3repE0EEENS1_47radix_sort_onesweep_sort_config_static_selectorELNS0_4arch9wavefront6targetE0EEEvSN_.has_indirect_call, 0
	.section	.AMDGPU.csdata,"",@progbits
; Kernel info:
; codeLenInByte = 0
; TotalNumSgprs: 0
; NumVgprs: 0
; ScratchSize: 0
; MemoryBound: 0
; FloatMode: 240
; IeeeMode: 1
; LDSByteSize: 0 bytes/workgroup (compile time only)
; SGPRBlocks: 0
; VGPRBlocks: 0
; NumSGPRsForWavesPerEU: 1
; NumVGPRsForWavesPerEU: 1
; NamedBarCnt: 0
; Occupancy: 16
; WaveLimiterHint : 0
; COMPUTE_PGM_RSRC2:SCRATCH_EN: 0
; COMPUTE_PGM_RSRC2:USER_SGPR: 2
; COMPUTE_PGM_RSRC2:TRAP_HANDLER: 0
; COMPUTE_PGM_RSRC2:TGID_X_EN: 1
; COMPUTE_PGM_RSRC2:TGID_Y_EN: 0
; COMPUTE_PGM_RSRC2:TGID_Z_EN: 0
; COMPUTE_PGM_RSRC2:TIDIG_COMP_CNT: 0
	.section	.text._ZN7rocprim17ROCPRIM_400000_NS6detail17trampoline_kernelINS0_14default_configENS1_35radix_sort_onesweep_config_selectorIjN6thrust23THRUST_200600_302600_NS5tupleIffNS6_9null_typeES8_S8_S8_S8_S8_S8_S8_EEEEZZNS1_29radix_sort_onesweep_iterationIS3_Lb0ENS6_6detail15normal_iteratorINS6_10device_ptrIjEEEESG_NSD_INSE_IS9_EEEESI_jNS0_19identity_decomposerENS1_16block_id_wrapperIjLb1EEEEE10hipError_tT1_PNSt15iterator_traitsISN_E10value_typeET2_T3_PNSO_IST_E10value_typeET4_T5_PSY_SZ_PNS1_23onesweep_lookback_stateEbbT6_jjT7_P12ihipStream_tbENKUlT_T0_SN_SS_E_clIPjSG_PS9_SI_EEDaS16_S17_SN_SS_EUlS16_E_NS1_11comp_targetILNS1_3genE0ELNS1_11target_archE4294967295ELNS1_3gpuE0ELNS1_3repE0EEENS1_47radix_sort_onesweep_sort_config_static_selectorELNS0_4arch9wavefront6targetE0EEEvSN_,"axG",@progbits,_ZN7rocprim17ROCPRIM_400000_NS6detail17trampoline_kernelINS0_14default_configENS1_35radix_sort_onesweep_config_selectorIjN6thrust23THRUST_200600_302600_NS5tupleIffNS6_9null_typeES8_S8_S8_S8_S8_S8_S8_EEEEZZNS1_29radix_sort_onesweep_iterationIS3_Lb0ENS6_6detail15normal_iteratorINS6_10device_ptrIjEEEESG_NSD_INSE_IS9_EEEESI_jNS0_19identity_decomposerENS1_16block_id_wrapperIjLb1EEEEE10hipError_tT1_PNSt15iterator_traitsISN_E10value_typeET2_T3_PNSO_IST_E10value_typeET4_T5_PSY_SZ_PNS1_23onesweep_lookback_stateEbbT6_jjT7_P12ihipStream_tbENKUlT_T0_SN_SS_E_clIPjSG_PS9_SI_EEDaS16_S17_SN_SS_EUlS16_E_NS1_11comp_targetILNS1_3genE0ELNS1_11target_archE4294967295ELNS1_3gpuE0ELNS1_3repE0EEENS1_47radix_sort_onesweep_sort_config_static_selectorELNS0_4arch9wavefront6targetE0EEEvSN_,comdat
	.protected	_ZN7rocprim17ROCPRIM_400000_NS6detail17trampoline_kernelINS0_14default_configENS1_35radix_sort_onesweep_config_selectorIjN6thrust23THRUST_200600_302600_NS5tupleIffNS6_9null_typeES8_S8_S8_S8_S8_S8_S8_EEEEZZNS1_29radix_sort_onesweep_iterationIS3_Lb0ENS6_6detail15normal_iteratorINS6_10device_ptrIjEEEESG_NSD_INSE_IS9_EEEESI_jNS0_19identity_decomposerENS1_16block_id_wrapperIjLb1EEEEE10hipError_tT1_PNSt15iterator_traitsISN_E10value_typeET2_T3_PNSO_IST_E10value_typeET4_T5_PSY_SZ_PNS1_23onesweep_lookback_stateEbbT6_jjT7_P12ihipStream_tbENKUlT_T0_SN_SS_E_clIPjSG_PS9_SI_EEDaS16_S17_SN_SS_EUlS16_E_NS1_11comp_targetILNS1_3genE0ELNS1_11target_archE4294967295ELNS1_3gpuE0ELNS1_3repE0EEENS1_47radix_sort_onesweep_sort_config_static_selectorELNS0_4arch9wavefront6targetE0EEEvSN_ ; -- Begin function _ZN7rocprim17ROCPRIM_400000_NS6detail17trampoline_kernelINS0_14default_configENS1_35radix_sort_onesweep_config_selectorIjN6thrust23THRUST_200600_302600_NS5tupleIffNS6_9null_typeES8_S8_S8_S8_S8_S8_S8_EEEEZZNS1_29radix_sort_onesweep_iterationIS3_Lb0ENS6_6detail15normal_iteratorINS6_10device_ptrIjEEEESG_NSD_INSE_IS9_EEEESI_jNS0_19identity_decomposerENS1_16block_id_wrapperIjLb1EEEEE10hipError_tT1_PNSt15iterator_traitsISN_E10value_typeET2_T3_PNSO_IST_E10value_typeET4_T5_PSY_SZ_PNS1_23onesweep_lookback_stateEbbT6_jjT7_P12ihipStream_tbENKUlT_T0_SN_SS_E_clIPjSG_PS9_SI_EEDaS16_S17_SN_SS_EUlS16_E_NS1_11comp_targetILNS1_3genE0ELNS1_11target_archE4294967295ELNS1_3gpuE0ELNS1_3repE0EEENS1_47radix_sort_onesweep_sort_config_static_selectorELNS0_4arch9wavefront6targetE0EEEvSN_
	.globl	_ZN7rocprim17ROCPRIM_400000_NS6detail17trampoline_kernelINS0_14default_configENS1_35radix_sort_onesweep_config_selectorIjN6thrust23THRUST_200600_302600_NS5tupleIffNS6_9null_typeES8_S8_S8_S8_S8_S8_S8_EEEEZZNS1_29radix_sort_onesweep_iterationIS3_Lb0ENS6_6detail15normal_iteratorINS6_10device_ptrIjEEEESG_NSD_INSE_IS9_EEEESI_jNS0_19identity_decomposerENS1_16block_id_wrapperIjLb1EEEEE10hipError_tT1_PNSt15iterator_traitsISN_E10value_typeET2_T3_PNSO_IST_E10value_typeET4_T5_PSY_SZ_PNS1_23onesweep_lookback_stateEbbT6_jjT7_P12ihipStream_tbENKUlT_T0_SN_SS_E_clIPjSG_PS9_SI_EEDaS16_S17_SN_SS_EUlS16_E_NS1_11comp_targetILNS1_3genE0ELNS1_11target_archE4294967295ELNS1_3gpuE0ELNS1_3repE0EEENS1_47radix_sort_onesweep_sort_config_static_selectorELNS0_4arch9wavefront6targetE0EEEvSN_
	.p2align	8
	.type	_ZN7rocprim17ROCPRIM_400000_NS6detail17trampoline_kernelINS0_14default_configENS1_35radix_sort_onesweep_config_selectorIjN6thrust23THRUST_200600_302600_NS5tupleIffNS6_9null_typeES8_S8_S8_S8_S8_S8_S8_EEEEZZNS1_29radix_sort_onesweep_iterationIS3_Lb0ENS6_6detail15normal_iteratorINS6_10device_ptrIjEEEESG_NSD_INSE_IS9_EEEESI_jNS0_19identity_decomposerENS1_16block_id_wrapperIjLb1EEEEE10hipError_tT1_PNSt15iterator_traitsISN_E10value_typeET2_T3_PNSO_IST_E10value_typeET4_T5_PSY_SZ_PNS1_23onesweep_lookback_stateEbbT6_jjT7_P12ihipStream_tbENKUlT_T0_SN_SS_E_clIPjSG_PS9_SI_EEDaS16_S17_SN_SS_EUlS16_E_NS1_11comp_targetILNS1_3genE0ELNS1_11target_archE4294967295ELNS1_3gpuE0ELNS1_3repE0EEENS1_47radix_sort_onesweep_sort_config_static_selectorELNS0_4arch9wavefront6targetE0EEEvSN_,@function
_ZN7rocprim17ROCPRIM_400000_NS6detail17trampoline_kernelINS0_14default_configENS1_35radix_sort_onesweep_config_selectorIjN6thrust23THRUST_200600_302600_NS5tupleIffNS6_9null_typeES8_S8_S8_S8_S8_S8_S8_EEEEZZNS1_29radix_sort_onesweep_iterationIS3_Lb0ENS6_6detail15normal_iteratorINS6_10device_ptrIjEEEESG_NSD_INSE_IS9_EEEESI_jNS0_19identity_decomposerENS1_16block_id_wrapperIjLb1EEEEE10hipError_tT1_PNSt15iterator_traitsISN_E10value_typeET2_T3_PNSO_IST_E10value_typeET4_T5_PSY_SZ_PNS1_23onesweep_lookback_stateEbbT6_jjT7_P12ihipStream_tbENKUlT_T0_SN_SS_E_clIPjSG_PS9_SI_EEDaS16_S17_SN_SS_EUlS16_E_NS1_11comp_targetILNS1_3genE0ELNS1_11target_archE4294967295ELNS1_3gpuE0ELNS1_3repE0EEENS1_47radix_sort_onesweep_sort_config_static_selectorELNS0_4arch9wavefront6targetE0EEEvSN_: ; @_ZN7rocprim17ROCPRIM_400000_NS6detail17trampoline_kernelINS0_14default_configENS1_35radix_sort_onesweep_config_selectorIjN6thrust23THRUST_200600_302600_NS5tupleIffNS6_9null_typeES8_S8_S8_S8_S8_S8_S8_EEEEZZNS1_29radix_sort_onesweep_iterationIS3_Lb0ENS6_6detail15normal_iteratorINS6_10device_ptrIjEEEESG_NSD_INSE_IS9_EEEESI_jNS0_19identity_decomposerENS1_16block_id_wrapperIjLb1EEEEE10hipError_tT1_PNSt15iterator_traitsISN_E10value_typeET2_T3_PNSO_IST_E10value_typeET4_T5_PSY_SZ_PNS1_23onesweep_lookback_stateEbbT6_jjT7_P12ihipStream_tbENKUlT_T0_SN_SS_E_clIPjSG_PS9_SI_EEDaS16_S17_SN_SS_EUlS16_E_NS1_11comp_targetILNS1_3genE0ELNS1_11target_archE4294967295ELNS1_3gpuE0ELNS1_3repE0EEENS1_47radix_sort_onesweep_sort_config_static_selectorELNS0_4arch9wavefront6targetE0EEEvSN_
; %bb.0:
	s_clause 0x1
	s_load_b128 s[24:27], s[2:3], 0x28
	s_load_b64 s[34:35], s[2:3], 0x38
	v_and_b32_e32 v18, 0x3ff, v0
	s_delay_alu instid0(VALU_DEP_1)
	v_cmp_eq_u32_e64 s4, 0, v18
	s_and_saveexec_b32 s5, s4
	s_cbranch_execz .LBB193_4
; %bb.1:
	s_mov_b32 s7, exec_lo
	s_mov_b32 s6, exec_lo
	v_mbcnt_lo_u32_b32 v1, s7, 0
                                        ; implicit-def: $vgpr2
	s_delay_alu instid0(VALU_DEP_1)
	v_cmpx_eq_u32_e32 0, v1
	s_cbranch_execz .LBB193_3
; %bb.2:
	s_load_b64 s[8:9], s[2:3], 0x50
	s_bcnt1_i32_b32 s7, s7
	s_delay_alu instid0(SALU_CYCLE_1)
	v_dual_mov_b32 v2, 0 :: v_dual_mov_b32 v3, s7
	s_wait_xcnt 0x0
	s_wait_kmcnt 0x0
	global_atomic_add_u32 v2, v2, v3, s[8:9] th:TH_ATOMIC_RETURN scope:SCOPE_DEV
.LBB193_3:
	s_wait_xcnt 0x0
	s_or_b32 exec_lo, exec_lo, s6
	s_wait_loadcnt 0x0
	v_readfirstlane_b32 s6, v2
	s_delay_alu instid0(VALU_DEP_1)
	v_dual_mov_b32 v2, 0 :: v_dual_add_nc_u32 v1, s6, v1
	ds_store_b32 v2, v1 offset:18496
.LBB193_4:
	s_or_b32 exec_lo, exec_lo, s5
	s_clause 0x2
	s_load_b256 s[16:23], s[2:3], 0x0
	s_load_b32 s5, s[2:3], 0x20
	s_load_b96 s[28:30], s[2:3], 0x44
	s_load_b64 s[6:7], s[0:1], 0x4
	v_dual_mov_b32 v1, 0 :: v_dual_lshlrev_b32 v23, 3, v18
	s_wait_dscnt 0x0
	s_barrier_signal -1
	s_barrier_wait -1
	ds_load_b32 v2, v1 offset:18496
	v_bfe_u32 v21, v0, 10, 10
	v_bfe_u32 v22, v0, 20, 10
	v_mbcnt_lo_u32_b32 v20, -1, 0
	s_add_nc_u64 s[36:37], s[2:3], 0x58
	s_getreg_b32 s33, hwreg(HW_REG_IB_STS2, 6, 4)
	s_wait_dscnt 0x0
	s_barrier_signal -1
	s_barrier_wait -1
	s_wait_kmcnt 0x0
	s_lshr_b32 s0, s6, 16
	v_mul_u32_u24_e32 v0, s7, v21
	s_mul_i32 s0, s0, s7
	s_delay_alu instid0(SALU_CYCLE_1) | instskip(SKIP_3) | instid1(VALU_DEP_3)
	v_mul_lo_u32 v3, s0, v18
	s_mov_b32 s0, -1
	v_cmp_le_u32_e32 vcc_lo, s30, v2
	v_readfirstlane_b32 s31, v2
	v_add3_u32 v19, v3, v0, v22
	s_cbranch_vccz .LBB193_102
; %bb.5:
	s_lshl_b32 s38, s31, 12
	s_mov_b32 s39, 0
	v_dual_mov_b32 v9, -1 :: v_dual_lshlrev_b32 v0, 2, v20
	s_lshl_b64 s[0:1], s[38:39], 2
	v_and_b32_e32 v8, 0x1f00, v23
	s_add_nc_u64 s[0:1], s[16:17], s[0:1]
	v_mov_b32_e32 v10, -1
	v_add_nc_u64_e32 v[4:5], s[0:1], v[0:1]
	s_lshl_b32 s0, s30, 12
	v_dual_lshlrev_b32 v0, 2, v8 :: v_dual_bitop2_b32 v2, v20, v8 bitop3:0x54
	s_sub_co_i32 s30, s5, s0
	s_delay_alu instid0(VALU_DEP_1) | instskip(NEXT) | instid1(VALU_DEP_2)
	v_add_nc_u64_e32 v[0:1], v[4:5], v[0:1]
	v_cmp_gt_u32_e64 s9, s30, v2
	s_and_saveexec_b32 s0, s9
	s_cbranch_execz .LBB193_7
; %bb.6:
	global_load_b32 v10, v[0:1], off
.LBB193_7:
	s_wait_xcnt 0x0
	s_or_b32 exec_lo, exec_lo, s0
	v_or_b32_e32 v3, 32, v2
	s_delay_alu instid0(VALU_DEP_1)
	v_cmp_gt_u32_e64 s8, s30, v3
	s_and_saveexec_b32 s0, s8
	s_cbranch_execz .LBB193_9
; %bb.8:
	global_load_b32 v9, v[0:1], off offset:128
.LBB193_9:
	s_wait_xcnt 0x0
	s_or_b32 exec_lo, exec_lo, s0
	v_dual_mov_b32 v11, -1 :: v_dual_bitop2_b32 v3, 64, v2 bitop3:0x54
	v_mov_b32_e32 v12, -1
	s_delay_alu instid0(VALU_DEP_2)
	v_cmp_gt_u32_e64 s7, s30, v3
	s_and_saveexec_b32 s0, s7
	s_cbranch_execz .LBB193_11
; %bb.10:
	global_load_b32 v12, v[0:1], off offset:256
.LBB193_11:
	s_wait_xcnt 0x0
	s_or_b32 exec_lo, exec_lo, s0
	v_or_b32_e32 v3, 0x60, v2
	s_delay_alu instid0(VALU_DEP_1)
	v_cmp_gt_u32_e64 s6, s30, v3
	s_and_saveexec_b32 s0, s6
	s_cbranch_execz .LBB193_13
; %bb.12:
	global_load_b32 v11, v[0:1], off offset:384
.LBB193_13:
	s_wait_xcnt 0x0
	s_or_b32 exec_lo, exec_lo, s0
	v_or_b32_e32 v3, 0x80, v2
	v_dual_mov_b32 v13, -1 :: v_dual_mov_b32 v14, -1
	s_delay_alu instid0(VALU_DEP_2)
	v_cmp_gt_u32_e64 s5, s30, v3
	s_and_saveexec_b32 s0, s5
	s_cbranch_execz .LBB193_15
; %bb.14:
	global_load_b32 v14, v[0:1], off offset:512
.LBB193_15:
	s_wait_xcnt 0x0
	s_or_b32 exec_lo, exec_lo, s0
	v_or_b32_e32 v3, 0xa0, v2
	s_delay_alu instid0(VALU_DEP_1)
	v_cmp_gt_u32_e64 s1, s30, v3
	s_and_saveexec_b32 s0, s1
	s_cbranch_execz .LBB193_17
; %bb.16:
	global_load_b32 v13, v[0:1], off offset:640
.LBB193_17:
	s_wait_xcnt 0x0
	s_or_b32 exec_lo, exec_lo, s0
	v_or_b32_e32 v3, 0xc0, v2
	v_dual_mov_b32 v15, -1 :: v_dual_mov_b32 v16, -1
	s_delay_alu instid0(VALU_DEP_2)
	v_cmp_gt_u32_e64 s0, s30, v3
	s_and_saveexec_b32 s10, s0
	s_cbranch_execz .LBB193_19
; %bb.18:
	global_load_b32 v16, v[0:1], off offset:768
.LBB193_19:
	s_wait_xcnt 0x0
	s_or_b32 exec_lo, exec_lo, s10
	v_or_b32_e32 v2, 0xe0, v2
	s_delay_alu instid0(VALU_DEP_1)
	v_cmp_gt_u32_e32 vcc_lo, s30, v2
	s_and_saveexec_b32 s10, vcc_lo
	s_cbranch_execz .LBB193_21
; %bb.20:
	global_load_b32 v15, v[0:1], off offset:896
.LBB193_21:
	s_wait_xcnt 0x0
	s_or_b32 exec_lo, exec_lo, s10
	s_clause 0x1
	s_load_b32 s40, s[2:3], 0x58
	s_load_u16 s12, s[2:3], 0x66
	s_bfe_u32 s10, ttmp6, 0x4000c
	s_and_b32 s11, ttmp6, 15
	s_add_co_i32 s10, s10, 1
	s_wait_loadcnt 0x0
	v_lshrrev_b32_e32 v0, s28, v10
	s_mul_i32 s10, ttmp9, s10
	s_delay_alu instid0(SALU_CYCLE_1)
	s_add_co_i32 s11, s11, s10
	s_cmp_eq_u32 s33, 0
	s_cselect_b32 s10, ttmp9, s11
	s_mov_b32 s11, 0
	s_wait_kmcnt 0x0
	s_cmp_lt_u32 s10, s40
	v_mad_u32_u24 v1, v22, s12, v21
	s_cselect_b32 s10, 12, 18
	s_lshl_b32 s41, -1, s29
	s_add_nc_u64 s[10:11], s[36:37], s[10:11]
	v_bitop3_b32 v2, v0, 1, s41 bitop3:0x40
	v_bitop3_b32 v0, v0, s41, v0 bitop3:0x30
	s_load_u16 s42, s[10:11], 0x0
	s_wait_xcnt 0x0
	s_delay_alu instid0(VALU_DEP_2) | instskip(NEXT) | instid1(VALU_DEP_1)
	v_add_co_u32 v2, s10, v2, -1
	v_cndmask_b32_e64 v3, 0, 1, s10
	v_dual_lshlrev_b32 v4, 30, v0 :: v_dual_lshlrev_b32 v5, 29, v0
	v_dual_lshlrev_b32 v6, 28, v0 :: v_dual_lshlrev_b32 v7, 27, v0
	s_delay_alu instid0(VALU_DEP_3) | instskip(NEXT) | instid1(VALU_DEP_3)
	v_cmp_ne_u32_e64 s10, 0, v3
	v_not_b32_e32 v3, v4
	v_dual_lshlrev_b32 v17, 26, v0 :: v_dual_lshlrev_b32 v24, 25, v0
	v_cmp_gt_i32_e64 s11, 0, v4
	v_cmp_gt_i32_e64 s12, 0, v5
	v_not_b32_e32 v4, v5
	v_not_b32_e32 v5, v6
	v_dual_ashrrev_i32 v3, 31, v3 :: v_dual_lshlrev_b32 v25, 24, v0
	v_xor_b32_e32 v2, s10, v2
	v_cmp_gt_i32_e64 s13, 0, v6
	v_cmp_gt_i32_e64 s14, 0, v7
	v_not_b32_e32 v6, v7
	v_not_b32_e32 v7, v17
	v_dual_ashrrev_i32 v4, 31, v4 :: v_dual_ashrrev_i32 v5, 31, v5
	s_delay_alu instid0(VALU_DEP_3) | instskip(SKIP_1) | instid1(VALU_DEP_3)
	v_dual_ashrrev_i32 v6, 31, v6 :: v_dual_bitop2_b32 v3, s11, v3 bitop3:0x14
	v_cmp_gt_i32_e64 s15, 0, v17
	v_dual_ashrrev_i32 v7, 31, v7 :: v_dual_bitop2_b32 v4, s12, v4 bitop3:0x14
	s_delay_alu instid0(VALU_DEP_3)
	v_bitop3_b32 v2, v2, v3, exec_lo bitop3:0x80
	v_not_b32_e32 v3, v24
	v_xor_b32_e32 v5, s13, v5
	v_not_b32_e32 v17, v25
	v_xor_b32_e32 v6, s14, v6
	v_xor_b32_e32 v7, s15, v7
	v_cmp_gt_i32_e64 s10, 0, v24
	v_ashrrev_i32_e32 v3, 31, v3
	v_bitop3_b32 v2, v2, v5, v4 bitop3:0x80
	v_cmp_gt_i32_e64 s11, 0, v25
	v_ashrrev_i32_e32 v4, 31, v17
	s_wait_kmcnt 0x0
	v_mad_u32 v5, v1, s42, v18
	v_mul_u32_u24_e32 v24, 36, v18
	v_bitop3_b32 v1, v2, v7, v6 bitop3:0x80
	v_xor_b32_e32 v2, s10, v3
	v_dual_mov_b32 v4, 0 :: v_dual_bitop2_b32 v3, s11, v4 bitop3:0x14
	s_not_b32 s15, s41
	ds_store_2addr_b32 v24, v4, v4 offset0:16 offset1:17
	ds_store_2addr_b32 v24, v4, v4 offset0:18 offset1:19
	;; [unrolled: 1-line block ×4, first 2 shown]
	v_bitop3_b32 v1, v1, v3, v2 bitop3:0x80
	v_mul_lo_u32 v2, 0x44, v0
	v_lshrrev_b32_e32 v0, 3, v5
	ds_store_b32 v24, v4 offset:96
	s_wait_dscnt 0x0
	v_mbcnt_lo_u32_b32 v17, v1, 0
	v_cmp_ne_u32_e64 s11, 0, v1
	v_and_b32_e32 v0, 0x1ffffffc, v0
	s_barrier_signal -1
	s_barrier_wait -1
	v_cmp_eq_u32_e64 s10, 0, v17
	s_delay_alu instid0(VALU_DEP_2) | instskip(SKIP_1) | instid1(SALU_CYCLE_1)
	v_add_nc_u32_e32 v25, v0, v2
	; wave barrier
	s_and_b32 s11, s11, s10
	s_and_saveexec_b32 s10, s11
; %bb.22:
	v_bcnt_u32_b32 v1, v1, 0
	ds_store_b32 v25, v1 offset:64
; %bb.23:
	s_or_b32 exec_lo, exec_lo, s10
	v_lshrrev_b32_e32 v1, s28, v9
	; wave barrier
	s_delay_alu instid0(VALU_DEP_1) | instskip(NEXT) | instid1(VALU_DEP_1)
	v_and_b32_e32 v2, s15, v1
	v_lshlrev_b32_e32 v5, 30, v2
	v_bitop3_b32 v1, v1, 1, s15 bitop3:0x80
	s_delay_alu instid0(VALU_DEP_2) | instskip(NEXT) | instid1(VALU_DEP_2)
	v_cmp_gt_i32_e64 s11, 0, v5
	v_add_co_u32 v1, s10, v1, -1
	s_delay_alu instid0(VALU_DEP_1) | instskip(NEXT) | instid1(VALU_DEP_1)
	v_cndmask_b32_e64 v4, 0, 1, s10
	v_cmp_ne_u32_e64 s10, 0, v4
	v_not_b32_e32 v4, v5
	s_delay_alu instid0(VALU_DEP_1) | instskip(SKIP_3) | instid1(VALU_DEP_4)
	v_dual_ashrrev_i32 v4, 31, v4 :: v_dual_lshlrev_b32 v6, 29, v2
	v_dual_lshlrev_b32 v7, 28, v2 :: v_dual_lshlrev_b32 v26, 27, v2
	v_lshlrev_b32_e32 v27, 26, v2
	v_mul_lo_u32 v3, 0x44, v2
	v_cmp_gt_i32_e64 s12, 0, v6
	v_not_b32_e32 v5, v6
	v_not_b32_e32 v6, v7
	v_cmp_gt_i32_e64 s13, 0, v7
	v_xor_b32_e32 v1, s10, v1
	s_delay_alu instid0(VALU_DEP_4) | instskip(NEXT) | instid1(VALU_DEP_4)
	v_dual_ashrrev_i32 v5, 31, v5 :: v_dual_bitop2_b32 v4, s11, v4 bitop3:0x14
	v_ashrrev_i32_e32 v6, 31, v6
	v_dual_lshlrev_b32 v28, 25, v2 :: v_dual_lshlrev_b32 v2, 24, v2
	v_not_b32_e32 v7, v26
	v_not_b32_e32 v29, v27
	v_xor_b32_e32 v5, s12, v5
	v_xor_b32_e32 v6, s13, v6
	v_bitop3_b32 v1, v1, v4, exec_lo bitop3:0x80
	v_cmp_gt_i32_e64 s10, 0, v26
	v_ashrrev_i32_e32 v4, 31, v7
	v_cmp_gt_i32_e64 s11, 0, v27
	v_ashrrev_i32_e32 v7, 31, v29
	v_bitop3_b32 v1, v1, v6, v5 bitop3:0x80
	v_not_b32_e32 v5, v28
	v_not_b32_e32 v6, v2
	v_xor_b32_e32 v4, s10, v4
	v_xor_b32_e32 v7, s11, v7
	v_cmp_gt_i32_e64 s10, 0, v28
	v_ashrrev_i32_e32 v5, 31, v5
	v_cmp_gt_i32_e64 s11, 0, v2
	v_dual_ashrrev_i32 v2, 31, v6 :: v_dual_add_nc_u32 v28, v0, v3
	v_bitop3_b32 v1, v1, v7, v4 bitop3:0x80
	s_delay_alu instid0(VALU_DEP_4) | instskip(NEXT) | instid1(VALU_DEP_3)
	v_xor_b32_e32 v3, s10, v5
	v_xor_b32_e32 v2, s11, v2
	ds_load_b32 v26, v28 offset:64
	; wave barrier
	v_bitop3_b32 v1, v1, v2, v3 bitop3:0x80
	s_delay_alu instid0(VALU_DEP_1) | instskip(SKIP_1) | instid1(VALU_DEP_2)
	v_mbcnt_lo_u32_b32 v27, v1, 0
	v_cmp_ne_u32_e64 s11, 0, v1
	v_cmp_eq_u32_e64 s10, 0, v27
	s_and_b32 s11, s11, s10
	s_delay_alu instid0(SALU_CYCLE_1)
	s_and_saveexec_b32 s10, s11
	s_cbranch_execz .LBB193_25
; %bb.24:
	s_wait_dscnt 0x0
	v_bcnt_u32_b32 v1, v1, v26
	ds_store_b32 v28, v1 offset:64
.LBB193_25:
	s_or_b32 exec_lo, exec_lo, s10
	v_lshrrev_b32_e32 v1, s28, v12
	; wave barrier
	s_delay_alu instid0(VALU_DEP_1) | instskip(NEXT) | instid1(VALU_DEP_1)
	v_and_b32_e32 v2, s15, v1
	v_lshlrev_b32_e32 v5, 30, v2
	v_bitop3_b32 v1, v1, 1, s15 bitop3:0x80
	s_delay_alu instid0(VALU_DEP_2) | instskip(NEXT) | instid1(VALU_DEP_2)
	v_cmp_gt_i32_e64 s11, 0, v5
	v_add_co_u32 v1, s10, v1, -1
	s_delay_alu instid0(VALU_DEP_1) | instskip(NEXT) | instid1(VALU_DEP_1)
	v_cndmask_b32_e64 v4, 0, 1, s10
	v_cmp_ne_u32_e64 s10, 0, v4
	v_not_b32_e32 v4, v5
	s_delay_alu instid0(VALU_DEP_1) | instskip(SKIP_3) | instid1(VALU_DEP_4)
	v_dual_ashrrev_i32 v4, 31, v4 :: v_dual_lshlrev_b32 v6, 29, v2
	v_dual_lshlrev_b32 v7, 28, v2 :: v_dual_lshlrev_b32 v29, 27, v2
	v_lshlrev_b32_e32 v30, 26, v2
	v_mul_lo_u32 v3, 0x44, v2
	v_cmp_gt_i32_e64 s12, 0, v6
	v_not_b32_e32 v5, v6
	v_not_b32_e32 v6, v7
	v_cmp_gt_i32_e64 s13, 0, v7
	v_xor_b32_e32 v1, s10, v1
	s_delay_alu instid0(VALU_DEP_4) | instskip(NEXT) | instid1(VALU_DEP_4)
	v_dual_ashrrev_i32 v5, 31, v5 :: v_dual_bitop2_b32 v4, s11, v4 bitop3:0x14
	v_ashrrev_i32_e32 v6, 31, v6
	v_dual_lshlrev_b32 v31, 25, v2 :: v_dual_lshlrev_b32 v2, 24, v2
	v_not_b32_e32 v7, v29
	v_not_b32_e32 v32, v30
	v_xor_b32_e32 v5, s12, v5
	v_xor_b32_e32 v6, s13, v6
	v_bitop3_b32 v1, v1, v4, exec_lo bitop3:0x80
	v_cmp_gt_i32_e64 s10, 0, v29
	v_ashrrev_i32_e32 v4, 31, v7
	v_cmp_gt_i32_e64 s11, 0, v30
	v_ashrrev_i32_e32 v7, 31, v32
	v_bitop3_b32 v1, v1, v6, v5 bitop3:0x80
	v_not_b32_e32 v5, v31
	v_not_b32_e32 v6, v2
	v_xor_b32_e32 v4, s10, v4
	v_xor_b32_e32 v7, s11, v7
	v_cmp_gt_i32_e64 s10, 0, v31
	v_ashrrev_i32_e32 v5, 31, v5
	v_cmp_gt_i32_e64 s11, 0, v2
	v_dual_ashrrev_i32 v2, 31, v6 :: v_dual_add_nc_u32 v31, v0, v3
	v_bitop3_b32 v1, v1, v7, v4 bitop3:0x80
	s_delay_alu instid0(VALU_DEP_4) | instskip(NEXT) | instid1(VALU_DEP_3)
	v_xor_b32_e32 v3, s10, v5
	v_xor_b32_e32 v2, s11, v2
	ds_load_b32 v29, v31 offset:64
	; wave barrier
	v_bitop3_b32 v1, v1, v2, v3 bitop3:0x80
	s_delay_alu instid0(VALU_DEP_1) | instskip(SKIP_1) | instid1(VALU_DEP_2)
	v_mbcnt_lo_u32_b32 v30, v1, 0
	v_cmp_ne_u32_e64 s11, 0, v1
	v_cmp_eq_u32_e64 s10, 0, v30
	s_and_b32 s11, s11, s10
	s_delay_alu instid0(SALU_CYCLE_1)
	s_and_saveexec_b32 s10, s11
	s_cbranch_execz .LBB193_27
; %bb.26:
	s_wait_dscnt 0x0
	v_bcnt_u32_b32 v1, v1, v29
	ds_store_b32 v31, v1 offset:64
.LBB193_27:
	s_or_b32 exec_lo, exec_lo, s10
	v_lshrrev_b32_e32 v1, s28, v11
	; wave barrier
	s_delay_alu instid0(VALU_DEP_1) | instskip(NEXT) | instid1(VALU_DEP_1)
	v_and_b32_e32 v2, s15, v1
	v_lshlrev_b32_e32 v5, 30, v2
	v_bitop3_b32 v1, v1, 1, s15 bitop3:0x80
	s_delay_alu instid0(VALU_DEP_2) | instskip(NEXT) | instid1(VALU_DEP_2)
	v_cmp_gt_i32_e64 s11, 0, v5
	v_add_co_u32 v1, s10, v1, -1
	s_delay_alu instid0(VALU_DEP_1) | instskip(NEXT) | instid1(VALU_DEP_1)
	v_cndmask_b32_e64 v4, 0, 1, s10
	v_cmp_ne_u32_e64 s10, 0, v4
	v_not_b32_e32 v4, v5
	s_delay_alu instid0(VALU_DEP_1) | instskip(SKIP_3) | instid1(VALU_DEP_4)
	v_dual_ashrrev_i32 v4, 31, v4 :: v_dual_lshlrev_b32 v6, 29, v2
	v_dual_lshlrev_b32 v7, 28, v2 :: v_dual_lshlrev_b32 v32, 27, v2
	v_lshlrev_b32_e32 v33, 26, v2
	v_mul_lo_u32 v3, 0x44, v2
	v_cmp_gt_i32_e64 s12, 0, v6
	v_not_b32_e32 v5, v6
	v_not_b32_e32 v6, v7
	v_cmp_gt_i32_e64 s13, 0, v7
	v_xor_b32_e32 v1, s10, v1
	s_delay_alu instid0(VALU_DEP_4) | instskip(NEXT) | instid1(VALU_DEP_4)
	v_dual_ashrrev_i32 v5, 31, v5 :: v_dual_bitop2_b32 v4, s11, v4 bitop3:0x14
	v_ashrrev_i32_e32 v6, 31, v6
	v_dual_lshlrev_b32 v34, 25, v2 :: v_dual_lshlrev_b32 v2, 24, v2
	v_not_b32_e32 v7, v32
	v_not_b32_e32 v35, v33
	v_xor_b32_e32 v5, s12, v5
	v_xor_b32_e32 v6, s13, v6
	v_bitop3_b32 v1, v1, v4, exec_lo bitop3:0x80
	v_cmp_gt_i32_e64 s10, 0, v32
	v_ashrrev_i32_e32 v4, 31, v7
	v_cmp_gt_i32_e64 s11, 0, v33
	v_ashrrev_i32_e32 v7, 31, v35
	v_bitop3_b32 v1, v1, v6, v5 bitop3:0x80
	v_not_b32_e32 v5, v34
	v_not_b32_e32 v6, v2
	v_xor_b32_e32 v4, s10, v4
	v_xor_b32_e32 v7, s11, v7
	v_cmp_gt_i32_e64 s10, 0, v34
	v_ashrrev_i32_e32 v5, 31, v5
	v_cmp_gt_i32_e64 s11, 0, v2
	v_dual_ashrrev_i32 v2, 31, v6 :: v_dual_add_nc_u32 v34, v0, v3
	v_bitop3_b32 v1, v1, v7, v4 bitop3:0x80
	s_delay_alu instid0(VALU_DEP_4) | instskip(NEXT) | instid1(VALU_DEP_3)
	v_xor_b32_e32 v3, s10, v5
	v_xor_b32_e32 v2, s11, v2
	ds_load_b32 v32, v34 offset:64
	; wave barrier
	v_bitop3_b32 v1, v1, v2, v3 bitop3:0x80
	s_delay_alu instid0(VALU_DEP_1) | instskip(SKIP_1) | instid1(VALU_DEP_2)
	v_mbcnt_lo_u32_b32 v33, v1, 0
	v_cmp_ne_u32_e64 s11, 0, v1
	v_cmp_eq_u32_e64 s10, 0, v33
	s_and_b32 s11, s11, s10
	s_delay_alu instid0(SALU_CYCLE_1)
	s_and_saveexec_b32 s10, s11
	s_cbranch_execz .LBB193_29
; %bb.28:
	s_wait_dscnt 0x0
	v_bcnt_u32_b32 v1, v1, v32
	ds_store_b32 v34, v1 offset:64
.LBB193_29:
	s_or_b32 exec_lo, exec_lo, s10
	v_lshrrev_b32_e32 v1, s28, v14
	; wave barrier
	s_delay_alu instid0(VALU_DEP_1) | instskip(SKIP_1) | instid1(VALU_DEP_2)
	v_and_b32_e32 v2, s15, v1
	v_bitop3_b32 v1, v1, 1, s15 bitop3:0x80
	v_dual_lshlrev_b32 v5, 30, v2 :: v_dual_lshlrev_b32 v6, 29, v2
	s_delay_alu instid0(VALU_DEP_2) | instskip(NEXT) | instid1(VALU_DEP_1)
	v_add_co_u32 v1, s10, v1, -1
	v_cndmask_b32_e64 v4, 0, 1, s10
	v_lshlrev_b32_e32 v7, 28, v2
	s_delay_alu instid0(VALU_DEP_4) | instskip(SKIP_1) | instid1(VALU_DEP_4)
	v_cmp_gt_i32_e64 s11, 0, v5
	v_cmp_gt_i32_e64 s12, 0, v6
	v_cmp_ne_u32_e64 s10, 0, v4
	v_not_b32_e32 v4, v5
	v_not_b32_e32 v5, v6
	;; [unrolled: 1-line block ×3, first 2 shown]
	s_delay_alu instid0(VALU_DEP_3) | instskip(NEXT) | instid1(VALU_DEP_2)
	v_dual_ashrrev_i32 v4, 31, v4 :: v_dual_bitop2_b32 v1, s10, v1 bitop3:0x14
	v_dual_ashrrev_i32 v5, 31, v5 :: v_dual_ashrrev_i32 v6, 31, v6
	v_mul_lo_u32 v3, 0x44, v2
	v_dual_lshlrev_b32 v35, 27, v2 :: v_dual_lshlrev_b32 v36, 26, v2
	v_dual_lshlrev_b32 v37, 25, v2 :: v_dual_lshlrev_b32 v2, 24, v2
	v_cmp_gt_i32_e64 s13, 0, v7
	v_xor_b32_e32 v4, s11, v4
	s_delay_alu instid0(VALU_DEP_4)
	v_not_b32_e32 v7, v35
	v_not_b32_e32 v38, v36
	v_xor_b32_e32 v5, s12, v5
	v_xor_b32_e32 v6, s13, v6
	v_bitop3_b32 v1, v1, v4, exec_lo bitop3:0x80
	v_cmp_gt_i32_e64 s10, 0, v35
	v_ashrrev_i32_e32 v4, 31, v7
	v_cmp_gt_i32_e64 s11, 0, v36
	v_ashrrev_i32_e32 v7, 31, v38
	v_bitop3_b32 v1, v1, v6, v5 bitop3:0x80
	v_not_b32_e32 v5, v37
	v_not_b32_e32 v6, v2
	v_xor_b32_e32 v4, s10, v4
	v_xor_b32_e32 v7, s11, v7
	v_cmp_gt_i32_e64 s10, 0, v37
	v_ashrrev_i32_e32 v5, 31, v5
	v_cmp_gt_i32_e64 s11, 0, v2
	v_dual_ashrrev_i32 v2, 31, v6 :: v_dual_add_nc_u32 v37, v0, v3
	v_bitop3_b32 v1, v1, v7, v4 bitop3:0x80
	s_delay_alu instid0(VALU_DEP_4) | instskip(NEXT) | instid1(VALU_DEP_3)
	v_xor_b32_e32 v3, s10, v5
	v_xor_b32_e32 v2, s11, v2
	ds_load_b32 v35, v37 offset:64
	; wave barrier
	v_bitop3_b32 v1, v1, v2, v3 bitop3:0x80
	s_delay_alu instid0(VALU_DEP_1) | instskip(SKIP_1) | instid1(VALU_DEP_2)
	v_mbcnt_lo_u32_b32 v36, v1, 0
	v_cmp_ne_u32_e64 s11, 0, v1
	v_cmp_eq_u32_e64 s10, 0, v36
	s_and_b32 s11, s11, s10
	s_delay_alu instid0(SALU_CYCLE_1)
	s_and_saveexec_b32 s10, s11
	s_cbranch_execz .LBB193_31
; %bb.30:
	s_wait_dscnt 0x0
	v_bcnt_u32_b32 v1, v1, v35
	ds_store_b32 v37, v1 offset:64
.LBB193_31:
	s_or_b32 exec_lo, exec_lo, s10
	v_lshrrev_b32_e32 v1, s28, v13
	; wave barrier
	s_delay_alu instid0(VALU_DEP_1) | instskip(NEXT) | instid1(VALU_DEP_1)
	v_and_b32_e32 v2, s15, v1
	v_lshlrev_b32_e32 v5, 30, v2
	v_bitop3_b32 v1, v1, 1, s15 bitop3:0x80
	s_delay_alu instid0(VALU_DEP_2) | instskip(NEXT) | instid1(VALU_DEP_2)
	v_cmp_gt_i32_e64 s11, 0, v5
	v_add_co_u32 v1, s10, v1, -1
	s_delay_alu instid0(VALU_DEP_1) | instskip(NEXT) | instid1(VALU_DEP_1)
	v_cndmask_b32_e64 v4, 0, 1, s10
	v_cmp_ne_u32_e64 s10, 0, v4
	v_not_b32_e32 v4, v5
	s_delay_alu instid0(VALU_DEP_1) | instskip(SKIP_3) | instid1(VALU_DEP_4)
	v_dual_ashrrev_i32 v4, 31, v4 :: v_dual_lshlrev_b32 v6, 29, v2
	v_dual_lshlrev_b32 v7, 28, v2 :: v_dual_lshlrev_b32 v38, 27, v2
	v_lshlrev_b32_e32 v39, 26, v2
	v_mul_lo_u32 v3, 0x44, v2
	v_cmp_gt_i32_e64 s12, 0, v6
	v_not_b32_e32 v5, v6
	v_not_b32_e32 v6, v7
	v_cmp_gt_i32_e64 s13, 0, v7
	v_xor_b32_e32 v1, s10, v1
	s_delay_alu instid0(VALU_DEP_4) | instskip(NEXT) | instid1(VALU_DEP_4)
	v_dual_ashrrev_i32 v5, 31, v5 :: v_dual_bitop2_b32 v4, s11, v4 bitop3:0x14
	v_ashrrev_i32_e32 v6, 31, v6
	v_dual_lshlrev_b32 v40, 25, v2 :: v_dual_lshlrev_b32 v2, 24, v2
	v_not_b32_e32 v7, v38
	v_not_b32_e32 v41, v39
	v_xor_b32_e32 v5, s12, v5
	v_xor_b32_e32 v6, s13, v6
	v_bitop3_b32 v1, v1, v4, exec_lo bitop3:0x80
	v_cmp_gt_i32_e64 s10, 0, v38
	v_ashrrev_i32_e32 v4, 31, v7
	v_cmp_gt_i32_e64 s11, 0, v39
	v_ashrrev_i32_e32 v7, 31, v41
	v_bitop3_b32 v1, v1, v6, v5 bitop3:0x80
	v_not_b32_e32 v5, v40
	v_not_b32_e32 v6, v2
	v_xor_b32_e32 v4, s10, v4
	v_xor_b32_e32 v7, s11, v7
	v_cmp_gt_i32_e64 s10, 0, v40
	v_ashrrev_i32_e32 v5, 31, v5
	v_cmp_gt_i32_e64 s11, 0, v2
	v_dual_ashrrev_i32 v2, 31, v6 :: v_dual_add_nc_u32 v40, v0, v3
	v_bitop3_b32 v1, v1, v7, v4 bitop3:0x80
	s_delay_alu instid0(VALU_DEP_4) | instskip(NEXT) | instid1(VALU_DEP_3)
	v_xor_b32_e32 v3, s10, v5
	v_xor_b32_e32 v2, s11, v2
	ds_load_b32 v38, v40 offset:64
	; wave barrier
	v_bitop3_b32 v1, v1, v2, v3 bitop3:0x80
	s_delay_alu instid0(VALU_DEP_1) | instskip(SKIP_1) | instid1(VALU_DEP_2)
	v_mbcnt_lo_u32_b32 v39, v1, 0
	v_cmp_ne_u32_e64 s11, 0, v1
	v_cmp_eq_u32_e64 s10, 0, v39
	s_and_b32 s11, s11, s10
	s_delay_alu instid0(SALU_CYCLE_1)
	s_and_saveexec_b32 s10, s11
	s_cbranch_execz .LBB193_33
; %bb.32:
	s_wait_dscnt 0x0
	v_bcnt_u32_b32 v1, v1, v38
	ds_store_b32 v40, v1 offset:64
.LBB193_33:
	s_or_b32 exec_lo, exec_lo, s10
	v_lshrrev_b32_e32 v1, s28, v16
	; wave barrier
	s_delay_alu instid0(VALU_DEP_1) | instskip(NEXT) | instid1(VALU_DEP_1)
	v_and_b32_e32 v2, s15, v1
	v_lshlrev_b32_e32 v5, 30, v2
	v_bitop3_b32 v1, v1, 1, s15 bitop3:0x80
	s_delay_alu instid0(VALU_DEP_2) | instskip(NEXT) | instid1(VALU_DEP_2)
	v_cmp_gt_i32_e64 s11, 0, v5
	v_add_co_u32 v1, s10, v1, -1
	s_delay_alu instid0(VALU_DEP_1) | instskip(NEXT) | instid1(VALU_DEP_1)
	v_cndmask_b32_e64 v4, 0, 1, s10
	v_cmp_ne_u32_e64 s10, 0, v4
	v_not_b32_e32 v4, v5
	s_delay_alu instid0(VALU_DEP_1) | instskip(SKIP_3) | instid1(VALU_DEP_4)
	v_dual_ashrrev_i32 v4, 31, v4 :: v_dual_lshlrev_b32 v6, 29, v2
	v_dual_lshlrev_b32 v7, 28, v2 :: v_dual_lshlrev_b32 v41, 27, v2
	v_lshlrev_b32_e32 v42, 26, v2
	v_mul_lo_u32 v3, 0x44, v2
	v_cmp_gt_i32_e64 s12, 0, v6
	v_not_b32_e32 v5, v6
	v_not_b32_e32 v6, v7
	v_cmp_gt_i32_e64 s13, 0, v7
	v_xor_b32_e32 v1, s10, v1
	s_delay_alu instid0(VALU_DEP_4) | instskip(NEXT) | instid1(VALU_DEP_4)
	v_dual_ashrrev_i32 v5, 31, v5 :: v_dual_bitop2_b32 v4, s11, v4 bitop3:0x14
	v_ashrrev_i32_e32 v6, 31, v6
	v_dual_lshlrev_b32 v43, 25, v2 :: v_dual_lshlrev_b32 v2, 24, v2
	v_not_b32_e32 v7, v41
	v_not_b32_e32 v44, v42
	v_xor_b32_e32 v5, s12, v5
	v_xor_b32_e32 v6, s13, v6
	v_bitop3_b32 v1, v1, v4, exec_lo bitop3:0x80
	v_cmp_gt_i32_e64 s10, 0, v41
	v_ashrrev_i32_e32 v4, 31, v7
	v_cmp_gt_i32_e64 s11, 0, v42
	v_ashrrev_i32_e32 v7, 31, v44
	v_bitop3_b32 v1, v1, v6, v5 bitop3:0x80
	v_not_b32_e32 v5, v43
	v_not_b32_e32 v6, v2
	v_xor_b32_e32 v4, s10, v4
	v_xor_b32_e32 v7, s11, v7
	v_cmp_gt_i32_e64 s10, 0, v43
	v_ashrrev_i32_e32 v5, 31, v5
	v_cmp_gt_i32_e64 s11, 0, v2
	v_dual_ashrrev_i32 v2, 31, v6 :: v_dual_add_nc_u32 v43, v0, v3
	v_bitop3_b32 v1, v1, v7, v4 bitop3:0x80
	s_delay_alu instid0(VALU_DEP_4) | instskip(NEXT) | instid1(VALU_DEP_3)
	v_xor_b32_e32 v3, s10, v5
	v_xor_b32_e32 v2, s11, v2
	ds_load_b32 v41, v43 offset:64
	; wave barrier
	v_bitop3_b32 v1, v1, v2, v3 bitop3:0x80
	s_delay_alu instid0(VALU_DEP_1) | instskip(SKIP_1) | instid1(VALU_DEP_2)
	v_mbcnt_lo_u32_b32 v42, v1, 0
	v_cmp_ne_u32_e64 s11, 0, v1
	v_cmp_eq_u32_e64 s10, 0, v42
	s_and_b32 s11, s11, s10
	s_delay_alu instid0(SALU_CYCLE_1)
	s_and_saveexec_b32 s10, s11
	s_cbranch_execz .LBB193_35
; %bb.34:
	s_wait_dscnt 0x0
	v_bcnt_u32_b32 v1, v1, v41
	ds_store_b32 v43, v1 offset:64
.LBB193_35:
	s_or_b32 exec_lo, exec_lo, s10
	v_lshrrev_b32_e32 v1, s28, v15
	; wave barrier
	s_delay_alu instid0(VALU_DEP_1) | instskip(NEXT) | instid1(VALU_DEP_1)
	v_and_b32_e32 v2, s15, v1
	v_lshlrev_b32_e32 v5, 30, v2
	v_bitop3_b32 v1, v1, 1, s15 bitop3:0x80
	s_delay_alu instid0(VALU_DEP_2) | instskip(NEXT) | instid1(VALU_DEP_2)
	v_cmp_gt_i32_e64 s11, 0, v5
	v_add_co_u32 v1, s10, v1, -1
	s_delay_alu instid0(VALU_DEP_1) | instskip(NEXT) | instid1(VALU_DEP_1)
	v_cndmask_b32_e64 v4, 0, 1, s10
	v_cmp_ne_u32_e64 s10, 0, v4
	v_not_b32_e32 v4, v5
	s_delay_alu instid0(VALU_DEP_1) | instskip(SKIP_3) | instid1(VALU_DEP_4)
	v_dual_ashrrev_i32 v4, 31, v4 :: v_dual_lshlrev_b32 v6, 29, v2
	v_dual_lshlrev_b32 v7, 28, v2 :: v_dual_lshlrev_b32 v44, 27, v2
	v_lshlrev_b32_e32 v45, 26, v2
	v_mul_lo_u32 v3, 0x44, v2
	v_cmp_gt_i32_e64 s12, 0, v6
	v_not_b32_e32 v5, v6
	v_not_b32_e32 v6, v7
	v_cmp_gt_i32_e64 s13, 0, v7
	v_xor_b32_e32 v1, s10, v1
	s_delay_alu instid0(VALU_DEP_4) | instskip(NEXT) | instid1(VALU_DEP_4)
	v_dual_ashrrev_i32 v5, 31, v5 :: v_dual_bitop2_b32 v4, s11, v4 bitop3:0x14
	v_ashrrev_i32_e32 v6, 31, v6
	v_dual_lshlrev_b32 v46, 25, v2 :: v_dual_lshlrev_b32 v2, 24, v2
	v_not_b32_e32 v7, v44
	v_not_b32_e32 v47, v45
	v_xor_b32_e32 v5, s12, v5
	v_xor_b32_e32 v6, s13, v6
	v_bitop3_b32 v1, v1, v4, exec_lo bitop3:0x80
	v_cmp_gt_i32_e64 s10, 0, v44
	v_ashrrev_i32_e32 v4, 31, v7
	v_cmp_gt_i32_e64 s11, 0, v45
	v_ashrrev_i32_e32 v7, 31, v47
	v_bitop3_b32 v1, v1, v6, v5 bitop3:0x80
	v_not_b32_e32 v5, v46
	v_not_b32_e32 v6, v2
	v_xor_b32_e32 v4, s10, v4
	v_xor_b32_e32 v7, s11, v7
	v_cmp_gt_i32_e64 s10, 0, v46
	v_ashrrev_i32_e32 v5, 31, v5
	v_cmp_gt_i32_e64 s11, 0, v2
	v_dual_ashrrev_i32 v2, 31, v6 :: v_dual_add_nc_u32 v46, v0, v3
	v_bitop3_b32 v0, v1, v7, v4 bitop3:0x80
	s_delay_alu instid0(VALU_DEP_4) | instskip(NEXT) | instid1(VALU_DEP_3)
	v_xor_b32_e32 v1, s10, v5
	v_xor_b32_e32 v2, s11, v2
	ds_load_b32 v44, v46 offset:64
	; wave barrier
	v_bitop3_b32 v0, v0, v2, v1 bitop3:0x80
	s_delay_alu instid0(VALU_DEP_1) | instskip(SKIP_1) | instid1(VALU_DEP_2)
	v_mbcnt_lo_u32_b32 v45, v0, 0
	v_cmp_ne_u32_e64 s11, 0, v0
	v_cmp_eq_u32_e64 s10, 0, v45
	s_and_b32 s11, s11, s10
	s_delay_alu instid0(SALU_CYCLE_1)
	s_and_saveexec_b32 s10, s11
	s_cbranch_execz .LBB193_37
; %bb.36:
	s_wait_dscnt 0x0
	v_bcnt_u32_b32 v0, v0, v44
	ds_store_b32 v46, v0 offset:64
.LBB193_37:
	s_or_b32 exec_lo, exec_lo, s10
	; wave barrier
	s_wait_dscnt 0x0
	s_barrier_signal -1
	s_barrier_wait -1
	ds_load_2addr_b32 v[6:7], v24 offset0:16 offset1:17
	ds_load_2addr_b32 v[4:5], v24 offset0:18 offset1:19
	;; [unrolled: 1-line block ×4, first 2 shown]
	ds_load_b32 v47, v24 offset:96
	v_bfe_i32 v50, v20, 4, 1
	s_mov_b32 s41, exec_lo
	s_wait_dscnt 0x3
	v_add3_u32 v48, v7, v6, v4
	s_wait_dscnt 0x2
	s_delay_alu instid0(VALU_DEP_1) | instskip(SKIP_1) | instid1(VALU_DEP_1)
	v_add3_u32 v48, v48, v5, v2
	s_wait_dscnt 0x1
	v_add3_u32 v48, v48, v3, v0
	s_wait_dscnt 0x0
	s_delay_alu instid0(VALU_DEP_1) | instskip(SKIP_1) | instid1(VALU_DEP_2)
	v_add3_u32 v47, v48, v1, v47
	v_and_b32_e32 v48, 15, v20
	v_mov_b32_dpp v49, v47 row_shr:1 row_mask:0xf bank_mask:0xf
	s_delay_alu instid0(VALU_DEP_2) | instskip(NEXT) | instid1(VALU_DEP_1)
	v_cmp_eq_u32_e64 s10, 0, v48
	v_cndmask_b32_e64 v49, v49, 0, s10
	s_delay_alu instid0(VALU_DEP_1) | instskip(SKIP_3) | instid1(VALU_DEP_4)
	v_add_nc_u32_e32 v47, v49, v47
	v_cmp_lt_u32_e64 s11, 1, v48
	v_cmp_lt_u32_e64 s12, 3, v48
	;; [unrolled: 1-line block ×3, first 2 shown]
	v_mov_b32_dpp v49, v47 row_shr:2 row_mask:0xf bank_mask:0xf
	s_delay_alu instid0(VALU_DEP_1) | instskip(NEXT) | instid1(VALU_DEP_1)
	v_cndmask_b32_e64 v49, 0, v49, s11
	v_add_nc_u32_e32 v47, v47, v49
	s_delay_alu instid0(VALU_DEP_1) | instskip(NEXT) | instid1(VALU_DEP_1)
	v_mov_b32_dpp v49, v47 row_shr:4 row_mask:0xf bank_mask:0xf
	v_cndmask_b32_e64 v49, 0, v49, s12
	s_delay_alu instid0(VALU_DEP_1) | instskip(NEXT) | instid1(VALU_DEP_1)
	v_add_nc_u32_e32 v47, v47, v49
	v_mov_b32_dpp v49, v47 row_shr:8 row_mask:0xf bank_mask:0xf
	s_delay_alu instid0(VALU_DEP_1) | instskip(SKIP_1) | instid1(VALU_DEP_2)
	v_cndmask_b32_e64 v48, 0, v49, s13
	v_and_b32_e32 v49, 0x3e0, v18
	v_add_nc_u32_e32 v47, v47, v48
	s_delay_alu instid0(VALU_DEP_2) | instskip(SKIP_3) | instid1(VALU_DEP_1)
	v_min_u32_e32 v49, 0x1e0, v49
	ds_swizzle_b32 v48, v47 offset:swizzle(BROADCAST,32,15)
	s_wait_dscnt 0x0
	v_dual_lshrrev_b32 v48, 5, v18 :: v_dual_bitop2_b32 v50, v50, v48 bitop3:0x40
	v_dual_add_nc_u32 v47, v47, v50 :: v_dual_bitop2_b32 v49, 31, v49 bitop3:0x54
	s_delay_alu instid0(VALU_DEP_1)
	v_cmpx_eq_u32_e64 v18, v49
; %bb.38:
	s_delay_alu instid0(VALU_DEP_3)
	v_lshlrev_b32_e32 v49, 2, v48
	ds_store_b32 v49, v47
; %bb.39:
	s_or_b32 exec_lo, exec_lo, s41
	s_delay_alu instid0(SALU_CYCLE_1)
	s_mov_b32 s41, exec_lo
	s_wait_dscnt 0x0
	s_barrier_signal -1
	s_barrier_wait -1
	v_cmpx_gt_u32_e32 16, v18
	s_cbranch_execz .LBB193_41
; %bb.40:
	v_lshlrev_b32_e32 v49, 2, v18
	ds_load_b32 v50, v49
	s_wait_dscnt 0x0
	v_mov_b32_dpp v51, v50 row_shr:1 row_mask:0xf bank_mask:0xf
	s_delay_alu instid0(VALU_DEP_1) | instskip(NEXT) | instid1(VALU_DEP_1)
	v_cndmask_b32_e64 v51, v51, 0, s10
	v_add_nc_u32_e32 v50, v51, v50
	s_delay_alu instid0(VALU_DEP_1) | instskip(NEXT) | instid1(VALU_DEP_1)
	v_mov_b32_dpp v51, v50 row_shr:2 row_mask:0xf bank_mask:0xf
	v_cndmask_b32_e64 v51, 0, v51, s11
	s_delay_alu instid0(VALU_DEP_1) | instskip(NEXT) | instid1(VALU_DEP_1)
	v_add_nc_u32_e32 v50, v50, v51
	v_mov_b32_dpp v51, v50 row_shr:4 row_mask:0xf bank_mask:0xf
	s_delay_alu instid0(VALU_DEP_1) | instskip(NEXT) | instid1(VALU_DEP_1)
	v_cndmask_b32_e64 v51, 0, v51, s12
	v_add_nc_u32_e32 v50, v50, v51
	s_delay_alu instid0(VALU_DEP_1) | instskip(NEXT) | instid1(VALU_DEP_1)
	v_mov_b32_dpp v51, v50 row_shr:8 row_mask:0xf bank_mask:0xf
	v_cndmask_b32_e64 v51, 0, v51, s13
	s_delay_alu instid0(VALU_DEP_1)
	v_add_nc_u32_e32 v50, v50, v51
	ds_store_b32 v49, v50
.LBB193_41:
	s_or_b32 exec_lo, exec_lo, s41
	v_mov_b32_e32 v49, 0
	s_mov_b32 s11, exec_lo
	s_wait_dscnt 0x0
	s_barrier_signal -1
	s_barrier_wait -1
	v_cmpx_lt_u32_e32 31, v18
; %bb.42:
	v_lshl_add_u32 v48, v48, 2, -4
	ds_load_b32 v49, v48
; %bb.43:
	s_or_b32 exec_lo, exec_lo, s11
	v_sub_co_u32 v48, s10, v20, 1
	s_wait_dscnt 0x0
	v_add_nc_u32_e32 v47, v49, v47
	s_delay_alu instid0(VALU_DEP_2) | instskip(NEXT) | instid1(VALU_DEP_1)
	v_cmp_gt_i32_e64 s11, 0, v48
	v_cndmask_b32_e64 v48, v48, v20, s11
	v_cmp_gt_u32_e64 s11, 0x100, v18
	s_delay_alu instid0(VALU_DEP_2) | instskip(SKIP_4) | instid1(VALU_DEP_2)
	v_lshlrev_b32_e32 v48, 2, v48
	ds_bpermute_b32 v47, v48, v47
	s_wait_dscnt 0x0
	v_cndmask_b32_e64 v47, v47, v49, s10
	v_cmp_lt_u32_e64 s10, 0xff, v18
	v_cndmask_b32_e64 v47, v47, 0, s4
	s_delay_alu instid0(VALU_DEP_1) | instskip(NEXT) | instid1(VALU_DEP_1)
	v_add_nc_u32_e32 v6, v47, v6
	v_add_nc_u32_e32 v7, v6, v7
	s_delay_alu instid0(VALU_DEP_1) | instskip(NEXT) | instid1(VALU_DEP_1)
	v_add_nc_u32_e32 v4, v7, v4
	v_add_nc_u32_e32 v5, v4, v5
	;; [unrolled: 3-line block ×4, first 2 shown]
	ds_store_2addr_b32 v24, v47, v6 offset0:16 offset1:17
	ds_store_2addr_b32 v24, v7, v4 offset0:18 offset1:19
	;; [unrolled: 1-line block ×4, first 2 shown]
	ds_store_b32 v24, v1 offset:96
	s_wait_dscnt 0x0
	s_barrier_signal -1
	s_barrier_wait -1
	ds_load_b32 v0, v25 offset:64
	ds_load_b32 v1, v28 offset:64
	;; [unrolled: 1-line block ×8, first 2 shown]
                                        ; implicit-def: $vgpr24
                                        ; implicit-def: $vgpr25
	s_and_saveexec_b32 s13, s11
	s_cbranch_execz .LBB193_47
; %bb.44:
	v_mul_u32_u24_e32 v24, 0x44, v18
	v_dual_mov_b32 v25, 0x1000 :: v_dual_add_nc_u32 v28, 1, v18
	s_mov_b32 s14, exec_lo
	ds_load_b32 v24, v24 offset:64
	v_cmpx_ne_u32_e32 0x100, v28
; %bb.45:
	v_mul_u32_u24_e32 v25, 0x44, v28
	ds_load_b32 v25, v25 offset:64
; %bb.46:
	s_or_b32 exec_lo, exec_lo, s14
	s_wait_dscnt 0x0
	v_sub_nc_u32_e32 v25, v25, v24
.LBB193_47:
	s_or_b32 exec_lo, exec_lo, s13
	s_wait_dscnt 0x6
	v_add3_u32 v26, v27, v26, v1
	v_add_nc_u32_e32 v28, v0, v17
	s_wait_dscnt 0x5
	v_add3_u32 v27, v30, v29, v2
	s_wait_dscnt 0x4
	v_add3_u32 v29, v33, v32, v3
	;; [unrolled: 2-line block ×4, first 2 shown]
	v_dual_lshlrev_b32 v1, 2, v26 :: v_dual_lshlrev_b32 v0, 2, v28
	v_lshlrev_b32_e32 v2, 2, v27
	v_add3_u32 v31, v39, v38, v5
	v_add3_u32 v32, v42, v41, v6
	v_lshlrev_b32_e32 v3, 2, v29
	s_barrier_signal -1
	s_barrier_wait -1
	ds_store_b32 v0, v10 offset:1024
	ds_store_b32 v1, v9 offset:1024
	;; [unrolled: 1-line block ×4, first 2 shown]
	v_dual_lshlrev_b32 v0, 2, v30 :: v_dual_lshlrev_b32 v4, 2, v33
	v_dual_mov_b32 v1, 0 :: v_dual_lshlrev_b32 v34, 2, v18
	v_dual_lshlrev_b32 v2, 2, v31 :: v_dual_lshlrev_b32 v3, 2, v32
	ds_store_b32 v0, v14 offset:1024
	ds_store_b32 v2, v13 offset:1024
	;; [unrolled: 1-line block ×4, first 2 shown]
	s_and_saveexec_b32 s12, s11
	s_cbranch_execz .LBB193_57
; %bb.48:
	v_lshl_add_u32 v0, s31, 8, v18
	v_dual_mov_b32 v6, 0 :: v_dual_bitop2_b32 v4, 2.0, v25 bitop3:0x54
	s_mov_b32 s13, 0
	s_mov_b32 s14, s31
	s_delay_alu instid0(VALU_DEP_2)
	v_lshl_add_u64 v[2:3], v[0:1], 2, s[34:35]
	global_store_b32 v0, v4, s[34:35] scale_offset scope:SCOPE_DEV
                                        ; implicit-def: $sgpr11
	s_branch .LBB193_51
.LBB193_49:                             ;   in Loop: Header=BB193_51 Depth=1
	s_or_b32 exec_lo, exec_lo, s42
.LBB193_50:                             ;   in Loop: Header=BB193_51 Depth=1
	s_delay_alu instid0(SALU_CYCLE_1) | instskip(SKIP_2) | instid1(VALU_DEP_2)
	s_or_b32 exec_lo, exec_lo, s41
	v_and_b32_e32 v0, 0x3fffffff, v7
	v_cmp_gt_i32_e64 s11, -2.0, v7
	v_add_nc_u32_e32 v6, v0, v6
	s_and_b32 s41, exec_lo, s11
	s_delay_alu instid0(SALU_CYCLE_1) | instskip(NEXT) | instid1(SALU_CYCLE_1)
	s_or_b32 s13, s41, s13
	s_and_not1_b32 exec_lo, exec_lo, s13
	s_cbranch_execz .LBB193_56
.LBB193_51:                             ; =>This Loop Header: Depth=1
                                        ;     Child Loop BB193_54 Depth 2
	s_or_b32 s11, s11, exec_lo
	s_cmp_eq_u32 s14, 0
	s_cbranch_scc1 .LBB193_55
; %bb.52:                               ;   in Loop: Header=BB193_51 Depth=1
	s_add_co_i32 s14, s14, -1
	s_mov_b32 s41, exec_lo
	s_wait_xcnt 0x0
	v_lshl_or_b32 v0, s14, 8, v18
	global_load_b32 v7, v0, s[34:35] scale_offset scope:SCOPE_DEV
	s_wait_loadcnt 0x0
	v_cmpx_gt_u32_e32 2.0, v7
	s_cbranch_execz .LBB193_50
; %bb.53:                               ;   in Loop: Header=BB193_51 Depth=1
	v_lshl_add_u64 v[4:5], v[0:1], 2, s[34:35]
	s_mov_b32 s42, 0
.LBB193_54:                             ;   Parent Loop BB193_51 Depth=1
                                        ; =>  This Inner Loop Header: Depth=2
	global_load_b32 v7, v[4:5], off scope:SCOPE_DEV
	s_wait_loadcnt 0x0
	v_cmp_lt_u32_e64 s11, 0x3fffffff, v7
	s_or_b32 s42, s11, s42
	s_wait_xcnt 0x0
	s_and_not1_b32 exec_lo, exec_lo, s42
	s_cbranch_execnz .LBB193_54
	s_branch .LBB193_49
.LBB193_55:                             ;   in Loop: Header=BB193_51 Depth=1
                                        ; implicit-def: $sgpr14
	s_and_b32 s41, exec_lo, s11
	s_delay_alu instid0(SALU_CYCLE_1)
	s_or_b32 s13, s41, s13
	s_wait_xcnt 0x0
	s_and_not1_b32 exec_lo, exec_lo, s13
	s_cbranch_execnz .LBB193_51
.LBB193_56:
	s_or_b32 exec_lo, exec_lo, s13
	v_dual_add_nc_u32 v0, v6, v25 :: v_dual_sub_nc_u32 v1, v6, v24
	s_delay_alu instid0(VALU_DEP_1)
	v_or_b32_e32 v0, 0x80000000, v0
	global_store_b32 v[2:3], v0, off scope:SCOPE_DEV
	global_load_b32 v0, v18, s[24:25] scale_offset
	s_wait_loadcnt 0x0
	v_add_nc_u32_e32 v0, v1, v0
	ds_store_b32 v34, v0
.LBB193_57:
	s_wait_xcnt 0x0
	s_or_b32 exec_lo, exec_lo, s12
	v_lshl_add_u32 v35, v19, 5, 0x4850
	s_mov_b32 s12, exec_lo
	s_wait_storecnt_dscnt 0x0
	s_barrier_signal -1
	s_barrier_wait -1
	v_cmpx_gt_u32_e64 s30, v18
	s_cbranch_execz .LBB193_59
; %bb.58:
	ds_load_b32 v0, v34 offset:1024
	s_wait_dscnt 0x0
	v_lshrrev_b32_e32 v1, s28, v0
	s_delay_alu instid0(VALU_DEP_1) | instskip(NEXT) | instid1(VALU_DEP_1)
	v_and_b32_e32 v1, s15, v1
	v_lshlrev_b32_e32 v2, 2, v1
	ds_store_b32 v35, v1
	ds_load_b32 v2, v2
	s_wait_dscnt 0x0
	v_add_nc_u32_e32 v2, v2, v18
	global_store_b32 v2, v0, s[18:19] scale_offset
.LBB193_59:
	s_wait_xcnt 0x0
	s_or_b32 exec_lo, exec_lo, s12
	v_add_nc_u32_e32 v0, 0x200, v18
	s_mov_b32 s12, exec_lo
	s_delay_alu instid0(VALU_DEP_1)
	v_cmpx_gt_u32_e64 s30, v0
	s_cbranch_execz .LBB193_61
; %bb.60:
	ds_load_b32 v1, v34 offset:3072
	s_wait_dscnt 0x0
	v_lshrrev_b32_e32 v2, s28, v1
	s_delay_alu instid0(VALU_DEP_1) | instskip(NEXT) | instid1(VALU_DEP_1)
	v_and_b32_e32 v2, s15, v2
	v_lshlrev_b32_e32 v3, 2, v2
	ds_store_b32 v35, v2 offset:4
	ds_load_b32 v3, v3
	s_wait_dscnt 0x0
	v_add_nc_u32_e32 v0, v3, v0
	global_store_b32 v0, v1, s[18:19] scale_offset
.LBB193_61:
	s_wait_xcnt 0x0
	s_or_b32 exec_lo, exec_lo, s12
	v_or_b32_e32 v0, 0x400, v18
	s_mov_b32 s12, exec_lo
	s_delay_alu instid0(VALU_DEP_1)
	v_cmpx_gt_u32_e64 s30, v0
	s_cbranch_execz .LBB193_63
; %bb.62:
	ds_load_b32 v1, v34 offset:5120
	s_wait_dscnt 0x0
	v_lshrrev_b32_e32 v2, s28, v1
	s_delay_alu instid0(VALU_DEP_1) | instskip(NEXT) | instid1(VALU_DEP_1)
	v_and_b32_e32 v2, s15, v2
	v_lshlrev_b32_e32 v3, 2, v2
	ds_store_b32 v35, v2 offset:8
	ds_load_b32 v3, v3
	s_wait_dscnt 0x0
	v_add_nc_u32_e32 v0, v3, v0
	global_store_b32 v0, v1, s[18:19] scale_offset
.LBB193_63:
	s_wait_xcnt 0x0
	s_or_b32 exec_lo, exec_lo, s12
	v_add_nc_u32_e32 v0, 0x600, v18
	s_mov_b32 s12, exec_lo
	s_delay_alu instid0(VALU_DEP_1)
	v_cmpx_gt_u32_e64 s30, v0
	s_cbranch_execz .LBB193_65
; %bb.64:
	ds_load_b32 v1, v34 offset:7168
	s_wait_dscnt 0x0
	v_lshrrev_b32_e32 v2, s28, v1
	s_delay_alu instid0(VALU_DEP_1) | instskip(NEXT) | instid1(VALU_DEP_1)
	v_and_b32_e32 v2, s15, v2
	v_lshlrev_b32_e32 v3, 2, v2
	ds_store_b32 v35, v2 offset:12
	ds_load_b32 v3, v3
	s_wait_dscnt 0x0
	v_add_nc_u32_e32 v0, v3, v0
	global_store_b32 v0, v1, s[18:19] scale_offset
.LBB193_65:
	s_wait_xcnt 0x0
	s_or_b32 exec_lo, exec_lo, s12
	v_or_b32_e32 v0, 0x800, v18
	v_add_nc_u32_e32 v36, 16, v35
	s_mov_b32 s12, exec_lo
	s_delay_alu instid0(VALU_DEP_2)
	v_cmpx_gt_u32_e64 s30, v0
	s_cbranch_execz .LBB193_67
; %bb.66:
	ds_load_b32 v1, v34 offset:9216
	s_wait_dscnt 0x0
	v_lshrrev_b32_e32 v2, s28, v1
	s_delay_alu instid0(VALU_DEP_1) | instskip(NEXT) | instid1(VALU_DEP_1)
	v_and_b32_e32 v2, s15, v2
	v_lshlrev_b32_e32 v3, 2, v2
	ds_store_b32 v36, v2
	ds_load_b32 v3, v3
	s_wait_dscnt 0x0
	v_add_nc_u32_e32 v0, v3, v0
	global_store_b32 v0, v1, s[18:19] scale_offset
.LBB193_67:
	s_wait_xcnt 0x0
	s_or_b32 exec_lo, exec_lo, s12
	v_add_nc_u32_e32 v0, 0xa00, v18
	s_mov_b32 s12, exec_lo
	s_delay_alu instid0(VALU_DEP_1)
	v_cmpx_gt_u32_e64 s30, v0
	s_cbranch_execz .LBB193_69
; %bb.68:
	ds_load_b32 v1, v34 offset:11264
	s_wait_dscnt 0x0
	v_lshrrev_b32_e32 v2, s28, v1
	s_delay_alu instid0(VALU_DEP_1) | instskip(NEXT) | instid1(VALU_DEP_1)
	v_and_b32_e32 v2, s15, v2
	v_lshlrev_b32_e32 v3, 2, v2
	ds_store_b32 v35, v2 offset:20
	ds_load_b32 v3, v3
	s_wait_dscnt 0x0
	v_add_nc_u32_e32 v0, v3, v0
	global_store_b32 v0, v1, s[18:19] scale_offset
.LBB193_69:
	s_wait_xcnt 0x0
	s_or_b32 exec_lo, exec_lo, s12
	v_or_b32_e32 v0, 0xc00, v18
	s_mov_b32 s12, exec_lo
	s_delay_alu instid0(VALU_DEP_1)
	v_cmpx_gt_u32_e64 s30, v0
	s_cbranch_execz .LBB193_71
; %bb.70:
	ds_load_b32 v1, v34 offset:13312
	s_wait_dscnt 0x0
	v_lshrrev_b32_e32 v2, s28, v1
	s_delay_alu instid0(VALU_DEP_1) | instskip(NEXT) | instid1(VALU_DEP_1)
	v_and_b32_e32 v2, s15, v2
	v_lshlrev_b32_e32 v3, 2, v2
	ds_store_b32 v35, v2 offset:24
	ds_load_b32 v3, v3
	s_wait_dscnt 0x0
	v_add_nc_u32_e32 v0, v3, v0
	global_store_b32 v0, v1, s[18:19] scale_offset
.LBB193_71:
	s_wait_xcnt 0x0
	s_or_b32 exec_lo, exec_lo, s12
	v_add_nc_u32_e32 v0, 0xe00, v18
	s_mov_b32 s12, exec_lo
	s_delay_alu instid0(VALU_DEP_1)
	v_cmpx_gt_u32_e64 s30, v0
	s_cbranch_execz .LBB193_73
; %bb.72:
	ds_load_b32 v1, v34 offset:15360
	s_wait_dscnt 0x0
	v_lshrrev_b32_e32 v2, s28, v1
	s_delay_alu instid0(VALU_DEP_1) | instskip(NEXT) | instid1(VALU_DEP_1)
	v_and_b32_e32 v2, s15, v2
	v_lshlrev_b32_e32 v3, 2, v2
	ds_store_b32 v35, v2 offset:28
	ds_load_b32 v3, v3
	s_wait_dscnt 0x0
	v_add_nc_u32_e32 v0, v3, v0
	global_store_b32 v0, v1, s[18:19] scale_offset
.LBB193_73:
	s_wait_xcnt 0x0
	s_or_b32 exec_lo, exec_lo, s12
	v_dual_mov_b32 v0, 0 :: v_dual_lshlrev_b32 v2, 3, v20
	s_lshl_b64 s[12:13], s[38:39], 3
	v_lshlrev_b32_e32 v4, 3, v8
	s_add_nc_u64 s[12:13], s[20:21], s[12:13]
	s_delay_alu instid0(VALU_DEP_2) | instskip(NEXT) | instid1(VALU_DEP_1)
	v_dual_mov_b32 v3, v0 :: v_dual_mov_b32 v5, v0
	v_add_nc_u64_e32 v[2:3], s[12:13], v[2:3]
	s_delay_alu instid0(VALU_DEP_1)
	v_add_nc_u64_e32 v[16:17], v[2:3], v[4:5]
	v_dual_mov_b32 v2, 0 :: v_dual_mov_b32 v3, 0
	s_and_saveexec_b32 s11, s9
	s_cbranch_execz .LBB193_75
; %bb.74:
	global_load_b64 v[2:3], v[16:17], off
.LBB193_75:
	s_wait_xcnt 0x0
	s_or_b32 exec_lo, exec_lo, s11
	v_mov_b32_e32 v1, 0
	s_and_saveexec_b32 s9, s8
	s_cbranch_execz .LBB193_77
; %bb.76:
	global_load_b64 v[0:1], v[16:17], off offset:256
.LBB193_77:
	s_wait_xcnt 0x0
	s_or_b32 exec_lo, exec_lo, s9
	v_dual_mov_b32 v4, 0 :: v_dual_mov_b32 v6, 0
	v_mov_b32_e32 v7, 0
	s_and_saveexec_b32 s8, s7
	s_cbranch_execz .LBB193_79
; %bb.78:
	global_load_b64 v[6:7], v[16:17], off offset:512
.LBB193_79:
	s_wait_xcnt 0x0
	s_or_b32 exec_lo, exec_lo, s8
	v_mov_b32_e32 v5, 0
	s_and_saveexec_b32 s7, s6
	s_cbranch_execz .LBB193_81
; %bb.80:
	global_load_b64 v[4:5], v[16:17], off offset:768
.LBB193_81:
	s_wait_xcnt 0x0
	s_or_b32 exec_lo, exec_lo, s7
	v_dual_mov_b32 v8, 0 :: v_dual_mov_b32 v10, 0
	v_mov_b32_e32 v11, 0
	s_and_saveexec_b32 s6, s5
	s_cbranch_execz .LBB193_83
; %bb.82:
	global_load_b64 v[10:11], v[16:17], off offset:1024
.LBB193_83:
	;; [unrolled: 17-line block ×3, first 2 shown]
	s_wait_xcnt 0x0
	s_or_b32 exec_lo, exec_lo, s1
	v_mov_b32_e32 v13, 0
	s_and_saveexec_b32 s0, vcc_lo
	s_cbranch_execz .LBB193_89
; %bb.88:
	global_load_b64 v[12:13], v[16:17], off offset:1792
.LBB193_89:
	s_wait_xcnt 0x0
	s_or_b32 exec_lo, exec_lo, s0
	v_mov_b32_e32 v16, v18
	s_mov_b32 s0, -1
	s_wait_loadcnt 0x0
	s_wait_storecnt 0x0
	s_barrier_signal -1
	s_barrier_wait -1
	s_branch .LBB193_91
.LBB193_90:                             ;   in Loop: Header=BB193_91 Depth=1
	s_wait_xcnt 0x0
	s_or_b32 exec_lo, exec_lo, s1
	v_dual_mov_b32 v35, v36 :: v_dual_add_nc_u32 v16, 0x800, v16
	v_add_nc_u32_e32 v33, 0xfffff800, v33
	v_add_nc_u32_e32 v32, 0xfffff800, v32
	;; [unrolled: 1-line block ×8, first 2 shown]
	s_xor_b32 s0, s0, -1
	s_wait_storecnt 0x0
	s_and_b32 vcc_lo, exec_lo, s0
	s_mov_b32 s0, 0
	s_barrier_signal -1
	s_barrier_wait -1
	s_cbranch_vccnz .LBB193_99
.LBB193_91:                             ; =>This Inner Loop Header: Depth=1
	v_min_u32_e32 v17, 0x800, v28
	v_min_u32_e32 v37, 0x800, v26
	;; [unrolled: 1-line block ×5, first 2 shown]
	v_lshlrev_b32_e32 v17, 3, v17
	s_delay_alu instid0(VALU_DEP_4) | instskip(NEXT) | instid1(VALU_DEP_4)
	v_dual_lshlrev_b32 v37, 3, v37 :: v_dual_lshlrev_b32 v38, 3, v38
	v_lshlrev_b32_e32 v39, 3, v39
	s_mov_b32 s1, exec_lo
	ds_store_b64 v17, v[2:3] offset:1024
	ds_store_b64 v37, v[0:1] offset:1024
	ds_store_b64 v38, v[6:7] offset:1024
	v_min_u32_e32 v17, 0x800, v31
	v_min_u32_e32 v37, 0x800, v32
	v_min_u32_e32 v38, 0x800, v33
	s_delay_alu instid0(VALU_DEP_3) | instskip(NEXT) | instid1(VALU_DEP_2)
	v_dual_lshlrev_b32 v40, 3, v40 :: v_dual_lshlrev_b32 v17, 3, v17
	v_dual_lshlrev_b32 v37, 3, v37 :: v_dual_lshlrev_b32 v38, 3, v38
	ds_store_b64 v39, v[4:5] offset:1024
	ds_store_b64 v40, v[10:11] offset:1024
	;; [unrolled: 1-line block ×5, first 2 shown]
	s_wait_dscnt 0x0
	s_barrier_signal -1
	s_barrier_wait -1
	v_cmpx_gt_u32_e64 s30, v16
	s_cbranch_execz .LBB193_93
; %bb.92:                               ;   in Loop: Header=BB193_91 Depth=1
	ds_load_b32 v17, v35
	s_wait_dscnt 0x0
	v_lshlrev_b32_e32 v17, 2, v17
	ds_load_b32 v17, v17
	ds_load_b64 v[38:39], v23 offset:1024
	s_wait_dscnt 0x1
	v_add_nc_u32_e32 v17, v16, v17
	s_wait_dscnt 0x0
	global_store_b64 v17, v[38:39], s[22:23] scale_offset
.LBB193_93:                             ;   in Loop: Header=BB193_91 Depth=1
	s_wait_xcnt 0x0
	s_or_b32 exec_lo, exec_lo, s1
	v_add_nc_u32_e32 v17, 0x200, v16
	s_mov_b32 s1, exec_lo
	s_delay_alu instid0(VALU_DEP_1)
	v_cmpx_gt_u32_e64 s30, v17
	s_cbranch_execz .LBB193_95
; %bb.94:                               ;   in Loop: Header=BB193_91 Depth=1
	ds_load_b32 v17, v35 offset:4
	s_wait_dscnt 0x0
	v_lshlrev_b32_e32 v17, 2, v17
	ds_load_b32 v17, v17
	ds_load_b64 v[38:39], v23 offset:5120
	s_wait_dscnt 0x1
	v_add3_u32 v17, v16, v17, 0x200
	s_wait_dscnt 0x0
	global_store_b64 v17, v[38:39], s[22:23] scale_offset
.LBB193_95:                             ;   in Loop: Header=BB193_91 Depth=1
	s_wait_xcnt 0x0
	s_or_b32 exec_lo, exec_lo, s1
	v_add_nc_u32_e32 v17, 0x400, v16
	s_mov_b32 s1, exec_lo
	s_delay_alu instid0(VALU_DEP_1)
	v_cmpx_gt_u32_e64 s30, v17
	s_cbranch_execz .LBB193_97
; %bb.96:                               ;   in Loop: Header=BB193_91 Depth=1
	ds_load_b32 v17, v35 offset:8
	s_wait_dscnt 0x0
	v_lshlrev_b32_e32 v17, 2, v17
	ds_load_b32 v17, v17
	ds_load_b64 v[38:39], v23 offset:9216
	s_wait_dscnt 0x1
	v_add3_u32 v17, v16, v17, 0x400
	s_wait_dscnt 0x0
	global_store_b64 v17, v[38:39], s[22:23] scale_offset
.LBB193_97:                             ;   in Loop: Header=BB193_91 Depth=1
	s_wait_xcnt 0x0
	s_or_b32 exec_lo, exec_lo, s1
	v_add_nc_u32_e32 v17, 0x600, v16
	s_mov_b32 s1, exec_lo
	s_delay_alu instid0(VALU_DEP_1)
	v_cmpx_gt_u32_e64 s30, v17
	s_cbranch_execz .LBB193_90
; %bb.98:                               ;   in Loop: Header=BB193_91 Depth=1
	ds_load_b32 v17, v35 offset:12
	s_wait_dscnt 0x0
	v_lshlrev_b32_e32 v17, 2, v17
	ds_load_b32 v17, v17
	ds_load_b64 v[38:39], v23 offset:13312
	s_wait_dscnt 0x1
	v_add3_u32 v17, v16, v17, 0x600
	s_wait_dscnt 0x0
	global_store_b64 v17, v[38:39], s[22:23] scale_offset
	s_branch .LBB193_90
.LBB193_99:
	s_add_co_i32 s40, s40, -1
	s_delay_alu instid0(SALU_CYCLE_1) | instskip(SKIP_2) | instid1(SALU_CYCLE_1)
	s_cmp_eq_u32 s31, s40
	s_cselect_b32 s0, -1, 0
	s_xor_b32 s1, s10, -1
	s_and_b32 s1, s1, s0
	s_delay_alu instid0(SALU_CYCLE_1)
	s_and_saveexec_b32 s0, s1
	s_cbranch_execz .LBB193_101
; %bb.100:
	ds_load_b32 v0, v34
	s_wait_dscnt 0x0
	v_add3_u32 v0, v24, v25, v0
	global_store_b32 v18, v0, s[26:27] scale_offset
.LBB193_101:
	s_wait_xcnt 0x0
	s_or_b32 exec_lo, exec_lo, s0
	s_mov_b32 s0, 0
.LBB193_102:
	s_delay_alu instid0(SALU_CYCLE_1)
	s_and_b32 vcc_lo, exec_lo, s0
	s_cbranch_vccz .LBB193_143
; %bb.103:
	s_lshl_b32 s8, s31, 12
	s_mov_b32 s9, 0
	v_dual_mov_b32 v3, 0 :: v_dual_lshlrev_b32 v2, 2, v20
	s_lshl_b64 s[0:1], s[8:9], 2
	v_and_b32_e32 v8, 0x1f00, v23
	s_add_nc_u64 s[0:1], s[16:17], s[0:1]
	v_mul_u32_u24_e32 v27, 36, v18
	v_add_nc_u64_e32 v[0:1], s[0:1], v[2:3]
	s_bfe_u32 s0, ttmp6, 0x4000c
	v_lshlrev_b32_e32 v2, 2, v8
	s_add_co_i32 s0, s0, 1
	s_and_b32 s1, ttmp6, 15
	s_mul_i32 s0, ttmp9, s0
	s_delay_alu instid0(VALU_DEP_1)
	v_add_nc_u64_e32 v[0:1], v[0:1], v[2:3]
	s_add_co_i32 s1, s1, s0
	s_cmp_eq_u32 s33, 0
	s_clause 0x7
	global_load_b32 v13, v[0:1], off
	global_load_b32 v14, v[0:1], off offset:128
	global_load_b32 v15, v[0:1], off offset:256
	;; [unrolled: 1-line block ×7, first 2 shown]
	s_clause 0x1
	s_load_b32 s10, s[2:3], 0x58
	s_load_u16 s5, s[2:3], 0x66
	s_cselect_b32 s0, ttmp9, s1
	s_mov_b32 s1, s9
	s_wait_kmcnt 0x0
	s_cmp_lt_u32 s0, s10
	v_mad_u32_u24 v1, v22, s5, v21
	s_cselect_b32 s0, 12, 18
	s_lshl_b32 s11, -1, s29
	s_add_nc_u64 s[0:1], s[36:37], s[0:1]
	s_load_u16 s12, s[0:1], 0x0
	ds_store_2addr_b32 v27, v3, v3 offset0:16 offset1:17
	ds_store_2addr_b32 v27, v3, v3 offset0:18 offset1:19
	;; [unrolled: 1-line block ×4, first 2 shown]
	ds_store_b32 v27, v3 offset:96
	s_wait_storecnt 0x0
	s_wait_loadcnt_dscnt 0x0
	s_barrier_signal -1
	s_barrier_wait -1
	; wave barrier
	v_lshrrev_b32_e32 v0, s28, v13
	s_delay_alu instid0(VALU_DEP_1) | instskip(SKIP_2) | instid1(VALU_DEP_2)
	v_bitop3_b32 v2, v0, 1, s11 bitop3:0x40
	v_bitop3_b32 v0, v0, s11, v0 bitop3:0x30
	s_wait_xcnt 0x0
	v_add_co_u32 v2, s0, v2, -1
	s_delay_alu instid0(VALU_DEP_1) | instskip(NEXT) | instid1(VALU_DEP_3)
	v_cndmask_b32_e64 v4, 0, 1, s0
	v_dual_lshlrev_b32 v5, 30, v0 :: v_dual_lshlrev_b32 v6, 29, v0
	v_dual_lshlrev_b32 v7, 28, v0 :: v_dual_lshlrev_b32 v16, 27, v0
	s_delay_alu instid0(VALU_DEP_3) | instskip(NEXT) | instid1(VALU_DEP_3)
	v_cmp_ne_u32_e32 vcc_lo, 0, v4
	v_not_b32_e32 v4, v5
	v_dual_lshlrev_b32 v17, 26, v0 :: v_dual_lshlrev_b32 v21, 25, v0
	v_cmp_gt_i32_e64 s0, 0, v5
	v_cmp_gt_i32_e64 s1, 0, v6
	v_not_b32_e32 v5, v6
	v_not_b32_e32 v6, v7
	v_ashrrev_i32_e32 v4, 31, v4
	v_dual_lshlrev_b32 v22, 24, v0 :: v_dual_bitop2_b32 v2, vcc_lo, v2 bitop3:0x14
	v_cmp_gt_i32_e64 s2, 0, v7
	v_cmp_gt_i32_e64 s3, 0, v16
	v_not_b32_e32 v7, v16
	v_not_b32_e32 v16, v17
	v_dual_ashrrev_i32 v5, 31, v5 :: v_dual_ashrrev_i32 v6, 31, v6
	v_xor_b32_e32 v4, s0, v4
	v_cmp_gt_i32_e64 s5, 0, v17
	v_cmp_gt_i32_e64 s6, 0, v21
	v_not_b32_e32 v17, v21
	v_not_b32_e32 v21, v22
	v_dual_ashrrev_i32 v7, 31, v7 :: v_dual_ashrrev_i32 v16, 31, v16
	v_xor_b32_e32 v5, s1, v5
	v_xor_b32_e32 v6, s2, v6
	v_bitop3_b32 v2, v2, v4, exec_lo bitop3:0x80
	v_cmp_gt_i32_e64 s7, 0, v22
	v_ashrrev_i32_e32 v4, 31, v17
	v_dual_ashrrev_i32 v17, 31, v21 :: v_dual_bitop2_b32 v7, s3, v7 bitop3:0x14
	s_delay_alu instid0(VALU_DEP_4)
	v_bitop3_b32 v2, v2, v6, v5 bitop3:0x80
	s_wait_kmcnt 0x0
	v_mad_u32 v5, v1, s12, v18
	v_xor_b32_e32 v16, s5, v16
	v_xor_b32_e32 v1, s6, v4
	;; [unrolled: 1-line block ×3, first 2 shown]
	s_not_b32 s5, s11
	s_delay_alu instid0(VALU_DEP_3) | instskip(NEXT) | instid1(VALU_DEP_1)
	v_bitop3_b32 v2, v2, v16, v7 bitop3:0x80
	v_bitop3_b32 v1, v2, v4, v1 bitop3:0x80
	v_mul_lo_u32 v2, 0x44, v0
	v_lshrrev_b32_e32 v0, 3, v5
	s_delay_alu instid0(VALU_DEP_3) | instskip(SKIP_1) | instid1(VALU_DEP_3)
	v_mbcnt_lo_u32_b32 v26, v1, 0
	v_cmp_ne_u32_e64 s0, 0, v1
	v_and_b32_e32 v0, 0x1ffffffc, v0
	s_delay_alu instid0(VALU_DEP_3) | instskip(NEXT) | instid1(VALU_DEP_2)
	v_cmp_eq_u32_e32 vcc_lo, 0, v26
	v_add_nc_u32_e32 v30, v0, v2
	s_and_b32 s1, s0, vcc_lo
	s_delay_alu instid0(SALU_CYCLE_1)
	s_and_saveexec_b32 s0, s1
; %bb.104:
	v_bcnt_u32_b32 v1, v1, 0
	ds_store_b32 v30, v1 offset:64
; %bb.105:
	s_or_b32 exec_lo, exec_lo, s0
	v_lshrrev_b32_e32 v1, s28, v14
	; wave barrier
	s_delay_alu instid0(VALU_DEP_1) | instskip(SKIP_1) | instid1(VALU_DEP_2)
	v_and_b32_e32 v2, s5, v1
	v_bitop3_b32 v1, v1, 1, s5 bitop3:0x80
	v_dual_lshlrev_b32 v5, 30, v2 :: v_dual_lshlrev_b32 v6, 29, v2
	s_delay_alu instid0(VALU_DEP_2) | instskip(NEXT) | instid1(VALU_DEP_1)
	v_add_co_u32 v1, s0, v1, -1
	v_cndmask_b32_e64 v4, 0, 1, s0
	v_lshlrev_b32_e32 v7, 28, v2
	s_delay_alu instid0(VALU_DEP_4) | instskip(SKIP_1) | instid1(VALU_DEP_4)
	v_cmp_gt_i32_e64 s0, 0, v5
	v_cmp_gt_i32_e64 s1, 0, v6
	v_cmp_ne_u32_e32 vcc_lo, 0, v4
	v_not_b32_e32 v4, v5
	v_not_b32_e32 v5, v6
	;; [unrolled: 1-line block ×3, first 2 shown]
	s_delay_alu instid0(VALU_DEP_3) | instskip(NEXT) | instid1(VALU_DEP_2)
	v_dual_ashrrev_i32 v4, 31, v4 :: v_dual_bitop2_b32 v1, vcc_lo, v1 bitop3:0x14
	v_dual_ashrrev_i32 v5, 31, v5 :: v_dual_ashrrev_i32 v6, 31, v6
	v_mul_lo_u32 v3, 0x44, v2
	v_dual_lshlrev_b32 v16, 27, v2 :: v_dual_lshlrev_b32 v17, 26, v2
	v_dual_lshlrev_b32 v21, 25, v2 :: v_dual_lshlrev_b32 v2, 24, v2
	v_cmp_gt_i32_e64 s2, 0, v7
	v_xor_b32_e32 v4, s0, v4
	s_delay_alu instid0(VALU_DEP_4)
	v_not_b32_e32 v7, v16
	v_not_b32_e32 v22, v17
	v_xor_b32_e32 v5, s1, v5
	v_xor_b32_e32 v6, s2, v6
	v_bitop3_b32 v1, v1, v4, exec_lo bitop3:0x80
	v_cmp_gt_i32_e32 vcc_lo, 0, v16
	v_ashrrev_i32_e32 v4, 31, v7
	v_cmp_gt_i32_e64 s0, 0, v17
	v_ashrrev_i32_e32 v7, 31, v22
	v_bitop3_b32 v1, v1, v6, v5 bitop3:0x80
	v_not_b32_e32 v5, v21
	v_not_b32_e32 v6, v2
	v_xor_b32_e32 v4, vcc_lo, v4
	v_xor_b32_e32 v7, s0, v7
	v_cmp_gt_i32_e32 vcc_lo, 0, v21
	v_ashrrev_i32_e32 v5, 31, v5
	v_cmp_gt_i32_e64 s0, 0, v2
	v_dual_ashrrev_i32 v2, 31, v6 :: v_dual_add_nc_u32 v31, v0, v3
	v_bitop3_b32 v1, v1, v7, v4 bitop3:0x80
	s_delay_alu instid0(VALU_DEP_4) | instskip(NEXT) | instid1(VALU_DEP_3)
	v_xor_b32_e32 v3, vcc_lo, v5
	v_xor_b32_e32 v2, s0, v2
	ds_load_b32 v16, v31 offset:64
	; wave barrier
	v_bitop3_b32 v1, v1, v2, v3 bitop3:0x80
	s_delay_alu instid0(VALU_DEP_1) | instskip(SKIP_1) | instid1(VALU_DEP_2)
	v_mbcnt_lo_u32_b32 v17, v1, 0
	v_cmp_ne_u32_e64 s0, 0, v1
	v_cmp_eq_u32_e32 vcc_lo, 0, v17
	s_and_b32 s1, s0, vcc_lo
	s_delay_alu instid0(SALU_CYCLE_1)
	s_and_saveexec_b32 s0, s1
	s_cbranch_execz .LBB193_107
; %bb.106:
	s_wait_dscnt 0x0
	v_bcnt_u32_b32 v1, v1, v16
	ds_store_b32 v31, v1 offset:64
.LBB193_107:
	s_or_b32 exec_lo, exec_lo, s0
	v_lshrrev_b32_e32 v1, s28, v15
	; wave barrier
	s_delay_alu instid0(VALU_DEP_1) | instskip(NEXT) | instid1(VALU_DEP_1)
	v_and_b32_e32 v2, s5, v1
	v_lshlrev_b32_e32 v5, 30, v2
	v_bitop3_b32 v1, v1, 1, s5 bitop3:0x80
	s_delay_alu instid0(VALU_DEP_1) | instskip(NEXT) | instid1(VALU_DEP_1)
	v_add_co_u32 v1, s0, v1, -1
	v_cndmask_b32_e64 v4, 0, 1, s0
	s_delay_alu instid0(VALU_DEP_4) | instskip(NEXT) | instid1(VALU_DEP_2)
	v_cmp_gt_i32_e64 s0, 0, v5
	v_cmp_ne_u32_e32 vcc_lo, 0, v4
	v_not_b32_e32 v4, v5
	s_delay_alu instid0(VALU_DEP_1) | instskip(SKIP_3) | instid1(VALU_DEP_4)
	v_dual_ashrrev_i32 v4, 31, v4 :: v_dual_lshlrev_b32 v6, 29, v2
	v_dual_lshlrev_b32 v7, 28, v2 :: v_dual_lshlrev_b32 v21, 27, v2
	v_lshlrev_b32_e32 v22, 26, v2
	v_mul_lo_u32 v3, 0x44, v2
	v_cmp_gt_i32_e64 s1, 0, v6
	v_not_b32_e32 v5, v6
	v_not_b32_e32 v6, v7
	v_cmp_gt_i32_e64 s2, 0, v7
	v_xor_b32_e32 v1, vcc_lo, v1
	s_delay_alu instid0(VALU_DEP_4) | instskip(NEXT) | instid1(VALU_DEP_4)
	v_dual_ashrrev_i32 v5, 31, v5 :: v_dual_bitop2_b32 v4, s0, v4 bitop3:0x14
	v_ashrrev_i32_e32 v6, 31, v6
	v_dual_lshlrev_b32 v24, 25, v2 :: v_dual_lshlrev_b32 v2, 24, v2
	v_not_b32_e32 v7, v21
	v_not_b32_e32 v25, v22
	v_xor_b32_e32 v5, s1, v5
	v_xor_b32_e32 v6, s2, v6
	v_bitop3_b32 v1, v1, v4, exec_lo bitop3:0x80
	v_cmp_gt_i32_e32 vcc_lo, 0, v21
	v_ashrrev_i32_e32 v4, 31, v7
	v_cmp_gt_i32_e64 s0, 0, v22
	v_ashrrev_i32_e32 v7, 31, v25
	v_bitop3_b32 v1, v1, v6, v5 bitop3:0x80
	v_not_b32_e32 v5, v24
	v_not_b32_e32 v6, v2
	v_xor_b32_e32 v4, vcc_lo, v4
	v_xor_b32_e32 v7, s0, v7
	v_cmp_gt_i32_e32 vcc_lo, 0, v24
	v_ashrrev_i32_e32 v5, 31, v5
	v_cmp_gt_i32_e64 s0, 0, v2
	v_dual_ashrrev_i32 v2, 31, v6 :: v_dual_add_nc_u32 v34, v0, v3
	v_bitop3_b32 v1, v1, v7, v4 bitop3:0x80
	s_delay_alu instid0(VALU_DEP_4) | instskip(NEXT) | instid1(VALU_DEP_3)
	v_xor_b32_e32 v3, vcc_lo, v5
	v_xor_b32_e32 v2, s0, v2
	ds_load_b32 v21, v34 offset:64
	; wave barrier
	v_bitop3_b32 v1, v1, v2, v3 bitop3:0x80
	s_delay_alu instid0(VALU_DEP_1) | instskip(SKIP_1) | instid1(VALU_DEP_2)
	v_mbcnt_lo_u32_b32 v22, v1, 0
	v_cmp_ne_u32_e64 s0, 0, v1
	v_cmp_eq_u32_e32 vcc_lo, 0, v22
	s_and_b32 s1, s0, vcc_lo
	s_delay_alu instid0(SALU_CYCLE_1)
	s_and_saveexec_b32 s0, s1
	s_cbranch_execz .LBB193_109
; %bb.108:
	s_wait_dscnt 0x0
	v_bcnt_u32_b32 v1, v1, v21
	ds_store_b32 v34, v1 offset:64
.LBB193_109:
	s_or_b32 exec_lo, exec_lo, s0
	v_lshrrev_b32_e32 v1, s28, v23
	; wave barrier
	s_delay_alu instid0(VALU_DEP_1) | instskip(NEXT) | instid1(VALU_DEP_1)
	v_and_b32_e32 v2, s5, v1
	v_lshlrev_b32_e32 v5, 30, v2
	v_bitop3_b32 v1, v1, 1, s5 bitop3:0x80
	s_delay_alu instid0(VALU_DEP_1) | instskip(NEXT) | instid1(VALU_DEP_1)
	v_add_co_u32 v1, s0, v1, -1
	v_cndmask_b32_e64 v4, 0, 1, s0
	s_delay_alu instid0(VALU_DEP_4) | instskip(NEXT) | instid1(VALU_DEP_2)
	v_cmp_gt_i32_e64 s0, 0, v5
	v_cmp_ne_u32_e32 vcc_lo, 0, v4
	v_not_b32_e32 v4, v5
	s_delay_alu instid0(VALU_DEP_1) | instskip(SKIP_3) | instid1(VALU_DEP_4)
	v_dual_ashrrev_i32 v4, 31, v4 :: v_dual_lshlrev_b32 v6, 29, v2
	v_dual_lshlrev_b32 v7, 28, v2 :: v_dual_lshlrev_b32 v24, 27, v2
	v_lshlrev_b32_e32 v25, 26, v2
	v_mul_lo_u32 v3, 0x44, v2
	v_cmp_gt_i32_e64 s1, 0, v6
	v_not_b32_e32 v5, v6
	v_not_b32_e32 v6, v7
	v_cmp_gt_i32_e64 s2, 0, v7
	v_xor_b32_e32 v1, vcc_lo, v1
	s_delay_alu instid0(VALU_DEP_4) | instskip(NEXT) | instid1(VALU_DEP_4)
	v_dual_ashrrev_i32 v5, 31, v5 :: v_dual_bitop2_b32 v4, s0, v4 bitop3:0x14
	v_ashrrev_i32_e32 v6, 31, v6
	v_dual_lshlrev_b32 v28, 25, v2 :: v_dual_lshlrev_b32 v2, 24, v2
	v_not_b32_e32 v7, v24
	v_not_b32_e32 v29, v25
	v_xor_b32_e32 v5, s1, v5
	v_xor_b32_e32 v6, s2, v6
	v_bitop3_b32 v1, v1, v4, exec_lo bitop3:0x80
	v_cmp_gt_i32_e32 vcc_lo, 0, v24
	v_ashrrev_i32_e32 v4, 31, v7
	v_cmp_gt_i32_e64 s0, 0, v25
	v_ashrrev_i32_e32 v7, 31, v29
	v_bitop3_b32 v1, v1, v6, v5 bitop3:0x80
	v_not_b32_e32 v5, v28
	v_not_b32_e32 v6, v2
	v_xor_b32_e32 v4, vcc_lo, v4
	v_xor_b32_e32 v7, s0, v7
	v_cmp_gt_i32_e32 vcc_lo, 0, v28
	v_ashrrev_i32_e32 v5, 31, v5
	v_cmp_gt_i32_e64 s0, 0, v2
	v_dual_ashrrev_i32 v2, 31, v6 :: v_dual_add_nc_u32 v38, v0, v3
	v_bitop3_b32 v1, v1, v7, v4 bitop3:0x80
	s_delay_alu instid0(VALU_DEP_4) | instskip(NEXT) | instid1(VALU_DEP_3)
	v_xor_b32_e32 v3, vcc_lo, v5
	v_xor_b32_e32 v2, s0, v2
	ds_load_b32 v24, v38 offset:64
	; wave barrier
	v_bitop3_b32 v1, v1, v2, v3 bitop3:0x80
	s_delay_alu instid0(VALU_DEP_1) | instskip(SKIP_1) | instid1(VALU_DEP_2)
	v_mbcnt_lo_u32_b32 v25, v1, 0
	v_cmp_ne_u32_e64 s0, 0, v1
	v_cmp_eq_u32_e32 vcc_lo, 0, v25
	s_and_b32 s1, s0, vcc_lo
	s_delay_alu instid0(SALU_CYCLE_1)
	s_and_saveexec_b32 s0, s1
	s_cbranch_execz .LBB193_111
; %bb.110:
	s_wait_dscnt 0x0
	v_bcnt_u32_b32 v1, v1, v24
	ds_store_b32 v38, v1 offset:64
.LBB193_111:
	s_or_b32 exec_lo, exec_lo, s0
	v_lshrrev_b32_e32 v1, s28, v9
	; wave barrier
	s_delay_alu instid0(VALU_DEP_1) | instskip(NEXT) | instid1(VALU_DEP_1)
	v_and_b32_e32 v2, s5, v1
	v_lshlrev_b32_e32 v5, 30, v2
	v_bitop3_b32 v1, v1, 1, s5 bitop3:0x80
	s_delay_alu instid0(VALU_DEP_1) | instskip(NEXT) | instid1(VALU_DEP_1)
	v_add_co_u32 v1, s0, v1, -1
	v_cndmask_b32_e64 v4, 0, 1, s0
	s_delay_alu instid0(VALU_DEP_4) | instskip(NEXT) | instid1(VALU_DEP_2)
	v_cmp_gt_i32_e64 s0, 0, v5
	v_cmp_ne_u32_e32 vcc_lo, 0, v4
	v_not_b32_e32 v4, v5
	s_delay_alu instid0(VALU_DEP_1) | instskip(SKIP_3) | instid1(VALU_DEP_4)
	v_dual_ashrrev_i32 v4, 31, v4 :: v_dual_lshlrev_b32 v6, 29, v2
	v_dual_lshlrev_b32 v7, 28, v2 :: v_dual_lshlrev_b32 v28, 27, v2
	v_lshlrev_b32_e32 v29, 26, v2
	v_mul_lo_u32 v3, 0x44, v2
	v_cmp_gt_i32_e64 s1, 0, v6
	v_not_b32_e32 v5, v6
	v_not_b32_e32 v6, v7
	v_cmp_gt_i32_e64 s2, 0, v7
	v_xor_b32_e32 v1, vcc_lo, v1
	s_delay_alu instid0(VALU_DEP_4) | instskip(NEXT) | instid1(VALU_DEP_4)
	v_dual_ashrrev_i32 v5, 31, v5 :: v_dual_bitop2_b32 v4, s0, v4 bitop3:0x14
	v_ashrrev_i32_e32 v6, 31, v6
	v_dual_lshlrev_b32 v32, 25, v2 :: v_dual_lshlrev_b32 v2, 24, v2
	v_not_b32_e32 v7, v28
	v_not_b32_e32 v33, v29
	v_xor_b32_e32 v5, s1, v5
	v_xor_b32_e32 v6, s2, v6
	v_bitop3_b32 v1, v1, v4, exec_lo bitop3:0x80
	v_cmp_gt_i32_e32 vcc_lo, 0, v28
	v_ashrrev_i32_e32 v4, 31, v7
	v_cmp_gt_i32_e64 s0, 0, v29
	v_ashrrev_i32_e32 v7, 31, v33
	v_bitop3_b32 v1, v1, v6, v5 bitop3:0x80
	v_not_b32_e32 v5, v32
	v_not_b32_e32 v6, v2
	v_xor_b32_e32 v4, vcc_lo, v4
	v_xor_b32_e32 v7, s0, v7
	v_cmp_gt_i32_e32 vcc_lo, 0, v32
	v_ashrrev_i32_e32 v5, 31, v5
	v_cmp_gt_i32_e64 s0, 0, v2
	v_dual_ashrrev_i32 v2, 31, v6 :: v_dual_add_nc_u32 v41, v0, v3
	v_bitop3_b32 v1, v1, v7, v4 bitop3:0x80
	s_delay_alu instid0(VALU_DEP_4) | instskip(NEXT) | instid1(VALU_DEP_3)
	v_xor_b32_e32 v3, vcc_lo, v5
	v_xor_b32_e32 v2, s0, v2
	ds_load_b32 v28, v41 offset:64
	; wave barrier
	v_bitop3_b32 v1, v1, v2, v3 bitop3:0x80
	s_delay_alu instid0(VALU_DEP_1) | instskip(SKIP_1) | instid1(VALU_DEP_2)
	v_mbcnt_lo_u32_b32 v29, v1, 0
	v_cmp_ne_u32_e64 s0, 0, v1
	v_cmp_eq_u32_e32 vcc_lo, 0, v29
	s_and_b32 s1, s0, vcc_lo
	s_delay_alu instid0(SALU_CYCLE_1)
	s_and_saveexec_b32 s0, s1
	s_cbranch_execz .LBB193_113
; %bb.112:
	s_wait_dscnt 0x0
	v_bcnt_u32_b32 v1, v1, v28
	ds_store_b32 v41, v1 offset:64
.LBB193_113:
	s_or_b32 exec_lo, exec_lo, s0
	v_lshrrev_b32_e32 v1, s28, v10
	; wave barrier
	s_delay_alu instid0(VALU_DEP_1) | instskip(SKIP_1) | instid1(VALU_DEP_2)
	v_and_b32_e32 v2, s5, v1
	v_bitop3_b32 v1, v1, 1, s5 bitop3:0x80
	v_dual_lshlrev_b32 v5, 30, v2 :: v_dual_lshlrev_b32 v6, 29, v2
	s_delay_alu instid0(VALU_DEP_2) | instskip(NEXT) | instid1(VALU_DEP_1)
	v_add_co_u32 v1, s0, v1, -1
	v_cndmask_b32_e64 v4, 0, 1, s0
	v_lshlrev_b32_e32 v7, 28, v2
	s_delay_alu instid0(VALU_DEP_4) | instskip(SKIP_1) | instid1(VALU_DEP_4)
	v_cmp_gt_i32_e64 s0, 0, v5
	v_cmp_gt_i32_e64 s1, 0, v6
	v_cmp_ne_u32_e32 vcc_lo, 0, v4
	v_not_b32_e32 v4, v5
	v_not_b32_e32 v5, v6
	;; [unrolled: 1-line block ×3, first 2 shown]
	s_delay_alu instid0(VALU_DEP_3) | instskip(NEXT) | instid1(VALU_DEP_2)
	v_dual_ashrrev_i32 v4, 31, v4 :: v_dual_bitop2_b32 v1, vcc_lo, v1 bitop3:0x14
	v_dual_ashrrev_i32 v5, 31, v5 :: v_dual_ashrrev_i32 v6, 31, v6
	v_mul_lo_u32 v3, 0x44, v2
	v_dual_lshlrev_b32 v32, 27, v2 :: v_dual_lshlrev_b32 v33, 26, v2
	v_dual_lshlrev_b32 v35, 25, v2 :: v_dual_lshlrev_b32 v2, 24, v2
	v_cmp_gt_i32_e64 s2, 0, v7
	v_xor_b32_e32 v4, s0, v4
	s_delay_alu instid0(VALU_DEP_4)
	v_not_b32_e32 v7, v32
	v_not_b32_e32 v36, v33
	v_xor_b32_e32 v5, s1, v5
	v_xor_b32_e32 v6, s2, v6
	v_bitop3_b32 v1, v1, v4, exec_lo bitop3:0x80
	v_cmp_gt_i32_e32 vcc_lo, 0, v32
	v_ashrrev_i32_e32 v4, 31, v7
	v_cmp_gt_i32_e64 s0, 0, v33
	v_ashrrev_i32_e32 v7, 31, v36
	v_bitop3_b32 v1, v1, v6, v5 bitop3:0x80
	v_not_b32_e32 v5, v35
	v_not_b32_e32 v6, v2
	v_xor_b32_e32 v4, vcc_lo, v4
	v_xor_b32_e32 v7, s0, v7
	v_cmp_gt_i32_e32 vcc_lo, 0, v35
	v_ashrrev_i32_e32 v5, 31, v5
	v_cmp_gt_i32_e64 s0, 0, v2
	v_dual_ashrrev_i32 v2, 31, v6 :: v_dual_add_nc_u32 v42, v0, v3
	v_bitop3_b32 v1, v1, v7, v4 bitop3:0x80
	s_delay_alu instid0(VALU_DEP_4) | instskip(NEXT) | instid1(VALU_DEP_3)
	v_xor_b32_e32 v3, vcc_lo, v5
	v_xor_b32_e32 v2, s0, v2
	ds_load_b32 v32, v42 offset:64
	; wave barrier
	v_bitop3_b32 v1, v1, v2, v3 bitop3:0x80
	s_delay_alu instid0(VALU_DEP_1) | instskip(SKIP_1) | instid1(VALU_DEP_2)
	v_mbcnt_lo_u32_b32 v33, v1, 0
	v_cmp_ne_u32_e64 s0, 0, v1
	v_cmp_eq_u32_e32 vcc_lo, 0, v33
	s_and_b32 s1, s0, vcc_lo
	s_delay_alu instid0(SALU_CYCLE_1)
	s_and_saveexec_b32 s0, s1
	s_cbranch_execz .LBB193_115
; %bb.114:
	s_wait_dscnt 0x0
	v_bcnt_u32_b32 v1, v1, v32
	ds_store_b32 v42, v1 offset:64
.LBB193_115:
	s_or_b32 exec_lo, exec_lo, s0
	v_lshrrev_b32_e32 v1, s28, v11
	; wave barrier
	s_delay_alu instid0(VALU_DEP_1) | instskip(NEXT) | instid1(VALU_DEP_1)
	v_and_b32_e32 v2, s5, v1
	v_lshlrev_b32_e32 v5, 30, v2
	v_bitop3_b32 v1, v1, 1, s5 bitop3:0x80
	s_delay_alu instid0(VALU_DEP_1) | instskip(NEXT) | instid1(VALU_DEP_1)
	v_add_co_u32 v1, s0, v1, -1
	v_cndmask_b32_e64 v4, 0, 1, s0
	s_delay_alu instid0(VALU_DEP_4) | instskip(NEXT) | instid1(VALU_DEP_2)
	v_cmp_gt_i32_e64 s0, 0, v5
	v_cmp_ne_u32_e32 vcc_lo, 0, v4
	v_not_b32_e32 v4, v5
	s_delay_alu instid0(VALU_DEP_1) | instskip(SKIP_3) | instid1(VALU_DEP_4)
	v_dual_ashrrev_i32 v4, 31, v4 :: v_dual_lshlrev_b32 v6, 29, v2
	v_dual_lshlrev_b32 v7, 28, v2 :: v_dual_lshlrev_b32 v35, 27, v2
	v_lshlrev_b32_e32 v36, 26, v2
	v_mul_lo_u32 v3, 0x44, v2
	v_cmp_gt_i32_e64 s1, 0, v6
	v_not_b32_e32 v5, v6
	v_not_b32_e32 v6, v7
	v_cmp_gt_i32_e64 s2, 0, v7
	v_xor_b32_e32 v1, vcc_lo, v1
	s_delay_alu instid0(VALU_DEP_4) | instskip(NEXT) | instid1(VALU_DEP_4)
	v_dual_ashrrev_i32 v5, 31, v5 :: v_dual_bitop2_b32 v4, s0, v4 bitop3:0x14
	v_ashrrev_i32_e32 v6, 31, v6
	v_dual_lshlrev_b32 v37, 25, v2 :: v_dual_lshlrev_b32 v2, 24, v2
	v_not_b32_e32 v7, v35
	v_not_b32_e32 v39, v36
	v_xor_b32_e32 v5, s1, v5
	v_xor_b32_e32 v6, s2, v6
	v_bitop3_b32 v1, v1, v4, exec_lo bitop3:0x80
	v_cmp_gt_i32_e32 vcc_lo, 0, v35
	v_ashrrev_i32_e32 v4, 31, v7
	v_cmp_gt_i32_e64 s0, 0, v36
	v_ashrrev_i32_e32 v7, 31, v39
	v_bitop3_b32 v1, v1, v6, v5 bitop3:0x80
	v_not_b32_e32 v5, v37
	v_not_b32_e32 v6, v2
	v_xor_b32_e32 v4, vcc_lo, v4
	v_xor_b32_e32 v7, s0, v7
	v_cmp_gt_i32_e32 vcc_lo, 0, v37
	v_ashrrev_i32_e32 v5, 31, v5
	v_cmp_gt_i32_e64 s0, 0, v2
	v_dual_ashrrev_i32 v2, 31, v6 :: v_dual_add_nc_u32 v43, v0, v3
	v_bitop3_b32 v1, v1, v7, v4 bitop3:0x80
	s_delay_alu instid0(VALU_DEP_4) | instskip(NEXT) | instid1(VALU_DEP_3)
	v_xor_b32_e32 v3, vcc_lo, v5
	v_xor_b32_e32 v2, s0, v2
	ds_load_b32 v35, v43 offset:64
	; wave barrier
	v_bitop3_b32 v1, v1, v2, v3 bitop3:0x80
	s_delay_alu instid0(VALU_DEP_1) | instskip(SKIP_1) | instid1(VALU_DEP_2)
	v_mbcnt_lo_u32_b32 v36, v1, 0
	v_cmp_ne_u32_e64 s0, 0, v1
	v_cmp_eq_u32_e32 vcc_lo, 0, v36
	s_and_b32 s1, s0, vcc_lo
	s_delay_alu instid0(SALU_CYCLE_1)
	s_and_saveexec_b32 s0, s1
	s_cbranch_execz .LBB193_117
; %bb.116:
	s_wait_dscnt 0x0
	v_bcnt_u32_b32 v1, v1, v35
	ds_store_b32 v43, v1 offset:64
.LBB193_117:
	s_or_b32 exec_lo, exec_lo, s0
	v_lshrrev_b32_e32 v1, s28, v12
	; wave barrier
	s_delay_alu instid0(VALU_DEP_1) | instskip(NEXT) | instid1(VALU_DEP_1)
	v_and_b32_e32 v2, s5, v1
	v_lshlrev_b32_e32 v5, 30, v2
	v_bitop3_b32 v1, v1, 1, s5 bitop3:0x80
	s_delay_alu instid0(VALU_DEP_1) | instskip(NEXT) | instid1(VALU_DEP_1)
	v_add_co_u32 v1, s0, v1, -1
	v_cndmask_b32_e64 v4, 0, 1, s0
	s_delay_alu instid0(VALU_DEP_4) | instskip(NEXT) | instid1(VALU_DEP_2)
	v_cmp_gt_i32_e64 s0, 0, v5
	v_cmp_ne_u32_e32 vcc_lo, 0, v4
	v_not_b32_e32 v4, v5
	s_delay_alu instid0(VALU_DEP_1) | instskip(SKIP_3) | instid1(VALU_DEP_4)
	v_dual_ashrrev_i32 v4, 31, v4 :: v_dual_lshlrev_b32 v6, 29, v2
	v_dual_lshlrev_b32 v7, 28, v2 :: v_dual_lshlrev_b32 v37, 27, v2
	v_lshlrev_b32_e32 v39, 26, v2
	v_mul_lo_u32 v3, 0x44, v2
	v_cmp_gt_i32_e64 s1, 0, v6
	v_not_b32_e32 v5, v6
	v_not_b32_e32 v6, v7
	v_cmp_gt_i32_e64 s2, 0, v7
	v_xor_b32_e32 v1, vcc_lo, v1
	s_delay_alu instid0(VALU_DEP_4) | instskip(NEXT) | instid1(VALU_DEP_4)
	v_dual_ashrrev_i32 v5, 31, v5 :: v_dual_bitop2_b32 v4, s0, v4 bitop3:0x14
	v_ashrrev_i32_e32 v6, 31, v6
	v_dual_lshlrev_b32 v40, 25, v2 :: v_dual_lshlrev_b32 v2, 24, v2
	v_not_b32_e32 v7, v37
	v_not_b32_e32 v44, v39
	v_xor_b32_e32 v5, s1, v5
	v_xor_b32_e32 v6, s2, v6
	v_bitop3_b32 v1, v1, v4, exec_lo bitop3:0x80
	v_cmp_gt_i32_e32 vcc_lo, 0, v37
	v_ashrrev_i32_e32 v4, 31, v7
	v_cmp_gt_i32_e64 s0, 0, v39
	v_ashrrev_i32_e32 v7, 31, v44
	v_bitop3_b32 v1, v1, v6, v5 bitop3:0x80
	v_not_b32_e32 v5, v40
	v_not_b32_e32 v6, v2
	v_xor_b32_e32 v4, vcc_lo, v4
	v_xor_b32_e32 v7, s0, v7
	v_cmp_gt_i32_e32 vcc_lo, 0, v40
	v_ashrrev_i32_e32 v5, 31, v5
	v_cmp_gt_i32_e64 s0, 0, v2
	v_dual_ashrrev_i32 v2, 31, v6 :: v_dual_add_nc_u32 v44, v0, v3
	v_bitop3_b32 v0, v1, v7, v4 bitop3:0x80
	s_delay_alu instid0(VALU_DEP_4) | instskip(NEXT) | instid1(VALU_DEP_3)
	v_xor_b32_e32 v1, vcc_lo, v5
	v_xor_b32_e32 v2, s0, v2
	ds_load_b32 v39, v44 offset:64
	; wave barrier
	v_bitop3_b32 v0, v0, v2, v1 bitop3:0x80
	s_delay_alu instid0(VALU_DEP_1) | instskip(SKIP_1) | instid1(VALU_DEP_2)
	v_mbcnt_lo_u32_b32 v40, v0, 0
	v_cmp_ne_u32_e64 s0, 0, v0
	v_cmp_eq_u32_e32 vcc_lo, 0, v40
	s_and_b32 s1, s0, vcc_lo
	s_delay_alu instid0(SALU_CYCLE_1)
	s_and_saveexec_b32 s0, s1
	s_cbranch_execz .LBB193_119
; %bb.118:
	s_wait_dscnt 0x0
	v_bcnt_u32_b32 v0, v0, v39
	ds_store_b32 v44, v0 offset:64
.LBB193_119:
	s_or_b32 exec_lo, exec_lo, s0
	; wave barrier
	s_wait_dscnt 0x0
	s_barrier_signal -1
	s_barrier_wait -1
	ds_load_2addr_b32 v[6:7], v27 offset0:16 offset1:17
	ds_load_2addr_b32 v[4:5], v27 offset0:18 offset1:19
	;; [unrolled: 1-line block ×4, first 2 shown]
	ds_load_b32 v37, v27 offset:96
	v_bfe_i32 v47, v20, 4, 1
	s_mov_b32 s6, exec_lo
	s_wait_dscnt 0x3
	v_add3_u32 v45, v7, v6, v4
	s_wait_dscnt 0x2
	s_delay_alu instid0(VALU_DEP_1) | instskip(SKIP_1) | instid1(VALU_DEP_1)
	v_add3_u32 v45, v45, v5, v2
	s_wait_dscnt 0x1
	v_add3_u32 v45, v45, v3, v0
	s_wait_dscnt 0x0
	s_delay_alu instid0(VALU_DEP_1) | instskip(SKIP_1) | instid1(VALU_DEP_2)
	v_add3_u32 v37, v45, v1, v37
	v_and_b32_e32 v45, 15, v20
	v_mov_b32_dpp v46, v37 row_shr:1 row_mask:0xf bank_mask:0xf
	s_delay_alu instid0(VALU_DEP_2) | instskip(NEXT) | instid1(VALU_DEP_2)
	v_cmp_eq_u32_e32 vcc_lo, 0, v45
	v_cndmask_b32_e64 v46, v46, 0, vcc_lo
	s_delay_alu instid0(VALU_DEP_1) | instskip(SKIP_3) | instid1(VALU_DEP_4)
	v_add_nc_u32_e32 v37, v46, v37
	v_cmp_lt_u32_e64 s0, 1, v45
	v_cmp_lt_u32_e64 s1, 3, v45
	v_cmp_lt_u32_e64 s2, 7, v45
	v_mov_b32_dpp v46, v37 row_shr:2 row_mask:0xf bank_mask:0xf
	s_delay_alu instid0(VALU_DEP_1) | instskip(NEXT) | instid1(VALU_DEP_1)
	v_cndmask_b32_e64 v46, 0, v46, s0
	v_add_nc_u32_e32 v37, v37, v46
	s_delay_alu instid0(VALU_DEP_1) | instskip(NEXT) | instid1(VALU_DEP_1)
	v_mov_b32_dpp v46, v37 row_shr:4 row_mask:0xf bank_mask:0xf
	v_cndmask_b32_e64 v46, 0, v46, s1
	s_delay_alu instid0(VALU_DEP_1) | instskip(NEXT) | instid1(VALU_DEP_1)
	v_add_nc_u32_e32 v37, v37, v46
	v_mov_b32_dpp v46, v37 row_shr:8 row_mask:0xf bank_mask:0xf
	s_delay_alu instid0(VALU_DEP_1) | instskip(SKIP_1) | instid1(VALU_DEP_2)
	v_cndmask_b32_e64 v45, 0, v46, s2
	v_and_b32_e32 v46, 0x3e0, v18
	v_add_nc_u32_e32 v37, v37, v45
	s_delay_alu instid0(VALU_DEP_2) | instskip(SKIP_4) | instid1(VALU_DEP_2)
	v_min_u32_e32 v46, 0x1e0, v46
	ds_swizzle_b32 v45, v37 offset:swizzle(BROADCAST,32,15)
	s_wait_dscnt 0x0
	v_and_b32_e32 v45, v47, v45
	v_or_b32_e32 v47, 31, v46
	v_dual_lshrrev_b32 v46, 5, v18 :: v_dual_add_nc_u32 v45, v37, v45
	s_delay_alu instid0(VALU_DEP_2)
	v_cmpx_eq_u32_e64 v18, v47
; %bb.120:
	s_delay_alu instid0(VALU_DEP_2)
	v_lshlrev_b32_e32 v37, 2, v46
	ds_store_b32 v37, v45
; %bb.121:
	s_or_b32 exec_lo, exec_lo, s6
	v_lshlrev_b32_e32 v37, 2, v18
	s_mov_b32 s6, exec_lo
	s_wait_dscnt 0x0
	s_barrier_signal -1
	s_barrier_wait -1
	v_cmpx_gt_u32_e32 16, v18
	s_cbranch_execz .LBB193_123
; %bb.122:
	ds_load_b32 v47, v37
	s_wait_dscnt 0x0
	v_mov_b32_dpp v48, v47 row_shr:1 row_mask:0xf bank_mask:0xf
	s_delay_alu instid0(VALU_DEP_1) | instskip(NEXT) | instid1(VALU_DEP_1)
	v_cndmask_b32_e64 v48, v48, 0, vcc_lo
	v_add_nc_u32_e32 v47, v48, v47
	s_delay_alu instid0(VALU_DEP_1) | instskip(NEXT) | instid1(VALU_DEP_1)
	v_mov_b32_dpp v48, v47 row_shr:2 row_mask:0xf bank_mask:0xf
	v_cndmask_b32_e64 v48, 0, v48, s0
	s_delay_alu instid0(VALU_DEP_1) | instskip(NEXT) | instid1(VALU_DEP_1)
	v_add_nc_u32_e32 v47, v47, v48
	v_mov_b32_dpp v48, v47 row_shr:4 row_mask:0xf bank_mask:0xf
	s_delay_alu instid0(VALU_DEP_1) | instskip(NEXT) | instid1(VALU_DEP_1)
	v_cndmask_b32_e64 v48, 0, v48, s1
	v_add_nc_u32_e32 v47, v47, v48
	s_delay_alu instid0(VALU_DEP_1) | instskip(NEXT) | instid1(VALU_DEP_1)
	v_mov_b32_dpp v48, v47 row_shr:8 row_mask:0xf bank_mask:0xf
	v_cndmask_b32_e64 v48, 0, v48, s2
	s_delay_alu instid0(VALU_DEP_1)
	v_add_nc_u32_e32 v47, v47, v48
	ds_store_b32 v37, v47
.LBB193_123:
	s_or_b32 exec_lo, exec_lo, s6
	v_mov_b32_e32 v47, 0
	s_mov_b32 s0, exec_lo
	s_wait_dscnt 0x0
	s_barrier_signal -1
	s_barrier_wait -1
	v_cmpx_lt_u32_e32 31, v18
; %bb.124:
	v_lshl_add_u32 v46, v46, 2, -4
	ds_load_b32 v47, v46
; %bb.125:
	s_or_b32 exec_lo, exec_lo, s0
	v_sub_co_u32 v46, vcc_lo, v20, 1
	s_wait_dscnt 0x0
	v_add_nc_u32_e32 v45, v47, v45
	s_delay_alu instid0(VALU_DEP_2) | instskip(NEXT) | instid1(VALU_DEP_1)
	v_cmp_gt_i32_e64 s0, 0, v46
	v_cndmask_b32_e64 v46, v46, v20, s0
	v_cmp_lt_u32_e64 s0, 0xff, v18
	s_delay_alu instid0(VALU_DEP_2) | instskip(SKIP_4) | instid1(VALU_DEP_2)
	v_lshlrev_b32_e32 v46, 2, v46
	ds_bpermute_b32 v45, v46, v45
	s_wait_dscnt 0x0
	v_cndmask_b32_e32 v45, v45, v47, vcc_lo
	v_cmp_gt_u32_e32 vcc_lo, 0x100, v18
	v_cndmask_b32_e64 v45, v45, 0, s4
	s_delay_alu instid0(VALU_DEP_1) | instskip(NEXT) | instid1(VALU_DEP_1)
	v_add_nc_u32_e32 v6, v45, v6
	v_add_nc_u32_e32 v7, v6, v7
	s_delay_alu instid0(VALU_DEP_1) | instskip(NEXT) | instid1(VALU_DEP_1)
	v_add_nc_u32_e32 v4, v7, v4
	v_add_nc_u32_e32 v5, v4, v5
	;; [unrolled: 3-line block ×4, first 2 shown]
	ds_store_2addr_b32 v27, v45, v6 offset0:16 offset1:17
	ds_store_2addr_b32 v27, v7, v4 offset0:18 offset1:19
	;; [unrolled: 1-line block ×4, first 2 shown]
	ds_store_b32 v27, v1 offset:96
	s_wait_dscnt 0x0
	s_barrier_signal -1
	s_barrier_wait -1
	ds_load_b32 v0, v30 offset:64
	ds_load_b32 v31, v31 offset:64
	;; [unrolled: 1-line block ×8, first 2 shown]
                                        ; implicit-def: $vgpr27
                                        ; implicit-def: $vgpr30
	s_and_saveexec_b32 s2, vcc_lo
	s_cbranch_execz .LBB193_129
; %bb.126:
	v_mul_u32_u24_e32 v1, 0x44, v18
	v_add_nc_u32_e32 v2, 1, v18
	s_mov_b32 s3, exec_lo
	ds_load_b32 v27, v1 offset:64
	v_mov_b32_e32 v1, 0x1000
	v_cmpx_ne_u32_e32 0x100, v2
; %bb.127:
	v_mul_u32_u24_e32 v1, 0x44, v2
	ds_load_b32 v1, v1 offset:64
; %bb.128:
	s_or_b32 exec_lo, exec_lo, s3
	s_wait_dscnt 0x0
	v_sub_nc_u32_e32 v30, v1, v27
.LBB193_129:
	s_or_b32 exec_lo, exec_lo, s2
	s_wait_dscnt 0x7
	v_dual_add_nc_u32 v26, v0, v26 :: v_dual_add_nc_u32 v0, v17, v16
	v_dual_add_nc_u32 v5, v25, v24 :: v_dual_add_nc_u32 v6, v22, v21
	;; [unrolled: 1-line block ×4, first 2 shown]
	s_delay_alu instid0(VALU_DEP_4)
	v_lshlrev_b32_e32 v7, 2, v26
	s_wait_dscnt 0x6
	v_add_lshl_u32 v0, v0, v31, 2
	s_wait_dscnt 0x5
	v_add_lshl_u32 v6, v6, v34, 2
	;; [unrolled: 2-line block ×3, first 2 shown]
	s_wait_dscnt 0x0
	s_barrier_signal -1
	s_barrier_wait -1
	ds_store_b32 v7, v13 offset:1024
	ds_store_b32 v0, v14 offset:1024
	;; [unrolled: 1-line block ×4, first 2 shown]
	v_add_lshl_u32 v0, v4, v41, 2
	v_add_lshl_u32 v4, v1, v44, 2
	v_mov_b32_e32 v1, 0
	v_add_lshl_u32 v3, v3, v42, 2
	v_add_lshl_u32 v2, v2, v43, 2
	ds_store_b32 v0, v9 offset:1024
	ds_store_b32 v3, v10 offset:1024
	;; [unrolled: 1-line block ×4, first 2 shown]
	s_and_saveexec_b32 s1, vcc_lo
	s_cbranch_execz .LBB193_139
; %bb.130:
	v_lshl_add_u32 v0, s31, 8, v18
	v_dual_mov_b32 v6, 0 :: v_dual_bitop2_b32 v4, 2.0, v30 bitop3:0x54
	s_mov_b32 s2, 0
	s_mov_b32 s3, s31
	s_delay_alu instid0(VALU_DEP_2)
	v_lshl_add_u64 v[2:3], v[0:1], 2, s[34:35]
	global_store_b32 v0, v4, s[34:35] scale_offset scope:SCOPE_DEV
                                        ; implicit-def: $sgpr4
	s_branch .LBB193_133
.LBB193_131:                            ;   in Loop: Header=BB193_133 Depth=1
	s_or_b32 exec_lo, exec_lo, s6
.LBB193_132:                            ;   in Loop: Header=BB193_133 Depth=1
	s_delay_alu instid0(SALU_CYCLE_1) | instskip(SKIP_2) | instid1(VALU_DEP_2)
	s_or_b32 exec_lo, exec_lo, s4
	v_and_b32_e32 v0, 0x3fffffff, v7
	v_cmp_gt_i32_e64 s4, -2.0, v7
	v_add_nc_u32_e32 v6, v0, v6
	s_and_b32 s6, exec_lo, s4
	s_delay_alu instid0(SALU_CYCLE_1) | instskip(NEXT) | instid1(SALU_CYCLE_1)
	s_or_b32 s2, s6, s2
	s_and_not1_b32 exec_lo, exec_lo, s2
	s_cbranch_execz .LBB193_138
.LBB193_133:                            ; =>This Loop Header: Depth=1
                                        ;     Child Loop BB193_136 Depth 2
	s_or_b32 s4, s4, exec_lo
	s_cmp_eq_u32 s3, 0
	s_cbranch_scc1 .LBB193_137
; %bb.134:                              ;   in Loop: Header=BB193_133 Depth=1
	s_add_co_i32 s3, s3, -1
	s_mov_b32 s4, exec_lo
	s_wait_xcnt 0x0
	v_lshl_or_b32 v0, s3, 8, v18
	global_load_b32 v7, v0, s[34:35] scale_offset scope:SCOPE_DEV
	s_wait_loadcnt 0x0
	v_cmpx_gt_u32_e32 2.0, v7
	s_cbranch_execz .LBB193_132
; %bb.135:                              ;   in Loop: Header=BB193_133 Depth=1
	v_lshl_add_u64 v[4:5], v[0:1], 2, s[34:35]
	s_mov_b32 s6, 0
.LBB193_136:                            ;   Parent Loop BB193_133 Depth=1
                                        ; =>  This Inner Loop Header: Depth=2
	global_load_b32 v7, v[4:5], off scope:SCOPE_DEV
	s_wait_loadcnt 0x0
	v_cmp_lt_u32_e32 vcc_lo, 0x3fffffff, v7
	s_or_b32 s6, vcc_lo, s6
	s_wait_xcnt 0x0
	s_and_not1_b32 exec_lo, exec_lo, s6
	s_cbranch_execnz .LBB193_136
	s_branch .LBB193_131
.LBB193_137:                            ;   in Loop: Header=BB193_133 Depth=1
                                        ; implicit-def: $sgpr3
	s_and_b32 s6, exec_lo, s4
	s_delay_alu instid0(SALU_CYCLE_1)
	s_or_b32 s2, s6, s2
	s_wait_xcnt 0x0
	s_and_not1_b32 exec_lo, exec_lo, s2
	s_cbranch_execnz .LBB193_133
.LBB193_138:
	s_or_b32 exec_lo, exec_lo, s2
	v_dual_add_nc_u32 v0, v6, v30 :: v_dual_sub_nc_u32 v1, v6, v27
	s_delay_alu instid0(VALU_DEP_1)
	v_or_b32_e32 v0, 0x80000000, v0
	global_store_b32 v[2:3], v0, off scope:SCOPE_DEV
	global_load_b32 v0, v18, s[24:25] scale_offset
	s_wait_loadcnt 0x0
	v_add_nc_u32_e32 v0, v1, v0
	ds_store_b32 v37, v0
.LBB193_139:
	s_wait_xcnt 0x0
	s_or_b32 exec_lo, exec_lo, s1
	s_wait_storecnt_dscnt 0x0
	s_barrier_signal -1
	s_barrier_wait -1
	ds_load_2addr_stride64_b32 v[10:11], v37 offset0:4 offset1:12
	ds_load_2addr_stride64_b32 v[54:55], v37 offset0:20 offset1:28
	;; [unrolled: 1-line block ×4, first 2 shown]
	v_dual_mov_b32 v1, 0 :: v_dual_lshlrev_b32 v0, 3, v20
	s_lshl_b64 s[2:3], s[8:9], 3
	v_add3_u32 v35, v36, v43, v35
	s_add_nc_u64 s[2:3], s[20:21], s[2:3]
	v_add3_u32 v32, v33, v42, v32
	v_add_nc_u64_e32 v[2:3], s[2:3], v[0:1]
	v_lshlrev_b32_e32 v0, 3, v8
	v_add3_u32 v28, v29, v41, v28
	v_add3_u32 v24, v25, v38, v24
	;; [unrolled: 1-line block ×4, first 2 shown]
	s_mov_b32 s2, -1
	s_mov_b32 s1, 0
	v_dual_mov_b32 v22, v18 :: v_dual_add_nc_u32 v17, v37, v37
	s_wait_dscnt 0x3
	v_dual_lshrrev_b32 v4, s28, v10 :: v_dual_lshrrev_b32 v5, s28, v11
	v_add_nc_u64_e32 v[60:61], v[2:3], v[0:1]
	s_wait_dscnt 0x2
	v_dual_lshrrev_b32 v0, s28, v55 :: v_dual_lshrrev_b32 v1, s28, v54
	s_wait_dscnt 0x1
	v_dual_lshrrev_b32 v2, s28, v57 :: v_dual_bitop2_b32 v46, s5, v4 bitop3:0x40
	v_dual_lshrrev_b32 v5, s28, v56 :: v_dual_bitop2_b32 v47, s5, v5 bitop3:0x40
	s_wait_dscnt 0x0
	v_dual_lshrrev_b32 v6, s28, v59 :: v_dual_lshrrev_b32 v7, s28, v58
	s_delay_alu instid0(VALU_DEP_3) | instskip(NEXT) | instid1(VALU_DEP_3)
	v_dual_lshlrev_b32 v3, 2, v46 :: v_dual_bitop2_b32 v49, s5, v0 bitop3:0x40
	v_lshlrev_b32_e32 v4, 2, v47
	ds_load_b32 v3, v3
	ds_load_b32 v4, v4
	v_and_b32_e32 v50, s5, v5
	v_and_b32_e32 v48, s5, v1
	v_dual_lshlrev_b32 v1, 2, v49 :: v_dual_bitop2_b32 v53, s5, v6 bitop3:0x40
	v_and_b32_e32 v52, s5, v7
	v_and_b32_e32 v51, s5, v2
	s_delay_alu instid0(VALU_DEP_4) | instskip(NEXT) | instid1(VALU_DEP_3)
	v_dual_lshlrev_b32 v2, 2, v50 :: v_dual_lshlrev_b32 v0, 2, v48
	v_dual_lshlrev_b32 v7, 2, v53 :: v_dual_lshlrev_b32 v6, 2, v52
	s_wait_dscnt 0x1
	s_delay_alu instid0(VALU_DEP_3)
	v_dual_lshlrev_b32 v5, 2, v51 :: v_dual_add_nc_u32 v8, v3, v18
	s_wait_dscnt 0x0
	v_add3_u32 v9, v18, v4, 0x200
	ds_load_b32 v20, v0
	ds_load_b32 v23, v1
	;; [unrolled: 1-line block ×6, first 2 shown]
	s_clause 0x3
	global_load_b64 v[0:1], v[60:61], off
	global_load_b64 v[2:3], v[60:61], off offset:256
	global_load_b64 v[4:5], v[60:61], off offset:512
	;; [unrolled: 1-line block ×3, first 2 shown]
	s_clause 0x1
	global_store_b32 v8, v10, s[18:19] scale_offset
	global_store_b32 v9, v11, s[18:19] scale_offset
	s_clause 0x3
	global_load_b64 v[8:9], v[60:61], off offset:1024
	global_load_b64 v[10:11], v[60:61], off offset:1280
	;; [unrolled: 1-line block ×4, first 2 shown]
	s_wait_xcnt 0x0
	v_lshlrev_b32_e32 v60, 5, v19
	s_wait_dscnt 0x5
	v_add3_u32 v20, v20, v18, 0x400
	s_wait_dscnt 0x4
	v_add3_u32 v19, v18, v23, 0x600
	;; [unrolled: 2-line block ×4, first 2 shown]
	global_store_b32 v20, v54, s[18:19] scale_offset
	s_wait_dscnt 0x1
	s_wait_xcnt 0x0
	v_add3_u32 v54, v63, v18, 0xc00
	global_store_b32 v19, v55, s[18:19] scale_offset
	s_wait_dscnt 0x0
	s_wait_xcnt 0x0
	v_add3_u32 v55, v18, v64, 0xe00
	v_add_nc_u32_e32 v20, 0x8850, v60
	v_add_nc_u32_e32 v19, 0x8860, v60
	s_clause 0x3
	global_store_b32 v23, v56, s[18:19] scale_offset
	global_store_b32 v45, v57, s[18:19] scale_offset
	;; [unrolled: 1-line block ×4, first 2 shown]
	s_wait_xcnt 0x3
	v_add3_u32 v23, v40, v44, v39
	ds_store_b128 v60, v[46:49] offset:34896
	ds_store_b128 v60, v[50:53] offset:34912
	s_wait_storecnt 0x0
	s_wait_loadcnt_dscnt 0x0
	s_barrier_signal -1
	s_barrier_wait -1
.LBB193_140:                            ; =>This Inner Loop Header: Depth=1
	s_wait_xcnt 0x2
	v_add_min_u32_e64 v25, v26, s1, 0x800
	s_wait_xcnt 0x1
	v_add_min_u32_e64 v29, v16, s1, 0x800
	;; [unrolled: 2-line block ×3, first 2 shown]
	v_add_min_u32_e64 v33, v24, s1, 0x800
	v_add_min_u32_e64 v34, v28, s1, 0x800
	;; [unrolled: 1-line block ×5, first 2 shown]
	v_dual_lshlrev_b32 v25, 3, v25 :: v_dual_lshlrev_b32 v31, 3, v31
	v_dual_lshlrev_b32 v29, 3, v29 :: v_dual_lshlrev_b32 v34, 3, v34
	s_delay_alu instid0(VALU_DEP_3)
	v_dual_lshlrev_b32 v33, 3, v33 :: v_dual_lshlrev_b32 v36, 3, v36
	v_dual_lshlrev_b32 v38, 3, v38 :: v_dual_lshlrev_b32 v39, 3, v39
	ds_store_b64 v25, v[0:1] offset:1024
	ds_store_b64 v29, v[2:3] offset:1024
	;; [unrolled: 1-line block ×8, first 2 shown]
	s_wait_dscnt 0x0
	s_barrier_signal -1
	s_barrier_wait -1
	ds_load_2addr_b32 v[42:43], v20 offset1:1
	ds_load_2addr_b32 v[44:45], v20 offset0:2 offset1:3
	ds_load_2addr_stride64_b64 v[38:41], v17 offset0:2 offset1:10
	s_addk_co_i32 s1, 0xf800
	s_and_b32 vcc_lo, exec_lo, s2
	s_mov_b32 s2, 0
	s_wait_dscnt 0x2
	v_dual_lshlrev_b32 v20, 2, v42 :: v_dual_lshlrev_b32 v25, 2, v43
	s_wait_dscnt 0x1
	v_dual_lshlrev_b32 v29, 2, v44 :: v_dual_lshlrev_b32 v31, 2, v45
	ds_load_b32 v33, v20
	ds_load_b32 v25, v25
	;; [unrolled: 1-line block ×4, first 2 shown]
	ds_load_2addr_stride64_b64 v[42:45], v17 offset0:18 offset1:26
	s_wait_dscnt 0x4
	v_dual_mov_b32 v20, v19 :: v_dual_add_nc_u32 v33, v22, v33
	s_wait_dscnt 0x3
	v_add3_u32 v25, v22, v25, 0x200
	s_wait_dscnt 0x2
	v_add3_u32 v29, v22, v29, 0x400
	;; [unrolled: 2-line block ×3, first 2 shown]
	v_add_nc_u32_e32 v22, 0x800, v22
	s_clause 0x1
	global_store_b64 v33, v[38:39], s[22:23] scale_offset
	global_store_b64 v25, v[40:41], s[22:23] scale_offset
	s_wait_dscnt 0x0
	s_clause 0x1
	global_store_b64 v29, v[42:43], s[22:23] scale_offset
	global_store_b64 v31, v[44:45], s[22:23] scale_offset
	s_wait_storecnt 0x0
	s_barrier_signal -1
	s_barrier_wait -1
	s_cbranch_vccnz .LBB193_140
; %bb.141:
	s_add_co_i32 s10, s10, -1
	s_delay_alu instid0(SALU_CYCLE_1) | instskip(SKIP_2) | instid1(SALU_CYCLE_1)
	s_cmp_eq_u32 s31, s10
	s_cselect_b32 s1, -1, 0
	s_xor_b32 s0, s0, -1
	s_and_b32 s0, s0, s1
	s_wait_xcnt 0x0
	s_and_saveexec_b32 s1, s0
	s_cbranch_execz .LBB193_143
; %bb.142:
	ds_load_b32 v0, v37
	s_wait_dscnt 0x0
	v_add3_u32 v0, v27, v30, v0
	global_store_b32 v18, v0, s[26:27] scale_offset
.LBB193_143:
	s_sendmsg sendmsg(MSG_DEALLOC_VGPRS)
	s_endpgm
	.section	.rodata,"a",@progbits
	.p2align	6, 0x0
	.amdhsa_kernel _ZN7rocprim17ROCPRIM_400000_NS6detail17trampoline_kernelINS0_14default_configENS1_35radix_sort_onesweep_config_selectorIjN6thrust23THRUST_200600_302600_NS5tupleIffNS6_9null_typeES8_S8_S8_S8_S8_S8_S8_EEEEZZNS1_29radix_sort_onesweep_iterationIS3_Lb0ENS6_6detail15normal_iteratorINS6_10device_ptrIjEEEESG_NSD_INSE_IS9_EEEESI_jNS0_19identity_decomposerENS1_16block_id_wrapperIjLb1EEEEE10hipError_tT1_PNSt15iterator_traitsISN_E10value_typeET2_T3_PNSO_IST_E10value_typeET4_T5_PSY_SZ_PNS1_23onesweep_lookback_stateEbbT6_jjT7_P12ihipStream_tbENKUlT_T0_SN_SS_E_clIPjSG_PS9_SI_EEDaS16_S17_SN_SS_EUlS16_E_NS1_11comp_targetILNS1_3genE0ELNS1_11target_archE4294967295ELNS1_3gpuE0ELNS1_3repE0EEENS1_47radix_sort_onesweep_sort_config_static_selectorELNS0_4arch9wavefront6targetE0EEEvSN_
		.amdhsa_group_segment_fixed_size 51280
		.amdhsa_private_segment_fixed_size 0
		.amdhsa_kernarg_size 344
		.amdhsa_user_sgpr_count 4
		.amdhsa_user_sgpr_dispatch_ptr 1
		.amdhsa_user_sgpr_queue_ptr 0
		.amdhsa_user_sgpr_kernarg_segment_ptr 1
		.amdhsa_user_sgpr_dispatch_id 0
		.amdhsa_user_sgpr_kernarg_preload_length 0
		.amdhsa_user_sgpr_kernarg_preload_offset 0
		.amdhsa_user_sgpr_private_segment_size 0
		.amdhsa_wavefront_size32 1
		.amdhsa_uses_dynamic_stack 0
		.amdhsa_enable_private_segment 0
		.amdhsa_system_sgpr_workgroup_id_x 1
		.amdhsa_system_sgpr_workgroup_id_y 0
		.amdhsa_system_sgpr_workgroup_id_z 0
		.amdhsa_system_sgpr_workgroup_info 0
		.amdhsa_system_vgpr_workitem_id 2
		.amdhsa_next_free_vgpr 65
		.amdhsa_next_free_sgpr 43
		.amdhsa_named_barrier_count 0
		.amdhsa_reserve_vcc 1
		.amdhsa_float_round_mode_32 0
		.amdhsa_float_round_mode_16_64 0
		.amdhsa_float_denorm_mode_32 3
		.amdhsa_float_denorm_mode_16_64 3
		.amdhsa_fp16_overflow 0
		.amdhsa_memory_ordered 1
		.amdhsa_forward_progress 1
		.amdhsa_inst_pref_size 105
		.amdhsa_round_robin_scheduling 0
		.amdhsa_exception_fp_ieee_invalid_op 0
		.amdhsa_exception_fp_denorm_src 0
		.amdhsa_exception_fp_ieee_div_zero 0
		.amdhsa_exception_fp_ieee_overflow 0
		.amdhsa_exception_fp_ieee_underflow 0
		.amdhsa_exception_fp_ieee_inexact 0
		.amdhsa_exception_int_div_zero 0
	.end_amdhsa_kernel
	.section	.text._ZN7rocprim17ROCPRIM_400000_NS6detail17trampoline_kernelINS0_14default_configENS1_35radix_sort_onesweep_config_selectorIjN6thrust23THRUST_200600_302600_NS5tupleIffNS6_9null_typeES8_S8_S8_S8_S8_S8_S8_EEEEZZNS1_29radix_sort_onesweep_iterationIS3_Lb0ENS6_6detail15normal_iteratorINS6_10device_ptrIjEEEESG_NSD_INSE_IS9_EEEESI_jNS0_19identity_decomposerENS1_16block_id_wrapperIjLb1EEEEE10hipError_tT1_PNSt15iterator_traitsISN_E10value_typeET2_T3_PNSO_IST_E10value_typeET4_T5_PSY_SZ_PNS1_23onesweep_lookback_stateEbbT6_jjT7_P12ihipStream_tbENKUlT_T0_SN_SS_E_clIPjSG_PS9_SI_EEDaS16_S17_SN_SS_EUlS16_E_NS1_11comp_targetILNS1_3genE0ELNS1_11target_archE4294967295ELNS1_3gpuE0ELNS1_3repE0EEENS1_47radix_sort_onesweep_sort_config_static_selectorELNS0_4arch9wavefront6targetE0EEEvSN_,"axG",@progbits,_ZN7rocprim17ROCPRIM_400000_NS6detail17trampoline_kernelINS0_14default_configENS1_35radix_sort_onesweep_config_selectorIjN6thrust23THRUST_200600_302600_NS5tupleIffNS6_9null_typeES8_S8_S8_S8_S8_S8_S8_EEEEZZNS1_29radix_sort_onesweep_iterationIS3_Lb0ENS6_6detail15normal_iteratorINS6_10device_ptrIjEEEESG_NSD_INSE_IS9_EEEESI_jNS0_19identity_decomposerENS1_16block_id_wrapperIjLb1EEEEE10hipError_tT1_PNSt15iterator_traitsISN_E10value_typeET2_T3_PNSO_IST_E10value_typeET4_T5_PSY_SZ_PNS1_23onesweep_lookback_stateEbbT6_jjT7_P12ihipStream_tbENKUlT_T0_SN_SS_E_clIPjSG_PS9_SI_EEDaS16_S17_SN_SS_EUlS16_E_NS1_11comp_targetILNS1_3genE0ELNS1_11target_archE4294967295ELNS1_3gpuE0ELNS1_3repE0EEENS1_47radix_sort_onesweep_sort_config_static_selectorELNS0_4arch9wavefront6targetE0EEEvSN_,comdat
.Lfunc_end193:
	.size	_ZN7rocprim17ROCPRIM_400000_NS6detail17trampoline_kernelINS0_14default_configENS1_35radix_sort_onesweep_config_selectorIjN6thrust23THRUST_200600_302600_NS5tupleIffNS6_9null_typeES8_S8_S8_S8_S8_S8_S8_EEEEZZNS1_29radix_sort_onesweep_iterationIS3_Lb0ENS6_6detail15normal_iteratorINS6_10device_ptrIjEEEESG_NSD_INSE_IS9_EEEESI_jNS0_19identity_decomposerENS1_16block_id_wrapperIjLb1EEEEE10hipError_tT1_PNSt15iterator_traitsISN_E10value_typeET2_T3_PNSO_IST_E10value_typeET4_T5_PSY_SZ_PNS1_23onesweep_lookback_stateEbbT6_jjT7_P12ihipStream_tbENKUlT_T0_SN_SS_E_clIPjSG_PS9_SI_EEDaS16_S17_SN_SS_EUlS16_E_NS1_11comp_targetILNS1_3genE0ELNS1_11target_archE4294967295ELNS1_3gpuE0ELNS1_3repE0EEENS1_47radix_sort_onesweep_sort_config_static_selectorELNS0_4arch9wavefront6targetE0EEEvSN_, .Lfunc_end193-_ZN7rocprim17ROCPRIM_400000_NS6detail17trampoline_kernelINS0_14default_configENS1_35radix_sort_onesweep_config_selectorIjN6thrust23THRUST_200600_302600_NS5tupleIffNS6_9null_typeES8_S8_S8_S8_S8_S8_S8_EEEEZZNS1_29radix_sort_onesweep_iterationIS3_Lb0ENS6_6detail15normal_iteratorINS6_10device_ptrIjEEEESG_NSD_INSE_IS9_EEEESI_jNS0_19identity_decomposerENS1_16block_id_wrapperIjLb1EEEEE10hipError_tT1_PNSt15iterator_traitsISN_E10value_typeET2_T3_PNSO_IST_E10value_typeET4_T5_PSY_SZ_PNS1_23onesweep_lookback_stateEbbT6_jjT7_P12ihipStream_tbENKUlT_T0_SN_SS_E_clIPjSG_PS9_SI_EEDaS16_S17_SN_SS_EUlS16_E_NS1_11comp_targetILNS1_3genE0ELNS1_11target_archE4294967295ELNS1_3gpuE0ELNS1_3repE0EEENS1_47radix_sort_onesweep_sort_config_static_selectorELNS0_4arch9wavefront6targetE0EEEvSN_
                                        ; -- End function
	.set _ZN7rocprim17ROCPRIM_400000_NS6detail17trampoline_kernelINS0_14default_configENS1_35radix_sort_onesweep_config_selectorIjN6thrust23THRUST_200600_302600_NS5tupleIffNS6_9null_typeES8_S8_S8_S8_S8_S8_S8_EEEEZZNS1_29radix_sort_onesweep_iterationIS3_Lb0ENS6_6detail15normal_iteratorINS6_10device_ptrIjEEEESG_NSD_INSE_IS9_EEEESI_jNS0_19identity_decomposerENS1_16block_id_wrapperIjLb1EEEEE10hipError_tT1_PNSt15iterator_traitsISN_E10value_typeET2_T3_PNSO_IST_E10value_typeET4_T5_PSY_SZ_PNS1_23onesweep_lookback_stateEbbT6_jjT7_P12ihipStream_tbENKUlT_T0_SN_SS_E_clIPjSG_PS9_SI_EEDaS16_S17_SN_SS_EUlS16_E_NS1_11comp_targetILNS1_3genE0ELNS1_11target_archE4294967295ELNS1_3gpuE0ELNS1_3repE0EEENS1_47radix_sort_onesweep_sort_config_static_selectorELNS0_4arch9wavefront6targetE0EEEvSN_.num_vgpr, 65
	.set _ZN7rocprim17ROCPRIM_400000_NS6detail17trampoline_kernelINS0_14default_configENS1_35radix_sort_onesweep_config_selectorIjN6thrust23THRUST_200600_302600_NS5tupleIffNS6_9null_typeES8_S8_S8_S8_S8_S8_S8_EEEEZZNS1_29radix_sort_onesweep_iterationIS3_Lb0ENS6_6detail15normal_iteratorINS6_10device_ptrIjEEEESG_NSD_INSE_IS9_EEEESI_jNS0_19identity_decomposerENS1_16block_id_wrapperIjLb1EEEEE10hipError_tT1_PNSt15iterator_traitsISN_E10value_typeET2_T3_PNSO_IST_E10value_typeET4_T5_PSY_SZ_PNS1_23onesweep_lookback_stateEbbT6_jjT7_P12ihipStream_tbENKUlT_T0_SN_SS_E_clIPjSG_PS9_SI_EEDaS16_S17_SN_SS_EUlS16_E_NS1_11comp_targetILNS1_3genE0ELNS1_11target_archE4294967295ELNS1_3gpuE0ELNS1_3repE0EEENS1_47radix_sort_onesweep_sort_config_static_selectorELNS0_4arch9wavefront6targetE0EEEvSN_.num_agpr, 0
	.set _ZN7rocprim17ROCPRIM_400000_NS6detail17trampoline_kernelINS0_14default_configENS1_35radix_sort_onesweep_config_selectorIjN6thrust23THRUST_200600_302600_NS5tupleIffNS6_9null_typeES8_S8_S8_S8_S8_S8_S8_EEEEZZNS1_29radix_sort_onesweep_iterationIS3_Lb0ENS6_6detail15normal_iteratorINS6_10device_ptrIjEEEESG_NSD_INSE_IS9_EEEESI_jNS0_19identity_decomposerENS1_16block_id_wrapperIjLb1EEEEE10hipError_tT1_PNSt15iterator_traitsISN_E10value_typeET2_T3_PNSO_IST_E10value_typeET4_T5_PSY_SZ_PNS1_23onesweep_lookback_stateEbbT6_jjT7_P12ihipStream_tbENKUlT_T0_SN_SS_E_clIPjSG_PS9_SI_EEDaS16_S17_SN_SS_EUlS16_E_NS1_11comp_targetILNS1_3genE0ELNS1_11target_archE4294967295ELNS1_3gpuE0ELNS1_3repE0EEENS1_47radix_sort_onesweep_sort_config_static_selectorELNS0_4arch9wavefront6targetE0EEEvSN_.numbered_sgpr, 43
	.set _ZN7rocprim17ROCPRIM_400000_NS6detail17trampoline_kernelINS0_14default_configENS1_35radix_sort_onesweep_config_selectorIjN6thrust23THRUST_200600_302600_NS5tupleIffNS6_9null_typeES8_S8_S8_S8_S8_S8_S8_EEEEZZNS1_29radix_sort_onesweep_iterationIS3_Lb0ENS6_6detail15normal_iteratorINS6_10device_ptrIjEEEESG_NSD_INSE_IS9_EEEESI_jNS0_19identity_decomposerENS1_16block_id_wrapperIjLb1EEEEE10hipError_tT1_PNSt15iterator_traitsISN_E10value_typeET2_T3_PNSO_IST_E10value_typeET4_T5_PSY_SZ_PNS1_23onesweep_lookback_stateEbbT6_jjT7_P12ihipStream_tbENKUlT_T0_SN_SS_E_clIPjSG_PS9_SI_EEDaS16_S17_SN_SS_EUlS16_E_NS1_11comp_targetILNS1_3genE0ELNS1_11target_archE4294967295ELNS1_3gpuE0ELNS1_3repE0EEENS1_47radix_sort_onesweep_sort_config_static_selectorELNS0_4arch9wavefront6targetE0EEEvSN_.num_named_barrier, 0
	.set _ZN7rocprim17ROCPRIM_400000_NS6detail17trampoline_kernelINS0_14default_configENS1_35radix_sort_onesweep_config_selectorIjN6thrust23THRUST_200600_302600_NS5tupleIffNS6_9null_typeES8_S8_S8_S8_S8_S8_S8_EEEEZZNS1_29radix_sort_onesweep_iterationIS3_Lb0ENS6_6detail15normal_iteratorINS6_10device_ptrIjEEEESG_NSD_INSE_IS9_EEEESI_jNS0_19identity_decomposerENS1_16block_id_wrapperIjLb1EEEEE10hipError_tT1_PNSt15iterator_traitsISN_E10value_typeET2_T3_PNSO_IST_E10value_typeET4_T5_PSY_SZ_PNS1_23onesweep_lookback_stateEbbT6_jjT7_P12ihipStream_tbENKUlT_T0_SN_SS_E_clIPjSG_PS9_SI_EEDaS16_S17_SN_SS_EUlS16_E_NS1_11comp_targetILNS1_3genE0ELNS1_11target_archE4294967295ELNS1_3gpuE0ELNS1_3repE0EEENS1_47radix_sort_onesweep_sort_config_static_selectorELNS0_4arch9wavefront6targetE0EEEvSN_.private_seg_size, 0
	.set _ZN7rocprim17ROCPRIM_400000_NS6detail17trampoline_kernelINS0_14default_configENS1_35radix_sort_onesweep_config_selectorIjN6thrust23THRUST_200600_302600_NS5tupleIffNS6_9null_typeES8_S8_S8_S8_S8_S8_S8_EEEEZZNS1_29radix_sort_onesweep_iterationIS3_Lb0ENS6_6detail15normal_iteratorINS6_10device_ptrIjEEEESG_NSD_INSE_IS9_EEEESI_jNS0_19identity_decomposerENS1_16block_id_wrapperIjLb1EEEEE10hipError_tT1_PNSt15iterator_traitsISN_E10value_typeET2_T3_PNSO_IST_E10value_typeET4_T5_PSY_SZ_PNS1_23onesweep_lookback_stateEbbT6_jjT7_P12ihipStream_tbENKUlT_T0_SN_SS_E_clIPjSG_PS9_SI_EEDaS16_S17_SN_SS_EUlS16_E_NS1_11comp_targetILNS1_3genE0ELNS1_11target_archE4294967295ELNS1_3gpuE0ELNS1_3repE0EEENS1_47radix_sort_onesweep_sort_config_static_selectorELNS0_4arch9wavefront6targetE0EEEvSN_.uses_vcc, 1
	.set _ZN7rocprim17ROCPRIM_400000_NS6detail17trampoline_kernelINS0_14default_configENS1_35radix_sort_onesweep_config_selectorIjN6thrust23THRUST_200600_302600_NS5tupleIffNS6_9null_typeES8_S8_S8_S8_S8_S8_S8_EEEEZZNS1_29radix_sort_onesweep_iterationIS3_Lb0ENS6_6detail15normal_iteratorINS6_10device_ptrIjEEEESG_NSD_INSE_IS9_EEEESI_jNS0_19identity_decomposerENS1_16block_id_wrapperIjLb1EEEEE10hipError_tT1_PNSt15iterator_traitsISN_E10value_typeET2_T3_PNSO_IST_E10value_typeET4_T5_PSY_SZ_PNS1_23onesweep_lookback_stateEbbT6_jjT7_P12ihipStream_tbENKUlT_T0_SN_SS_E_clIPjSG_PS9_SI_EEDaS16_S17_SN_SS_EUlS16_E_NS1_11comp_targetILNS1_3genE0ELNS1_11target_archE4294967295ELNS1_3gpuE0ELNS1_3repE0EEENS1_47radix_sort_onesweep_sort_config_static_selectorELNS0_4arch9wavefront6targetE0EEEvSN_.uses_flat_scratch, 0
	.set _ZN7rocprim17ROCPRIM_400000_NS6detail17trampoline_kernelINS0_14default_configENS1_35radix_sort_onesweep_config_selectorIjN6thrust23THRUST_200600_302600_NS5tupleIffNS6_9null_typeES8_S8_S8_S8_S8_S8_S8_EEEEZZNS1_29radix_sort_onesweep_iterationIS3_Lb0ENS6_6detail15normal_iteratorINS6_10device_ptrIjEEEESG_NSD_INSE_IS9_EEEESI_jNS0_19identity_decomposerENS1_16block_id_wrapperIjLb1EEEEE10hipError_tT1_PNSt15iterator_traitsISN_E10value_typeET2_T3_PNSO_IST_E10value_typeET4_T5_PSY_SZ_PNS1_23onesweep_lookback_stateEbbT6_jjT7_P12ihipStream_tbENKUlT_T0_SN_SS_E_clIPjSG_PS9_SI_EEDaS16_S17_SN_SS_EUlS16_E_NS1_11comp_targetILNS1_3genE0ELNS1_11target_archE4294967295ELNS1_3gpuE0ELNS1_3repE0EEENS1_47radix_sort_onesweep_sort_config_static_selectorELNS0_4arch9wavefront6targetE0EEEvSN_.has_dyn_sized_stack, 0
	.set _ZN7rocprim17ROCPRIM_400000_NS6detail17trampoline_kernelINS0_14default_configENS1_35radix_sort_onesweep_config_selectorIjN6thrust23THRUST_200600_302600_NS5tupleIffNS6_9null_typeES8_S8_S8_S8_S8_S8_S8_EEEEZZNS1_29radix_sort_onesweep_iterationIS3_Lb0ENS6_6detail15normal_iteratorINS6_10device_ptrIjEEEESG_NSD_INSE_IS9_EEEESI_jNS0_19identity_decomposerENS1_16block_id_wrapperIjLb1EEEEE10hipError_tT1_PNSt15iterator_traitsISN_E10value_typeET2_T3_PNSO_IST_E10value_typeET4_T5_PSY_SZ_PNS1_23onesweep_lookback_stateEbbT6_jjT7_P12ihipStream_tbENKUlT_T0_SN_SS_E_clIPjSG_PS9_SI_EEDaS16_S17_SN_SS_EUlS16_E_NS1_11comp_targetILNS1_3genE0ELNS1_11target_archE4294967295ELNS1_3gpuE0ELNS1_3repE0EEENS1_47radix_sort_onesweep_sort_config_static_selectorELNS0_4arch9wavefront6targetE0EEEvSN_.has_recursion, 0
	.set _ZN7rocprim17ROCPRIM_400000_NS6detail17trampoline_kernelINS0_14default_configENS1_35radix_sort_onesweep_config_selectorIjN6thrust23THRUST_200600_302600_NS5tupleIffNS6_9null_typeES8_S8_S8_S8_S8_S8_S8_EEEEZZNS1_29radix_sort_onesweep_iterationIS3_Lb0ENS6_6detail15normal_iteratorINS6_10device_ptrIjEEEESG_NSD_INSE_IS9_EEEESI_jNS0_19identity_decomposerENS1_16block_id_wrapperIjLb1EEEEE10hipError_tT1_PNSt15iterator_traitsISN_E10value_typeET2_T3_PNSO_IST_E10value_typeET4_T5_PSY_SZ_PNS1_23onesweep_lookback_stateEbbT6_jjT7_P12ihipStream_tbENKUlT_T0_SN_SS_E_clIPjSG_PS9_SI_EEDaS16_S17_SN_SS_EUlS16_E_NS1_11comp_targetILNS1_3genE0ELNS1_11target_archE4294967295ELNS1_3gpuE0ELNS1_3repE0EEENS1_47radix_sort_onesweep_sort_config_static_selectorELNS0_4arch9wavefront6targetE0EEEvSN_.has_indirect_call, 0
	.section	.AMDGPU.csdata,"",@progbits
; Kernel info:
; codeLenInByte = 13396
; TotalNumSgprs: 45
; NumVgprs: 65
; ScratchSize: 0
; MemoryBound: 0
; FloatMode: 240
; IeeeMode: 1
; LDSByteSize: 51280 bytes/workgroup (compile time only)
; SGPRBlocks: 0
; VGPRBlocks: 4
; NumSGPRsForWavesPerEU: 45
; NumVGPRsForWavesPerEU: 65
; NamedBarCnt: 0
; Occupancy: 12
; WaveLimiterHint : 1
; COMPUTE_PGM_RSRC2:SCRATCH_EN: 0
; COMPUTE_PGM_RSRC2:USER_SGPR: 4
; COMPUTE_PGM_RSRC2:TRAP_HANDLER: 0
; COMPUTE_PGM_RSRC2:TGID_X_EN: 1
; COMPUTE_PGM_RSRC2:TGID_Y_EN: 0
; COMPUTE_PGM_RSRC2:TGID_Z_EN: 0
; COMPUTE_PGM_RSRC2:TIDIG_COMP_CNT: 2
	.section	.text._ZN7rocprim17ROCPRIM_400000_NS6detail17trampoline_kernelINS0_14default_configENS1_35radix_sort_onesweep_config_selectorIjN6thrust23THRUST_200600_302600_NS5tupleIffNS6_9null_typeES8_S8_S8_S8_S8_S8_S8_EEEEZZNS1_29radix_sort_onesweep_iterationIS3_Lb0ENS6_6detail15normal_iteratorINS6_10device_ptrIjEEEESG_NSD_INSE_IS9_EEEESI_jNS0_19identity_decomposerENS1_16block_id_wrapperIjLb1EEEEE10hipError_tT1_PNSt15iterator_traitsISN_E10value_typeET2_T3_PNSO_IST_E10value_typeET4_T5_PSY_SZ_PNS1_23onesweep_lookback_stateEbbT6_jjT7_P12ihipStream_tbENKUlT_T0_SN_SS_E_clIPjSG_PS9_SI_EEDaS16_S17_SN_SS_EUlS16_E_NS1_11comp_targetILNS1_3genE6ELNS1_11target_archE950ELNS1_3gpuE13ELNS1_3repE0EEENS1_47radix_sort_onesweep_sort_config_static_selectorELNS0_4arch9wavefront6targetE0EEEvSN_,"axG",@progbits,_ZN7rocprim17ROCPRIM_400000_NS6detail17trampoline_kernelINS0_14default_configENS1_35radix_sort_onesweep_config_selectorIjN6thrust23THRUST_200600_302600_NS5tupleIffNS6_9null_typeES8_S8_S8_S8_S8_S8_S8_EEEEZZNS1_29radix_sort_onesweep_iterationIS3_Lb0ENS6_6detail15normal_iteratorINS6_10device_ptrIjEEEESG_NSD_INSE_IS9_EEEESI_jNS0_19identity_decomposerENS1_16block_id_wrapperIjLb1EEEEE10hipError_tT1_PNSt15iterator_traitsISN_E10value_typeET2_T3_PNSO_IST_E10value_typeET4_T5_PSY_SZ_PNS1_23onesweep_lookback_stateEbbT6_jjT7_P12ihipStream_tbENKUlT_T0_SN_SS_E_clIPjSG_PS9_SI_EEDaS16_S17_SN_SS_EUlS16_E_NS1_11comp_targetILNS1_3genE6ELNS1_11target_archE950ELNS1_3gpuE13ELNS1_3repE0EEENS1_47radix_sort_onesweep_sort_config_static_selectorELNS0_4arch9wavefront6targetE0EEEvSN_,comdat
	.protected	_ZN7rocprim17ROCPRIM_400000_NS6detail17trampoline_kernelINS0_14default_configENS1_35radix_sort_onesweep_config_selectorIjN6thrust23THRUST_200600_302600_NS5tupleIffNS6_9null_typeES8_S8_S8_S8_S8_S8_S8_EEEEZZNS1_29radix_sort_onesweep_iterationIS3_Lb0ENS6_6detail15normal_iteratorINS6_10device_ptrIjEEEESG_NSD_INSE_IS9_EEEESI_jNS0_19identity_decomposerENS1_16block_id_wrapperIjLb1EEEEE10hipError_tT1_PNSt15iterator_traitsISN_E10value_typeET2_T3_PNSO_IST_E10value_typeET4_T5_PSY_SZ_PNS1_23onesweep_lookback_stateEbbT6_jjT7_P12ihipStream_tbENKUlT_T0_SN_SS_E_clIPjSG_PS9_SI_EEDaS16_S17_SN_SS_EUlS16_E_NS1_11comp_targetILNS1_3genE6ELNS1_11target_archE950ELNS1_3gpuE13ELNS1_3repE0EEENS1_47radix_sort_onesweep_sort_config_static_selectorELNS0_4arch9wavefront6targetE0EEEvSN_ ; -- Begin function _ZN7rocprim17ROCPRIM_400000_NS6detail17trampoline_kernelINS0_14default_configENS1_35radix_sort_onesweep_config_selectorIjN6thrust23THRUST_200600_302600_NS5tupleIffNS6_9null_typeES8_S8_S8_S8_S8_S8_S8_EEEEZZNS1_29radix_sort_onesweep_iterationIS3_Lb0ENS6_6detail15normal_iteratorINS6_10device_ptrIjEEEESG_NSD_INSE_IS9_EEEESI_jNS0_19identity_decomposerENS1_16block_id_wrapperIjLb1EEEEE10hipError_tT1_PNSt15iterator_traitsISN_E10value_typeET2_T3_PNSO_IST_E10value_typeET4_T5_PSY_SZ_PNS1_23onesweep_lookback_stateEbbT6_jjT7_P12ihipStream_tbENKUlT_T0_SN_SS_E_clIPjSG_PS9_SI_EEDaS16_S17_SN_SS_EUlS16_E_NS1_11comp_targetILNS1_3genE6ELNS1_11target_archE950ELNS1_3gpuE13ELNS1_3repE0EEENS1_47radix_sort_onesweep_sort_config_static_selectorELNS0_4arch9wavefront6targetE0EEEvSN_
	.globl	_ZN7rocprim17ROCPRIM_400000_NS6detail17trampoline_kernelINS0_14default_configENS1_35radix_sort_onesweep_config_selectorIjN6thrust23THRUST_200600_302600_NS5tupleIffNS6_9null_typeES8_S8_S8_S8_S8_S8_S8_EEEEZZNS1_29radix_sort_onesweep_iterationIS3_Lb0ENS6_6detail15normal_iteratorINS6_10device_ptrIjEEEESG_NSD_INSE_IS9_EEEESI_jNS0_19identity_decomposerENS1_16block_id_wrapperIjLb1EEEEE10hipError_tT1_PNSt15iterator_traitsISN_E10value_typeET2_T3_PNSO_IST_E10value_typeET4_T5_PSY_SZ_PNS1_23onesweep_lookback_stateEbbT6_jjT7_P12ihipStream_tbENKUlT_T0_SN_SS_E_clIPjSG_PS9_SI_EEDaS16_S17_SN_SS_EUlS16_E_NS1_11comp_targetILNS1_3genE6ELNS1_11target_archE950ELNS1_3gpuE13ELNS1_3repE0EEENS1_47radix_sort_onesweep_sort_config_static_selectorELNS0_4arch9wavefront6targetE0EEEvSN_
	.p2align	8
	.type	_ZN7rocprim17ROCPRIM_400000_NS6detail17trampoline_kernelINS0_14default_configENS1_35radix_sort_onesweep_config_selectorIjN6thrust23THRUST_200600_302600_NS5tupleIffNS6_9null_typeES8_S8_S8_S8_S8_S8_S8_EEEEZZNS1_29radix_sort_onesweep_iterationIS3_Lb0ENS6_6detail15normal_iteratorINS6_10device_ptrIjEEEESG_NSD_INSE_IS9_EEEESI_jNS0_19identity_decomposerENS1_16block_id_wrapperIjLb1EEEEE10hipError_tT1_PNSt15iterator_traitsISN_E10value_typeET2_T3_PNSO_IST_E10value_typeET4_T5_PSY_SZ_PNS1_23onesweep_lookback_stateEbbT6_jjT7_P12ihipStream_tbENKUlT_T0_SN_SS_E_clIPjSG_PS9_SI_EEDaS16_S17_SN_SS_EUlS16_E_NS1_11comp_targetILNS1_3genE6ELNS1_11target_archE950ELNS1_3gpuE13ELNS1_3repE0EEENS1_47radix_sort_onesweep_sort_config_static_selectorELNS0_4arch9wavefront6targetE0EEEvSN_,@function
_ZN7rocprim17ROCPRIM_400000_NS6detail17trampoline_kernelINS0_14default_configENS1_35radix_sort_onesweep_config_selectorIjN6thrust23THRUST_200600_302600_NS5tupleIffNS6_9null_typeES8_S8_S8_S8_S8_S8_S8_EEEEZZNS1_29radix_sort_onesweep_iterationIS3_Lb0ENS6_6detail15normal_iteratorINS6_10device_ptrIjEEEESG_NSD_INSE_IS9_EEEESI_jNS0_19identity_decomposerENS1_16block_id_wrapperIjLb1EEEEE10hipError_tT1_PNSt15iterator_traitsISN_E10value_typeET2_T3_PNSO_IST_E10value_typeET4_T5_PSY_SZ_PNS1_23onesweep_lookback_stateEbbT6_jjT7_P12ihipStream_tbENKUlT_T0_SN_SS_E_clIPjSG_PS9_SI_EEDaS16_S17_SN_SS_EUlS16_E_NS1_11comp_targetILNS1_3genE6ELNS1_11target_archE950ELNS1_3gpuE13ELNS1_3repE0EEENS1_47radix_sort_onesweep_sort_config_static_selectorELNS0_4arch9wavefront6targetE0EEEvSN_: ; @_ZN7rocprim17ROCPRIM_400000_NS6detail17trampoline_kernelINS0_14default_configENS1_35radix_sort_onesweep_config_selectorIjN6thrust23THRUST_200600_302600_NS5tupleIffNS6_9null_typeES8_S8_S8_S8_S8_S8_S8_EEEEZZNS1_29radix_sort_onesweep_iterationIS3_Lb0ENS6_6detail15normal_iteratorINS6_10device_ptrIjEEEESG_NSD_INSE_IS9_EEEESI_jNS0_19identity_decomposerENS1_16block_id_wrapperIjLb1EEEEE10hipError_tT1_PNSt15iterator_traitsISN_E10value_typeET2_T3_PNSO_IST_E10value_typeET4_T5_PSY_SZ_PNS1_23onesweep_lookback_stateEbbT6_jjT7_P12ihipStream_tbENKUlT_T0_SN_SS_E_clIPjSG_PS9_SI_EEDaS16_S17_SN_SS_EUlS16_E_NS1_11comp_targetILNS1_3genE6ELNS1_11target_archE950ELNS1_3gpuE13ELNS1_3repE0EEENS1_47radix_sort_onesweep_sort_config_static_selectorELNS0_4arch9wavefront6targetE0EEEvSN_
; %bb.0:
	.section	.rodata,"a",@progbits
	.p2align	6, 0x0
	.amdhsa_kernel _ZN7rocprim17ROCPRIM_400000_NS6detail17trampoline_kernelINS0_14default_configENS1_35radix_sort_onesweep_config_selectorIjN6thrust23THRUST_200600_302600_NS5tupleIffNS6_9null_typeES8_S8_S8_S8_S8_S8_S8_EEEEZZNS1_29radix_sort_onesweep_iterationIS3_Lb0ENS6_6detail15normal_iteratorINS6_10device_ptrIjEEEESG_NSD_INSE_IS9_EEEESI_jNS0_19identity_decomposerENS1_16block_id_wrapperIjLb1EEEEE10hipError_tT1_PNSt15iterator_traitsISN_E10value_typeET2_T3_PNSO_IST_E10value_typeET4_T5_PSY_SZ_PNS1_23onesweep_lookback_stateEbbT6_jjT7_P12ihipStream_tbENKUlT_T0_SN_SS_E_clIPjSG_PS9_SI_EEDaS16_S17_SN_SS_EUlS16_E_NS1_11comp_targetILNS1_3genE6ELNS1_11target_archE950ELNS1_3gpuE13ELNS1_3repE0EEENS1_47radix_sort_onesweep_sort_config_static_selectorELNS0_4arch9wavefront6targetE0EEEvSN_
		.amdhsa_group_segment_fixed_size 0
		.amdhsa_private_segment_fixed_size 0
		.amdhsa_kernarg_size 88
		.amdhsa_user_sgpr_count 2
		.amdhsa_user_sgpr_dispatch_ptr 0
		.amdhsa_user_sgpr_queue_ptr 0
		.amdhsa_user_sgpr_kernarg_segment_ptr 1
		.amdhsa_user_sgpr_dispatch_id 0
		.amdhsa_user_sgpr_kernarg_preload_length 0
		.amdhsa_user_sgpr_kernarg_preload_offset 0
		.amdhsa_user_sgpr_private_segment_size 0
		.amdhsa_wavefront_size32 1
		.amdhsa_uses_dynamic_stack 0
		.amdhsa_enable_private_segment 0
		.amdhsa_system_sgpr_workgroup_id_x 1
		.amdhsa_system_sgpr_workgroup_id_y 0
		.amdhsa_system_sgpr_workgroup_id_z 0
		.amdhsa_system_sgpr_workgroup_info 0
		.amdhsa_system_vgpr_workitem_id 0
		.amdhsa_next_free_vgpr 1
		.amdhsa_next_free_sgpr 1
		.amdhsa_named_barrier_count 0
		.amdhsa_reserve_vcc 0
		.amdhsa_float_round_mode_32 0
		.amdhsa_float_round_mode_16_64 0
		.amdhsa_float_denorm_mode_32 3
		.amdhsa_float_denorm_mode_16_64 3
		.amdhsa_fp16_overflow 0
		.amdhsa_memory_ordered 1
		.amdhsa_forward_progress 1
		.amdhsa_inst_pref_size 0
		.amdhsa_round_robin_scheduling 0
		.amdhsa_exception_fp_ieee_invalid_op 0
		.amdhsa_exception_fp_denorm_src 0
		.amdhsa_exception_fp_ieee_div_zero 0
		.amdhsa_exception_fp_ieee_overflow 0
		.amdhsa_exception_fp_ieee_underflow 0
		.amdhsa_exception_fp_ieee_inexact 0
		.amdhsa_exception_int_div_zero 0
	.end_amdhsa_kernel
	.section	.text._ZN7rocprim17ROCPRIM_400000_NS6detail17trampoline_kernelINS0_14default_configENS1_35radix_sort_onesweep_config_selectorIjN6thrust23THRUST_200600_302600_NS5tupleIffNS6_9null_typeES8_S8_S8_S8_S8_S8_S8_EEEEZZNS1_29radix_sort_onesweep_iterationIS3_Lb0ENS6_6detail15normal_iteratorINS6_10device_ptrIjEEEESG_NSD_INSE_IS9_EEEESI_jNS0_19identity_decomposerENS1_16block_id_wrapperIjLb1EEEEE10hipError_tT1_PNSt15iterator_traitsISN_E10value_typeET2_T3_PNSO_IST_E10value_typeET4_T5_PSY_SZ_PNS1_23onesweep_lookback_stateEbbT6_jjT7_P12ihipStream_tbENKUlT_T0_SN_SS_E_clIPjSG_PS9_SI_EEDaS16_S17_SN_SS_EUlS16_E_NS1_11comp_targetILNS1_3genE6ELNS1_11target_archE950ELNS1_3gpuE13ELNS1_3repE0EEENS1_47radix_sort_onesweep_sort_config_static_selectorELNS0_4arch9wavefront6targetE0EEEvSN_,"axG",@progbits,_ZN7rocprim17ROCPRIM_400000_NS6detail17trampoline_kernelINS0_14default_configENS1_35radix_sort_onesweep_config_selectorIjN6thrust23THRUST_200600_302600_NS5tupleIffNS6_9null_typeES8_S8_S8_S8_S8_S8_S8_EEEEZZNS1_29radix_sort_onesweep_iterationIS3_Lb0ENS6_6detail15normal_iteratorINS6_10device_ptrIjEEEESG_NSD_INSE_IS9_EEEESI_jNS0_19identity_decomposerENS1_16block_id_wrapperIjLb1EEEEE10hipError_tT1_PNSt15iterator_traitsISN_E10value_typeET2_T3_PNSO_IST_E10value_typeET4_T5_PSY_SZ_PNS1_23onesweep_lookback_stateEbbT6_jjT7_P12ihipStream_tbENKUlT_T0_SN_SS_E_clIPjSG_PS9_SI_EEDaS16_S17_SN_SS_EUlS16_E_NS1_11comp_targetILNS1_3genE6ELNS1_11target_archE950ELNS1_3gpuE13ELNS1_3repE0EEENS1_47radix_sort_onesweep_sort_config_static_selectorELNS0_4arch9wavefront6targetE0EEEvSN_,comdat
.Lfunc_end194:
	.size	_ZN7rocprim17ROCPRIM_400000_NS6detail17trampoline_kernelINS0_14default_configENS1_35radix_sort_onesweep_config_selectorIjN6thrust23THRUST_200600_302600_NS5tupleIffNS6_9null_typeES8_S8_S8_S8_S8_S8_S8_EEEEZZNS1_29radix_sort_onesweep_iterationIS3_Lb0ENS6_6detail15normal_iteratorINS6_10device_ptrIjEEEESG_NSD_INSE_IS9_EEEESI_jNS0_19identity_decomposerENS1_16block_id_wrapperIjLb1EEEEE10hipError_tT1_PNSt15iterator_traitsISN_E10value_typeET2_T3_PNSO_IST_E10value_typeET4_T5_PSY_SZ_PNS1_23onesweep_lookback_stateEbbT6_jjT7_P12ihipStream_tbENKUlT_T0_SN_SS_E_clIPjSG_PS9_SI_EEDaS16_S17_SN_SS_EUlS16_E_NS1_11comp_targetILNS1_3genE6ELNS1_11target_archE950ELNS1_3gpuE13ELNS1_3repE0EEENS1_47radix_sort_onesweep_sort_config_static_selectorELNS0_4arch9wavefront6targetE0EEEvSN_, .Lfunc_end194-_ZN7rocprim17ROCPRIM_400000_NS6detail17trampoline_kernelINS0_14default_configENS1_35radix_sort_onesweep_config_selectorIjN6thrust23THRUST_200600_302600_NS5tupleIffNS6_9null_typeES8_S8_S8_S8_S8_S8_S8_EEEEZZNS1_29radix_sort_onesweep_iterationIS3_Lb0ENS6_6detail15normal_iteratorINS6_10device_ptrIjEEEESG_NSD_INSE_IS9_EEEESI_jNS0_19identity_decomposerENS1_16block_id_wrapperIjLb1EEEEE10hipError_tT1_PNSt15iterator_traitsISN_E10value_typeET2_T3_PNSO_IST_E10value_typeET4_T5_PSY_SZ_PNS1_23onesweep_lookback_stateEbbT6_jjT7_P12ihipStream_tbENKUlT_T0_SN_SS_E_clIPjSG_PS9_SI_EEDaS16_S17_SN_SS_EUlS16_E_NS1_11comp_targetILNS1_3genE6ELNS1_11target_archE950ELNS1_3gpuE13ELNS1_3repE0EEENS1_47radix_sort_onesweep_sort_config_static_selectorELNS0_4arch9wavefront6targetE0EEEvSN_
                                        ; -- End function
	.set _ZN7rocprim17ROCPRIM_400000_NS6detail17trampoline_kernelINS0_14default_configENS1_35radix_sort_onesweep_config_selectorIjN6thrust23THRUST_200600_302600_NS5tupleIffNS6_9null_typeES8_S8_S8_S8_S8_S8_S8_EEEEZZNS1_29radix_sort_onesweep_iterationIS3_Lb0ENS6_6detail15normal_iteratorINS6_10device_ptrIjEEEESG_NSD_INSE_IS9_EEEESI_jNS0_19identity_decomposerENS1_16block_id_wrapperIjLb1EEEEE10hipError_tT1_PNSt15iterator_traitsISN_E10value_typeET2_T3_PNSO_IST_E10value_typeET4_T5_PSY_SZ_PNS1_23onesweep_lookback_stateEbbT6_jjT7_P12ihipStream_tbENKUlT_T0_SN_SS_E_clIPjSG_PS9_SI_EEDaS16_S17_SN_SS_EUlS16_E_NS1_11comp_targetILNS1_3genE6ELNS1_11target_archE950ELNS1_3gpuE13ELNS1_3repE0EEENS1_47radix_sort_onesweep_sort_config_static_selectorELNS0_4arch9wavefront6targetE0EEEvSN_.num_vgpr, 0
	.set _ZN7rocprim17ROCPRIM_400000_NS6detail17trampoline_kernelINS0_14default_configENS1_35radix_sort_onesweep_config_selectorIjN6thrust23THRUST_200600_302600_NS5tupleIffNS6_9null_typeES8_S8_S8_S8_S8_S8_S8_EEEEZZNS1_29radix_sort_onesweep_iterationIS3_Lb0ENS6_6detail15normal_iteratorINS6_10device_ptrIjEEEESG_NSD_INSE_IS9_EEEESI_jNS0_19identity_decomposerENS1_16block_id_wrapperIjLb1EEEEE10hipError_tT1_PNSt15iterator_traitsISN_E10value_typeET2_T3_PNSO_IST_E10value_typeET4_T5_PSY_SZ_PNS1_23onesweep_lookback_stateEbbT6_jjT7_P12ihipStream_tbENKUlT_T0_SN_SS_E_clIPjSG_PS9_SI_EEDaS16_S17_SN_SS_EUlS16_E_NS1_11comp_targetILNS1_3genE6ELNS1_11target_archE950ELNS1_3gpuE13ELNS1_3repE0EEENS1_47radix_sort_onesweep_sort_config_static_selectorELNS0_4arch9wavefront6targetE0EEEvSN_.num_agpr, 0
	.set _ZN7rocprim17ROCPRIM_400000_NS6detail17trampoline_kernelINS0_14default_configENS1_35radix_sort_onesweep_config_selectorIjN6thrust23THRUST_200600_302600_NS5tupleIffNS6_9null_typeES8_S8_S8_S8_S8_S8_S8_EEEEZZNS1_29radix_sort_onesweep_iterationIS3_Lb0ENS6_6detail15normal_iteratorINS6_10device_ptrIjEEEESG_NSD_INSE_IS9_EEEESI_jNS0_19identity_decomposerENS1_16block_id_wrapperIjLb1EEEEE10hipError_tT1_PNSt15iterator_traitsISN_E10value_typeET2_T3_PNSO_IST_E10value_typeET4_T5_PSY_SZ_PNS1_23onesweep_lookback_stateEbbT6_jjT7_P12ihipStream_tbENKUlT_T0_SN_SS_E_clIPjSG_PS9_SI_EEDaS16_S17_SN_SS_EUlS16_E_NS1_11comp_targetILNS1_3genE6ELNS1_11target_archE950ELNS1_3gpuE13ELNS1_3repE0EEENS1_47radix_sort_onesweep_sort_config_static_selectorELNS0_4arch9wavefront6targetE0EEEvSN_.numbered_sgpr, 0
	.set _ZN7rocprim17ROCPRIM_400000_NS6detail17trampoline_kernelINS0_14default_configENS1_35radix_sort_onesweep_config_selectorIjN6thrust23THRUST_200600_302600_NS5tupleIffNS6_9null_typeES8_S8_S8_S8_S8_S8_S8_EEEEZZNS1_29radix_sort_onesweep_iterationIS3_Lb0ENS6_6detail15normal_iteratorINS6_10device_ptrIjEEEESG_NSD_INSE_IS9_EEEESI_jNS0_19identity_decomposerENS1_16block_id_wrapperIjLb1EEEEE10hipError_tT1_PNSt15iterator_traitsISN_E10value_typeET2_T3_PNSO_IST_E10value_typeET4_T5_PSY_SZ_PNS1_23onesweep_lookback_stateEbbT6_jjT7_P12ihipStream_tbENKUlT_T0_SN_SS_E_clIPjSG_PS9_SI_EEDaS16_S17_SN_SS_EUlS16_E_NS1_11comp_targetILNS1_3genE6ELNS1_11target_archE950ELNS1_3gpuE13ELNS1_3repE0EEENS1_47radix_sort_onesweep_sort_config_static_selectorELNS0_4arch9wavefront6targetE0EEEvSN_.num_named_barrier, 0
	.set _ZN7rocprim17ROCPRIM_400000_NS6detail17trampoline_kernelINS0_14default_configENS1_35radix_sort_onesweep_config_selectorIjN6thrust23THRUST_200600_302600_NS5tupleIffNS6_9null_typeES8_S8_S8_S8_S8_S8_S8_EEEEZZNS1_29radix_sort_onesweep_iterationIS3_Lb0ENS6_6detail15normal_iteratorINS6_10device_ptrIjEEEESG_NSD_INSE_IS9_EEEESI_jNS0_19identity_decomposerENS1_16block_id_wrapperIjLb1EEEEE10hipError_tT1_PNSt15iterator_traitsISN_E10value_typeET2_T3_PNSO_IST_E10value_typeET4_T5_PSY_SZ_PNS1_23onesweep_lookback_stateEbbT6_jjT7_P12ihipStream_tbENKUlT_T0_SN_SS_E_clIPjSG_PS9_SI_EEDaS16_S17_SN_SS_EUlS16_E_NS1_11comp_targetILNS1_3genE6ELNS1_11target_archE950ELNS1_3gpuE13ELNS1_3repE0EEENS1_47radix_sort_onesweep_sort_config_static_selectorELNS0_4arch9wavefront6targetE0EEEvSN_.private_seg_size, 0
	.set _ZN7rocprim17ROCPRIM_400000_NS6detail17trampoline_kernelINS0_14default_configENS1_35radix_sort_onesweep_config_selectorIjN6thrust23THRUST_200600_302600_NS5tupleIffNS6_9null_typeES8_S8_S8_S8_S8_S8_S8_EEEEZZNS1_29radix_sort_onesweep_iterationIS3_Lb0ENS6_6detail15normal_iteratorINS6_10device_ptrIjEEEESG_NSD_INSE_IS9_EEEESI_jNS0_19identity_decomposerENS1_16block_id_wrapperIjLb1EEEEE10hipError_tT1_PNSt15iterator_traitsISN_E10value_typeET2_T3_PNSO_IST_E10value_typeET4_T5_PSY_SZ_PNS1_23onesweep_lookback_stateEbbT6_jjT7_P12ihipStream_tbENKUlT_T0_SN_SS_E_clIPjSG_PS9_SI_EEDaS16_S17_SN_SS_EUlS16_E_NS1_11comp_targetILNS1_3genE6ELNS1_11target_archE950ELNS1_3gpuE13ELNS1_3repE0EEENS1_47radix_sort_onesweep_sort_config_static_selectorELNS0_4arch9wavefront6targetE0EEEvSN_.uses_vcc, 0
	.set _ZN7rocprim17ROCPRIM_400000_NS6detail17trampoline_kernelINS0_14default_configENS1_35radix_sort_onesweep_config_selectorIjN6thrust23THRUST_200600_302600_NS5tupleIffNS6_9null_typeES8_S8_S8_S8_S8_S8_S8_EEEEZZNS1_29radix_sort_onesweep_iterationIS3_Lb0ENS6_6detail15normal_iteratorINS6_10device_ptrIjEEEESG_NSD_INSE_IS9_EEEESI_jNS0_19identity_decomposerENS1_16block_id_wrapperIjLb1EEEEE10hipError_tT1_PNSt15iterator_traitsISN_E10value_typeET2_T3_PNSO_IST_E10value_typeET4_T5_PSY_SZ_PNS1_23onesweep_lookback_stateEbbT6_jjT7_P12ihipStream_tbENKUlT_T0_SN_SS_E_clIPjSG_PS9_SI_EEDaS16_S17_SN_SS_EUlS16_E_NS1_11comp_targetILNS1_3genE6ELNS1_11target_archE950ELNS1_3gpuE13ELNS1_3repE0EEENS1_47radix_sort_onesweep_sort_config_static_selectorELNS0_4arch9wavefront6targetE0EEEvSN_.uses_flat_scratch, 0
	.set _ZN7rocprim17ROCPRIM_400000_NS6detail17trampoline_kernelINS0_14default_configENS1_35radix_sort_onesweep_config_selectorIjN6thrust23THRUST_200600_302600_NS5tupleIffNS6_9null_typeES8_S8_S8_S8_S8_S8_S8_EEEEZZNS1_29radix_sort_onesweep_iterationIS3_Lb0ENS6_6detail15normal_iteratorINS6_10device_ptrIjEEEESG_NSD_INSE_IS9_EEEESI_jNS0_19identity_decomposerENS1_16block_id_wrapperIjLb1EEEEE10hipError_tT1_PNSt15iterator_traitsISN_E10value_typeET2_T3_PNSO_IST_E10value_typeET4_T5_PSY_SZ_PNS1_23onesweep_lookback_stateEbbT6_jjT7_P12ihipStream_tbENKUlT_T0_SN_SS_E_clIPjSG_PS9_SI_EEDaS16_S17_SN_SS_EUlS16_E_NS1_11comp_targetILNS1_3genE6ELNS1_11target_archE950ELNS1_3gpuE13ELNS1_3repE0EEENS1_47radix_sort_onesweep_sort_config_static_selectorELNS0_4arch9wavefront6targetE0EEEvSN_.has_dyn_sized_stack, 0
	.set _ZN7rocprim17ROCPRIM_400000_NS6detail17trampoline_kernelINS0_14default_configENS1_35radix_sort_onesweep_config_selectorIjN6thrust23THRUST_200600_302600_NS5tupleIffNS6_9null_typeES8_S8_S8_S8_S8_S8_S8_EEEEZZNS1_29radix_sort_onesweep_iterationIS3_Lb0ENS6_6detail15normal_iteratorINS6_10device_ptrIjEEEESG_NSD_INSE_IS9_EEEESI_jNS0_19identity_decomposerENS1_16block_id_wrapperIjLb1EEEEE10hipError_tT1_PNSt15iterator_traitsISN_E10value_typeET2_T3_PNSO_IST_E10value_typeET4_T5_PSY_SZ_PNS1_23onesweep_lookback_stateEbbT6_jjT7_P12ihipStream_tbENKUlT_T0_SN_SS_E_clIPjSG_PS9_SI_EEDaS16_S17_SN_SS_EUlS16_E_NS1_11comp_targetILNS1_3genE6ELNS1_11target_archE950ELNS1_3gpuE13ELNS1_3repE0EEENS1_47radix_sort_onesweep_sort_config_static_selectorELNS0_4arch9wavefront6targetE0EEEvSN_.has_recursion, 0
	.set _ZN7rocprim17ROCPRIM_400000_NS6detail17trampoline_kernelINS0_14default_configENS1_35radix_sort_onesweep_config_selectorIjN6thrust23THRUST_200600_302600_NS5tupleIffNS6_9null_typeES8_S8_S8_S8_S8_S8_S8_EEEEZZNS1_29radix_sort_onesweep_iterationIS3_Lb0ENS6_6detail15normal_iteratorINS6_10device_ptrIjEEEESG_NSD_INSE_IS9_EEEESI_jNS0_19identity_decomposerENS1_16block_id_wrapperIjLb1EEEEE10hipError_tT1_PNSt15iterator_traitsISN_E10value_typeET2_T3_PNSO_IST_E10value_typeET4_T5_PSY_SZ_PNS1_23onesweep_lookback_stateEbbT6_jjT7_P12ihipStream_tbENKUlT_T0_SN_SS_E_clIPjSG_PS9_SI_EEDaS16_S17_SN_SS_EUlS16_E_NS1_11comp_targetILNS1_3genE6ELNS1_11target_archE950ELNS1_3gpuE13ELNS1_3repE0EEENS1_47radix_sort_onesweep_sort_config_static_selectorELNS0_4arch9wavefront6targetE0EEEvSN_.has_indirect_call, 0
	.section	.AMDGPU.csdata,"",@progbits
; Kernel info:
; codeLenInByte = 0
; TotalNumSgprs: 0
; NumVgprs: 0
; ScratchSize: 0
; MemoryBound: 0
; FloatMode: 240
; IeeeMode: 1
; LDSByteSize: 0 bytes/workgroup (compile time only)
; SGPRBlocks: 0
; VGPRBlocks: 0
; NumSGPRsForWavesPerEU: 1
; NumVGPRsForWavesPerEU: 1
; NamedBarCnt: 0
; Occupancy: 16
; WaveLimiterHint : 0
; COMPUTE_PGM_RSRC2:SCRATCH_EN: 0
; COMPUTE_PGM_RSRC2:USER_SGPR: 2
; COMPUTE_PGM_RSRC2:TRAP_HANDLER: 0
; COMPUTE_PGM_RSRC2:TGID_X_EN: 1
; COMPUTE_PGM_RSRC2:TGID_Y_EN: 0
; COMPUTE_PGM_RSRC2:TGID_Z_EN: 0
; COMPUTE_PGM_RSRC2:TIDIG_COMP_CNT: 0
	.section	.text._ZN7rocprim17ROCPRIM_400000_NS6detail17trampoline_kernelINS0_14default_configENS1_35radix_sort_onesweep_config_selectorIjN6thrust23THRUST_200600_302600_NS5tupleIffNS6_9null_typeES8_S8_S8_S8_S8_S8_S8_EEEEZZNS1_29radix_sort_onesweep_iterationIS3_Lb0ENS6_6detail15normal_iteratorINS6_10device_ptrIjEEEESG_NSD_INSE_IS9_EEEESI_jNS0_19identity_decomposerENS1_16block_id_wrapperIjLb1EEEEE10hipError_tT1_PNSt15iterator_traitsISN_E10value_typeET2_T3_PNSO_IST_E10value_typeET4_T5_PSY_SZ_PNS1_23onesweep_lookback_stateEbbT6_jjT7_P12ihipStream_tbENKUlT_T0_SN_SS_E_clIPjSG_PS9_SI_EEDaS16_S17_SN_SS_EUlS16_E_NS1_11comp_targetILNS1_3genE5ELNS1_11target_archE942ELNS1_3gpuE9ELNS1_3repE0EEENS1_47radix_sort_onesweep_sort_config_static_selectorELNS0_4arch9wavefront6targetE0EEEvSN_,"axG",@progbits,_ZN7rocprim17ROCPRIM_400000_NS6detail17trampoline_kernelINS0_14default_configENS1_35radix_sort_onesweep_config_selectorIjN6thrust23THRUST_200600_302600_NS5tupleIffNS6_9null_typeES8_S8_S8_S8_S8_S8_S8_EEEEZZNS1_29radix_sort_onesweep_iterationIS3_Lb0ENS6_6detail15normal_iteratorINS6_10device_ptrIjEEEESG_NSD_INSE_IS9_EEEESI_jNS0_19identity_decomposerENS1_16block_id_wrapperIjLb1EEEEE10hipError_tT1_PNSt15iterator_traitsISN_E10value_typeET2_T3_PNSO_IST_E10value_typeET4_T5_PSY_SZ_PNS1_23onesweep_lookback_stateEbbT6_jjT7_P12ihipStream_tbENKUlT_T0_SN_SS_E_clIPjSG_PS9_SI_EEDaS16_S17_SN_SS_EUlS16_E_NS1_11comp_targetILNS1_3genE5ELNS1_11target_archE942ELNS1_3gpuE9ELNS1_3repE0EEENS1_47radix_sort_onesweep_sort_config_static_selectorELNS0_4arch9wavefront6targetE0EEEvSN_,comdat
	.protected	_ZN7rocprim17ROCPRIM_400000_NS6detail17trampoline_kernelINS0_14default_configENS1_35radix_sort_onesweep_config_selectorIjN6thrust23THRUST_200600_302600_NS5tupleIffNS6_9null_typeES8_S8_S8_S8_S8_S8_S8_EEEEZZNS1_29radix_sort_onesweep_iterationIS3_Lb0ENS6_6detail15normal_iteratorINS6_10device_ptrIjEEEESG_NSD_INSE_IS9_EEEESI_jNS0_19identity_decomposerENS1_16block_id_wrapperIjLb1EEEEE10hipError_tT1_PNSt15iterator_traitsISN_E10value_typeET2_T3_PNSO_IST_E10value_typeET4_T5_PSY_SZ_PNS1_23onesweep_lookback_stateEbbT6_jjT7_P12ihipStream_tbENKUlT_T0_SN_SS_E_clIPjSG_PS9_SI_EEDaS16_S17_SN_SS_EUlS16_E_NS1_11comp_targetILNS1_3genE5ELNS1_11target_archE942ELNS1_3gpuE9ELNS1_3repE0EEENS1_47radix_sort_onesweep_sort_config_static_selectorELNS0_4arch9wavefront6targetE0EEEvSN_ ; -- Begin function _ZN7rocprim17ROCPRIM_400000_NS6detail17trampoline_kernelINS0_14default_configENS1_35radix_sort_onesweep_config_selectorIjN6thrust23THRUST_200600_302600_NS5tupleIffNS6_9null_typeES8_S8_S8_S8_S8_S8_S8_EEEEZZNS1_29radix_sort_onesweep_iterationIS3_Lb0ENS6_6detail15normal_iteratorINS6_10device_ptrIjEEEESG_NSD_INSE_IS9_EEEESI_jNS0_19identity_decomposerENS1_16block_id_wrapperIjLb1EEEEE10hipError_tT1_PNSt15iterator_traitsISN_E10value_typeET2_T3_PNSO_IST_E10value_typeET4_T5_PSY_SZ_PNS1_23onesweep_lookback_stateEbbT6_jjT7_P12ihipStream_tbENKUlT_T0_SN_SS_E_clIPjSG_PS9_SI_EEDaS16_S17_SN_SS_EUlS16_E_NS1_11comp_targetILNS1_3genE5ELNS1_11target_archE942ELNS1_3gpuE9ELNS1_3repE0EEENS1_47radix_sort_onesweep_sort_config_static_selectorELNS0_4arch9wavefront6targetE0EEEvSN_
	.globl	_ZN7rocprim17ROCPRIM_400000_NS6detail17trampoline_kernelINS0_14default_configENS1_35radix_sort_onesweep_config_selectorIjN6thrust23THRUST_200600_302600_NS5tupleIffNS6_9null_typeES8_S8_S8_S8_S8_S8_S8_EEEEZZNS1_29radix_sort_onesweep_iterationIS3_Lb0ENS6_6detail15normal_iteratorINS6_10device_ptrIjEEEESG_NSD_INSE_IS9_EEEESI_jNS0_19identity_decomposerENS1_16block_id_wrapperIjLb1EEEEE10hipError_tT1_PNSt15iterator_traitsISN_E10value_typeET2_T3_PNSO_IST_E10value_typeET4_T5_PSY_SZ_PNS1_23onesweep_lookback_stateEbbT6_jjT7_P12ihipStream_tbENKUlT_T0_SN_SS_E_clIPjSG_PS9_SI_EEDaS16_S17_SN_SS_EUlS16_E_NS1_11comp_targetILNS1_3genE5ELNS1_11target_archE942ELNS1_3gpuE9ELNS1_3repE0EEENS1_47radix_sort_onesweep_sort_config_static_selectorELNS0_4arch9wavefront6targetE0EEEvSN_
	.p2align	8
	.type	_ZN7rocprim17ROCPRIM_400000_NS6detail17trampoline_kernelINS0_14default_configENS1_35radix_sort_onesweep_config_selectorIjN6thrust23THRUST_200600_302600_NS5tupleIffNS6_9null_typeES8_S8_S8_S8_S8_S8_S8_EEEEZZNS1_29radix_sort_onesweep_iterationIS3_Lb0ENS6_6detail15normal_iteratorINS6_10device_ptrIjEEEESG_NSD_INSE_IS9_EEEESI_jNS0_19identity_decomposerENS1_16block_id_wrapperIjLb1EEEEE10hipError_tT1_PNSt15iterator_traitsISN_E10value_typeET2_T3_PNSO_IST_E10value_typeET4_T5_PSY_SZ_PNS1_23onesweep_lookback_stateEbbT6_jjT7_P12ihipStream_tbENKUlT_T0_SN_SS_E_clIPjSG_PS9_SI_EEDaS16_S17_SN_SS_EUlS16_E_NS1_11comp_targetILNS1_3genE5ELNS1_11target_archE942ELNS1_3gpuE9ELNS1_3repE0EEENS1_47radix_sort_onesweep_sort_config_static_selectorELNS0_4arch9wavefront6targetE0EEEvSN_,@function
_ZN7rocprim17ROCPRIM_400000_NS6detail17trampoline_kernelINS0_14default_configENS1_35radix_sort_onesweep_config_selectorIjN6thrust23THRUST_200600_302600_NS5tupleIffNS6_9null_typeES8_S8_S8_S8_S8_S8_S8_EEEEZZNS1_29radix_sort_onesweep_iterationIS3_Lb0ENS6_6detail15normal_iteratorINS6_10device_ptrIjEEEESG_NSD_INSE_IS9_EEEESI_jNS0_19identity_decomposerENS1_16block_id_wrapperIjLb1EEEEE10hipError_tT1_PNSt15iterator_traitsISN_E10value_typeET2_T3_PNSO_IST_E10value_typeET4_T5_PSY_SZ_PNS1_23onesweep_lookback_stateEbbT6_jjT7_P12ihipStream_tbENKUlT_T0_SN_SS_E_clIPjSG_PS9_SI_EEDaS16_S17_SN_SS_EUlS16_E_NS1_11comp_targetILNS1_3genE5ELNS1_11target_archE942ELNS1_3gpuE9ELNS1_3repE0EEENS1_47radix_sort_onesweep_sort_config_static_selectorELNS0_4arch9wavefront6targetE0EEEvSN_: ; @_ZN7rocprim17ROCPRIM_400000_NS6detail17trampoline_kernelINS0_14default_configENS1_35radix_sort_onesweep_config_selectorIjN6thrust23THRUST_200600_302600_NS5tupleIffNS6_9null_typeES8_S8_S8_S8_S8_S8_S8_EEEEZZNS1_29radix_sort_onesweep_iterationIS3_Lb0ENS6_6detail15normal_iteratorINS6_10device_ptrIjEEEESG_NSD_INSE_IS9_EEEESI_jNS0_19identity_decomposerENS1_16block_id_wrapperIjLb1EEEEE10hipError_tT1_PNSt15iterator_traitsISN_E10value_typeET2_T3_PNSO_IST_E10value_typeET4_T5_PSY_SZ_PNS1_23onesweep_lookback_stateEbbT6_jjT7_P12ihipStream_tbENKUlT_T0_SN_SS_E_clIPjSG_PS9_SI_EEDaS16_S17_SN_SS_EUlS16_E_NS1_11comp_targetILNS1_3genE5ELNS1_11target_archE942ELNS1_3gpuE9ELNS1_3repE0EEENS1_47radix_sort_onesweep_sort_config_static_selectorELNS0_4arch9wavefront6targetE0EEEvSN_
; %bb.0:
	.section	.rodata,"a",@progbits
	.p2align	6, 0x0
	.amdhsa_kernel _ZN7rocprim17ROCPRIM_400000_NS6detail17trampoline_kernelINS0_14default_configENS1_35radix_sort_onesweep_config_selectorIjN6thrust23THRUST_200600_302600_NS5tupleIffNS6_9null_typeES8_S8_S8_S8_S8_S8_S8_EEEEZZNS1_29radix_sort_onesweep_iterationIS3_Lb0ENS6_6detail15normal_iteratorINS6_10device_ptrIjEEEESG_NSD_INSE_IS9_EEEESI_jNS0_19identity_decomposerENS1_16block_id_wrapperIjLb1EEEEE10hipError_tT1_PNSt15iterator_traitsISN_E10value_typeET2_T3_PNSO_IST_E10value_typeET4_T5_PSY_SZ_PNS1_23onesweep_lookback_stateEbbT6_jjT7_P12ihipStream_tbENKUlT_T0_SN_SS_E_clIPjSG_PS9_SI_EEDaS16_S17_SN_SS_EUlS16_E_NS1_11comp_targetILNS1_3genE5ELNS1_11target_archE942ELNS1_3gpuE9ELNS1_3repE0EEENS1_47radix_sort_onesweep_sort_config_static_selectorELNS0_4arch9wavefront6targetE0EEEvSN_
		.amdhsa_group_segment_fixed_size 0
		.amdhsa_private_segment_fixed_size 0
		.amdhsa_kernarg_size 88
		.amdhsa_user_sgpr_count 2
		.amdhsa_user_sgpr_dispatch_ptr 0
		.amdhsa_user_sgpr_queue_ptr 0
		.amdhsa_user_sgpr_kernarg_segment_ptr 1
		.amdhsa_user_sgpr_dispatch_id 0
		.amdhsa_user_sgpr_kernarg_preload_length 0
		.amdhsa_user_sgpr_kernarg_preload_offset 0
		.amdhsa_user_sgpr_private_segment_size 0
		.amdhsa_wavefront_size32 1
		.amdhsa_uses_dynamic_stack 0
		.amdhsa_enable_private_segment 0
		.amdhsa_system_sgpr_workgroup_id_x 1
		.amdhsa_system_sgpr_workgroup_id_y 0
		.amdhsa_system_sgpr_workgroup_id_z 0
		.amdhsa_system_sgpr_workgroup_info 0
		.amdhsa_system_vgpr_workitem_id 0
		.amdhsa_next_free_vgpr 1
		.amdhsa_next_free_sgpr 1
		.amdhsa_named_barrier_count 0
		.amdhsa_reserve_vcc 0
		.amdhsa_float_round_mode_32 0
		.amdhsa_float_round_mode_16_64 0
		.amdhsa_float_denorm_mode_32 3
		.amdhsa_float_denorm_mode_16_64 3
		.amdhsa_fp16_overflow 0
		.amdhsa_memory_ordered 1
		.amdhsa_forward_progress 1
		.amdhsa_inst_pref_size 0
		.amdhsa_round_robin_scheduling 0
		.amdhsa_exception_fp_ieee_invalid_op 0
		.amdhsa_exception_fp_denorm_src 0
		.amdhsa_exception_fp_ieee_div_zero 0
		.amdhsa_exception_fp_ieee_overflow 0
		.amdhsa_exception_fp_ieee_underflow 0
		.amdhsa_exception_fp_ieee_inexact 0
		.amdhsa_exception_int_div_zero 0
	.end_amdhsa_kernel
	.section	.text._ZN7rocprim17ROCPRIM_400000_NS6detail17trampoline_kernelINS0_14default_configENS1_35radix_sort_onesweep_config_selectorIjN6thrust23THRUST_200600_302600_NS5tupleIffNS6_9null_typeES8_S8_S8_S8_S8_S8_S8_EEEEZZNS1_29radix_sort_onesweep_iterationIS3_Lb0ENS6_6detail15normal_iteratorINS6_10device_ptrIjEEEESG_NSD_INSE_IS9_EEEESI_jNS0_19identity_decomposerENS1_16block_id_wrapperIjLb1EEEEE10hipError_tT1_PNSt15iterator_traitsISN_E10value_typeET2_T3_PNSO_IST_E10value_typeET4_T5_PSY_SZ_PNS1_23onesweep_lookback_stateEbbT6_jjT7_P12ihipStream_tbENKUlT_T0_SN_SS_E_clIPjSG_PS9_SI_EEDaS16_S17_SN_SS_EUlS16_E_NS1_11comp_targetILNS1_3genE5ELNS1_11target_archE942ELNS1_3gpuE9ELNS1_3repE0EEENS1_47radix_sort_onesweep_sort_config_static_selectorELNS0_4arch9wavefront6targetE0EEEvSN_,"axG",@progbits,_ZN7rocprim17ROCPRIM_400000_NS6detail17trampoline_kernelINS0_14default_configENS1_35radix_sort_onesweep_config_selectorIjN6thrust23THRUST_200600_302600_NS5tupleIffNS6_9null_typeES8_S8_S8_S8_S8_S8_S8_EEEEZZNS1_29radix_sort_onesweep_iterationIS3_Lb0ENS6_6detail15normal_iteratorINS6_10device_ptrIjEEEESG_NSD_INSE_IS9_EEEESI_jNS0_19identity_decomposerENS1_16block_id_wrapperIjLb1EEEEE10hipError_tT1_PNSt15iterator_traitsISN_E10value_typeET2_T3_PNSO_IST_E10value_typeET4_T5_PSY_SZ_PNS1_23onesweep_lookback_stateEbbT6_jjT7_P12ihipStream_tbENKUlT_T0_SN_SS_E_clIPjSG_PS9_SI_EEDaS16_S17_SN_SS_EUlS16_E_NS1_11comp_targetILNS1_3genE5ELNS1_11target_archE942ELNS1_3gpuE9ELNS1_3repE0EEENS1_47radix_sort_onesweep_sort_config_static_selectorELNS0_4arch9wavefront6targetE0EEEvSN_,comdat
.Lfunc_end195:
	.size	_ZN7rocprim17ROCPRIM_400000_NS6detail17trampoline_kernelINS0_14default_configENS1_35radix_sort_onesweep_config_selectorIjN6thrust23THRUST_200600_302600_NS5tupleIffNS6_9null_typeES8_S8_S8_S8_S8_S8_S8_EEEEZZNS1_29radix_sort_onesweep_iterationIS3_Lb0ENS6_6detail15normal_iteratorINS6_10device_ptrIjEEEESG_NSD_INSE_IS9_EEEESI_jNS0_19identity_decomposerENS1_16block_id_wrapperIjLb1EEEEE10hipError_tT1_PNSt15iterator_traitsISN_E10value_typeET2_T3_PNSO_IST_E10value_typeET4_T5_PSY_SZ_PNS1_23onesweep_lookback_stateEbbT6_jjT7_P12ihipStream_tbENKUlT_T0_SN_SS_E_clIPjSG_PS9_SI_EEDaS16_S17_SN_SS_EUlS16_E_NS1_11comp_targetILNS1_3genE5ELNS1_11target_archE942ELNS1_3gpuE9ELNS1_3repE0EEENS1_47radix_sort_onesweep_sort_config_static_selectorELNS0_4arch9wavefront6targetE0EEEvSN_, .Lfunc_end195-_ZN7rocprim17ROCPRIM_400000_NS6detail17trampoline_kernelINS0_14default_configENS1_35radix_sort_onesweep_config_selectorIjN6thrust23THRUST_200600_302600_NS5tupleIffNS6_9null_typeES8_S8_S8_S8_S8_S8_S8_EEEEZZNS1_29radix_sort_onesweep_iterationIS3_Lb0ENS6_6detail15normal_iteratorINS6_10device_ptrIjEEEESG_NSD_INSE_IS9_EEEESI_jNS0_19identity_decomposerENS1_16block_id_wrapperIjLb1EEEEE10hipError_tT1_PNSt15iterator_traitsISN_E10value_typeET2_T3_PNSO_IST_E10value_typeET4_T5_PSY_SZ_PNS1_23onesweep_lookback_stateEbbT6_jjT7_P12ihipStream_tbENKUlT_T0_SN_SS_E_clIPjSG_PS9_SI_EEDaS16_S17_SN_SS_EUlS16_E_NS1_11comp_targetILNS1_3genE5ELNS1_11target_archE942ELNS1_3gpuE9ELNS1_3repE0EEENS1_47radix_sort_onesweep_sort_config_static_selectorELNS0_4arch9wavefront6targetE0EEEvSN_
                                        ; -- End function
	.set _ZN7rocprim17ROCPRIM_400000_NS6detail17trampoline_kernelINS0_14default_configENS1_35radix_sort_onesweep_config_selectorIjN6thrust23THRUST_200600_302600_NS5tupleIffNS6_9null_typeES8_S8_S8_S8_S8_S8_S8_EEEEZZNS1_29radix_sort_onesweep_iterationIS3_Lb0ENS6_6detail15normal_iteratorINS6_10device_ptrIjEEEESG_NSD_INSE_IS9_EEEESI_jNS0_19identity_decomposerENS1_16block_id_wrapperIjLb1EEEEE10hipError_tT1_PNSt15iterator_traitsISN_E10value_typeET2_T3_PNSO_IST_E10value_typeET4_T5_PSY_SZ_PNS1_23onesweep_lookback_stateEbbT6_jjT7_P12ihipStream_tbENKUlT_T0_SN_SS_E_clIPjSG_PS9_SI_EEDaS16_S17_SN_SS_EUlS16_E_NS1_11comp_targetILNS1_3genE5ELNS1_11target_archE942ELNS1_3gpuE9ELNS1_3repE0EEENS1_47radix_sort_onesweep_sort_config_static_selectorELNS0_4arch9wavefront6targetE0EEEvSN_.num_vgpr, 0
	.set _ZN7rocprim17ROCPRIM_400000_NS6detail17trampoline_kernelINS0_14default_configENS1_35radix_sort_onesweep_config_selectorIjN6thrust23THRUST_200600_302600_NS5tupleIffNS6_9null_typeES8_S8_S8_S8_S8_S8_S8_EEEEZZNS1_29radix_sort_onesweep_iterationIS3_Lb0ENS6_6detail15normal_iteratorINS6_10device_ptrIjEEEESG_NSD_INSE_IS9_EEEESI_jNS0_19identity_decomposerENS1_16block_id_wrapperIjLb1EEEEE10hipError_tT1_PNSt15iterator_traitsISN_E10value_typeET2_T3_PNSO_IST_E10value_typeET4_T5_PSY_SZ_PNS1_23onesweep_lookback_stateEbbT6_jjT7_P12ihipStream_tbENKUlT_T0_SN_SS_E_clIPjSG_PS9_SI_EEDaS16_S17_SN_SS_EUlS16_E_NS1_11comp_targetILNS1_3genE5ELNS1_11target_archE942ELNS1_3gpuE9ELNS1_3repE0EEENS1_47radix_sort_onesweep_sort_config_static_selectorELNS0_4arch9wavefront6targetE0EEEvSN_.num_agpr, 0
	.set _ZN7rocprim17ROCPRIM_400000_NS6detail17trampoline_kernelINS0_14default_configENS1_35radix_sort_onesweep_config_selectorIjN6thrust23THRUST_200600_302600_NS5tupleIffNS6_9null_typeES8_S8_S8_S8_S8_S8_S8_EEEEZZNS1_29radix_sort_onesweep_iterationIS3_Lb0ENS6_6detail15normal_iteratorINS6_10device_ptrIjEEEESG_NSD_INSE_IS9_EEEESI_jNS0_19identity_decomposerENS1_16block_id_wrapperIjLb1EEEEE10hipError_tT1_PNSt15iterator_traitsISN_E10value_typeET2_T3_PNSO_IST_E10value_typeET4_T5_PSY_SZ_PNS1_23onesweep_lookback_stateEbbT6_jjT7_P12ihipStream_tbENKUlT_T0_SN_SS_E_clIPjSG_PS9_SI_EEDaS16_S17_SN_SS_EUlS16_E_NS1_11comp_targetILNS1_3genE5ELNS1_11target_archE942ELNS1_3gpuE9ELNS1_3repE0EEENS1_47radix_sort_onesweep_sort_config_static_selectorELNS0_4arch9wavefront6targetE0EEEvSN_.numbered_sgpr, 0
	.set _ZN7rocprim17ROCPRIM_400000_NS6detail17trampoline_kernelINS0_14default_configENS1_35radix_sort_onesweep_config_selectorIjN6thrust23THRUST_200600_302600_NS5tupleIffNS6_9null_typeES8_S8_S8_S8_S8_S8_S8_EEEEZZNS1_29radix_sort_onesweep_iterationIS3_Lb0ENS6_6detail15normal_iteratorINS6_10device_ptrIjEEEESG_NSD_INSE_IS9_EEEESI_jNS0_19identity_decomposerENS1_16block_id_wrapperIjLb1EEEEE10hipError_tT1_PNSt15iterator_traitsISN_E10value_typeET2_T3_PNSO_IST_E10value_typeET4_T5_PSY_SZ_PNS1_23onesweep_lookback_stateEbbT6_jjT7_P12ihipStream_tbENKUlT_T0_SN_SS_E_clIPjSG_PS9_SI_EEDaS16_S17_SN_SS_EUlS16_E_NS1_11comp_targetILNS1_3genE5ELNS1_11target_archE942ELNS1_3gpuE9ELNS1_3repE0EEENS1_47radix_sort_onesweep_sort_config_static_selectorELNS0_4arch9wavefront6targetE0EEEvSN_.num_named_barrier, 0
	.set _ZN7rocprim17ROCPRIM_400000_NS6detail17trampoline_kernelINS0_14default_configENS1_35radix_sort_onesweep_config_selectorIjN6thrust23THRUST_200600_302600_NS5tupleIffNS6_9null_typeES8_S8_S8_S8_S8_S8_S8_EEEEZZNS1_29radix_sort_onesweep_iterationIS3_Lb0ENS6_6detail15normal_iteratorINS6_10device_ptrIjEEEESG_NSD_INSE_IS9_EEEESI_jNS0_19identity_decomposerENS1_16block_id_wrapperIjLb1EEEEE10hipError_tT1_PNSt15iterator_traitsISN_E10value_typeET2_T3_PNSO_IST_E10value_typeET4_T5_PSY_SZ_PNS1_23onesweep_lookback_stateEbbT6_jjT7_P12ihipStream_tbENKUlT_T0_SN_SS_E_clIPjSG_PS9_SI_EEDaS16_S17_SN_SS_EUlS16_E_NS1_11comp_targetILNS1_3genE5ELNS1_11target_archE942ELNS1_3gpuE9ELNS1_3repE0EEENS1_47radix_sort_onesweep_sort_config_static_selectorELNS0_4arch9wavefront6targetE0EEEvSN_.private_seg_size, 0
	.set _ZN7rocprim17ROCPRIM_400000_NS6detail17trampoline_kernelINS0_14default_configENS1_35radix_sort_onesweep_config_selectorIjN6thrust23THRUST_200600_302600_NS5tupleIffNS6_9null_typeES8_S8_S8_S8_S8_S8_S8_EEEEZZNS1_29radix_sort_onesweep_iterationIS3_Lb0ENS6_6detail15normal_iteratorINS6_10device_ptrIjEEEESG_NSD_INSE_IS9_EEEESI_jNS0_19identity_decomposerENS1_16block_id_wrapperIjLb1EEEEE10hipError_tT1_PNSt15iterator_traitsISN_E10value_typeET2_T3_PNSO_IST_E10value_typeET4_T5_PSY_SZ_PNS1_23onesweep_lookback_stateEbbT6_jjT7_P12ihipStream_tbENKUlT_T0_SN_SS_E_clIPjSG_PS9_SI_EEDaS16_S17_SN_SS_EUlS16_E_NS1_11comp_targetILNS1_3genE5ELNS1_11target_archE942ELNS1_3gpuE9ELNS1_3repE0EEENS1_47radix_sort_onesweep_sort_config_static_selectorELNS0_4arch9wavefront6targetE0EEEvSN_.uses_vcc, 0
	.set _ZN7rocprim17ROCPRIM_400000_NS6detail17trampoline_kernelINS0_14default_configENS1_35radix_sort_onesweep_config_selectorIjN6thrust23THRUST_200600_302600_NS5tupleIffNS6_9null_typeES8_S8_S8_S8_S8_S8_S8_EEEEZZNS1_29radix_sort_onesweep_iterationIS3_Lb0ENS6_6detail15normal_iteratorINS6_10device_ptrIjEEEESG_NSD_INSE_IS9_EEEESI_jNS0_19identity_decomposerENS1_16block_id_wrapperIjLb1EEEEE10hipError_tT1_PNSt15iterator_traitsISN_E10value_typeET2_T3_PNSO_IST_E10value_typeET4_T5_PSY_SZ_PNS1_23onesweep_lookback_stateEbbT6_jjT7_P12ihipStream_tbENKUlT_T0_SN_SS_E_clIPjSG_PS9_SI_EEDaS16_S17_SN_SS_EUlS16_E_NS1_11comp_targetILNS1_3genE5ELNS1_11target_archE942ELNS1_3gpuE9ELNS1_3repE0EEENS1_47radix_sort_onesweep_sort_config_static_selectorELNS0_4arch9wavefront6targetE0EEEvSN_.uses_flat_scratch, 0
	.set _ZN7rocprim17ROCPRIM_400000_NS6detail17trampoline_kernelINS0_14default_configENS1_35radix_sort_onesweep_config_selectorIjN6thrust23THRUST_200600_302600_NS5tupleIffNS6_9null_typeES8_S8_S8_S8_S8_S8_S8_EEEEZZNS1_29radix_sort_onesweep_iterationIS3_Lb0ENS6_6detail15normal_iteratorINS6_10device_ptrIjEEEESG_NSD_INSE_IS9_EEEESI_jNS0_19identity_decomposerENS1_16block_id_wrapperIjLb1EEEEE10hipError_tT1_PNSt15iterator_traitsISN_E10value_typeET2_T3_PNSO_IST_E10value_typeET4_T5_PSY_SZ_PNS1_23onesweep_lookback_stateEbbT6_jjT7_P12ihipStream_tbENKUlT_T0_SN_SS_E_clIPjSG_PS9_SI_EEDaS16_S17_SN_SS_EUlS16_E_NS1_11comp_targetILNS1_3genE5ELNS1_11target_archE942ELNS1_3gpuE9ELNS1_3repE0EEENS1_47radix_sort_onesweep_sort_config_static_selectorELNS0_4arch9wavefront6targetE0EEEvSN_.has_dyn_sized_stack, 0
	.set _ZN7rocprim17ROCPRIM_400000_NS6detail17trampoline_kernelINS0_14default_configENS1_35radix_sort_onesweep_config_selectorIjN6thrust23THRUST_200600_302600_NS5tupleIffNS6_9null_typeES8_S8_S8_S8_S8_S8_S8_EEEEZZNS1_29radix_sort_onesweep_iterationIS3_Lb0ENS6_6detail15normal_iteratorINS6_10device_ptrIjEEEESG_NSD_INSE_IS9_EEEESI_jNS0_19identity_decomposerENS1_16block_id_wrapperIjLb1EEEEE10hipError_tT1_PNSt15iterator_traitsISN_E10value_typeET2_T3_PNSO_IST_E10value_typeET4_T5_PSY_SZ_PNS1_23onesweep_lookback_stateEbbT6_jjT7_P12ihipStream_tbENKUlT_T0_SN_SS_E_clIPjSG_PS9_SI_EEDaS16_S17_SN_SS_EUlS16_E_NS1_11comp_targetILNS1_3genE5ELNS1_11target_archE942ELNS1_3gpuE9ELNS1_3repE0EEENS1_47radix_sort_onesweep_sort_config_static_selectorELNS0_4arch9wavefront6targetE0EEEvSN_.has_recursion, 0
	.set _ZN7rocprim17ROCPRIM_400000_NS6detail17trampoline_kernelINS0_14default_configENS1_35radix_sort_onesweep_config_selectorIjN6thrust23THRUST_200600_302600_NS5tupleIffNS6_9null_typeES8_S8_S8_S8_S8_S8_S8_EEEEZZNS1_29radix_sort_onesweep_iterationIS3_Lb0ENS6_6detail15normal_iteratorINS6_10device_ptrIjEEEESG_NSD_INSE_IS9_EEEESI_jNS0_19identity_decomposerENS1_16block_id_wrapperIjLb1EEEEE10hipError_tT1_PNSt15iterator_traitsISN_E10value_typeET2_T3_PNSO_IST_E10value_typeET4_T5_PSY_SZ_PNS1_23onesweep_lookback_stateEbbT6_jjT7_P12ihipStream_tbENKUlT_T0_SN_SS_E_clIPjSG_PS9_SI_EEDaS16_S17_SN_SS_EUlS16_E_NS1_11comp_targetILNS1_3genE5ELNS1_11target_archE942ELNS1_3gpuE9ELNS1_3repE0EEENS1_47radix_sort_onesweep_sort_config_static_selectorELNS0_4arch9wavefront6targetE0EEEvSN_.has_indirect_call, 0
	.section	.AMDGPU.csdata,"",@progbits
; Kernel info:
; codeLenInByte = 0
; TotalNumSgprs: 0
; NumVgprs: 0
; ScratchSize: 0
; MemoryBound: 0
; FloatMode: 240
; IeeeMode: 1
; LDSByteSize: 0 bytes/workgroup (compile time only)
; SGPRBlocks: 0
; VGPRBlocks: 0
; NumSGPRsForWavesPerEU: 1
; NumVGPRsForWavesPerEU: 1
; NamedBarCnt: 0
; Occupancy: 16
; WaveLimiterHint : 0
; COMPUTE_PGM_RSRC2:SCRATCH_EN: 0
; COMPUTE_PGM_RSRC2:USER_SGPR: 2
; COMPUTE_PGM_RSRC2:TRAP_HANDLER: 0
; COMPUTE_PGM_RSRC2:TGID_X_EN: 1
; COMPUTE_PGM_RSRC2:TGID_Y_EN: 0
; COMPUTE_PGM_RSRC2:TGID_Z_EN: 0
; COMPUTE_PGM_RSRC2:TIDIG_COMP_CNT: 0
	.section	.text._ZN7rocprim17ROCPRIM_400000_NS6detail17trampoline_kernelINS0_14default_configENS1_35radix_sort_onesweep_config_selectorIjN6thrust23THRUST_200600_302600_NS5tupleIffNS6_9null_typeES8_S8_S8_S8_S8_S8_S8_EEEEZZNS1_29radix_sort_onesweep_iterationIS3_Lb0ENS6_6detail15normal_iteratorINS6_10device_ptrIjEEEESG_NSD_INSE_IS9_EEEESI_jNS0_19identity_decomposerENS1_16block_id_wrapperIjLb1EEEEE10hipError_tT1_PNSt15iterator_traitsISN_E10value_typeET2_T3_PNSO_IST_E10value_typeET4_T5_PSY_SZ_PNS1_23onesweep_lookback_stateEbbT6_jjT7_P12ihipStream_tbENKUlT_T0_SN_SS_E_clIPjSG_PS9_SI_EEDaS16_S17_SN_SS_EUlS16_E_NS1_11comp_targetILNS1_3genE2ELNS1_11target_archE906ELNS1_3gpuE6ELNS1_3repE0EEENS1_47radix_sort_onesweep_sort_config_static_selectorELNS0_4arch9wavefront6targetE0EEEvSN_,"axG",@progbits,_ZN7rocprim17ROCPRIM_400000_NS6detail17trampoline_kernelINS0_14default_configENS1_35radix_sort_onesweep_config_selectorIjN6thrust23THRUST_200600_302600_NS5tupleIffNS6_9null_typeES8_S8_S8_S8_S8_S8_S8_EEEEZZNS1_29radix_sort_onesweep_iterationIS3_Lb0ENS6_6detail15normal_iteratorINS6_10device_ptrIjEEEESG_NSD_INSE_IS9_EEEESI_jNS0_19identity_decomposerENS1_16block_id_wrapperIjLb1EEEEE10hipError_tT1_PNSt15iterator_traitsISN_E10value_typeET2_T3_PNSO_IST_E10value_typeET4_T5_PSY_SZ_PNS1_23onesweep_lookback_stateEbbT6_jjT7_P12ihipStream_tbENKUlT_T0_SN_SS_E_clIPjSG_PS9_SI_EEDaS16_S17_SN_SS_EUlS16_E_NS1_11comp_targetILNS1_3genE2ELNS1_11target_archE906ELNS1_3gpuE6ELNS1_3repE0EEENS1_47radix_sort_onesweep_sort_config_static_selectorELNS0_4arch9wavefront6targetE0EEEvSN_,comdat
	.protected	_ZN7rocprim17ROCPRIM_400000_NS6detail17trampoline_kernelINS0_14default_configENS1_35radix_sort_onesweep_config_selectorIjN6thrust23THRUST_200600_302600_NS5tupleIffNS6_9null_typeES8_S8_S8_S8_S8_S8_S8_EEEEZZNS1_29radix_sort_onesweep_iterationIS3_Lb0ENS6_6detail15normal_iteratorINS6_10device_ptrIjEEEESG_NSD_INSE_IS9_EEEESI_jNS0_19identity_decomposerENS1_16block_id_wrapperIjLb1EEEEE10hipError_tT1_PNSt15iterator_traitsISN_E10value_typeET2_T3_PNSO_IST_E10value_typeET4_T5_PSY_SZ_PNS1_23onesweep_lookback_stateEbbT6_jjT7_P12ihipStream_tbENKUlT_T0_SN_SS_E_clIPjSG_PS9_SI_EEDaS16_S17_SN_SS_EUlS16_E_NS1_11comp_targetILNS1_3genE2ELNS1_11target_archE906ELNS1_3gpuE6ELNS1_3repE0EEENS1_47radix_sort_onesweep_sort_config_static_selectorELNS0_4arch9wavefront6targetE0EEEvSN_ ; -- Begin function _ZN7rocprim17ROCPRIM_400000_NS6detail17trampoline_kernelINS0_14default_configENS1_35radix_sort_onesweep_config_selectorIjN6thrust23THRUST_200600_302600_NS5tupleIffNS6_9null_typeES8_S8_S8_S8_S8_S8_S8_EEEEZZNS1_29radix_sort_onesweep_iterationIS3_Lb0ENS6_6detail15normal_iteratorINS6_10device_ptrIjEEEESG_NSD_INSE_IS9_EEEESI_jNS0_19identity_decomposerENS1_16block_id_wrapperIjLb1EEEEE10hipError_tT1_PNSt15iterator_traitsISN_E10value_typeET2_T3_PNSO_IST_E10value_typeET4_T5_PSY_SZ_PNS1_23onesweep_lookback_stateEbbT6_jjT7_P12ihipStream_tbENKUlT_T0_SN_SS_E_clIPjSG_PS9_SI_EEDaS16_S17_SN_SS_EUlS16_E_NS1_11comp_targetILNS1_3genE2ELNS1_11target_archE906ELNS1_3gpuE6ELNS1_3repE0EEENS1_47radix_sort_onesweep_sort_config_static_selectorELNS0_4arch9wavefront6targetE0EEEvSN_
	.globl	_ZN7rocprim17ROCPRIM_400000_NS6detail17trampoline_kernelINS0_14default_configENS1_35radix_sort_onesweep_config_selectorIjN6thrust23THRUST_200600_302600_NS5tupleIffNS6_9null_typeES8_S8_S8_S8_S8_S8_S8_EEEEZZNS1_29radix_sort_onesweep_iterationIS3_Lb0ENS6_6detail15normal_iteratorINS6_10device_ptrIjEEEESG_NSD_INSE_IS9_EEEESI_jNS0_19identity_decomposerENS1_16block_id_wrapperIjLb1EEEEE10hipError_tT1_PNSt15iterator_traitsISN_E10value_typeET2_T3_PNSO_IST_E10value_typeET4_T5_PSY_SZ_PNS1_23onesweep_lookback_stateEbbT6_jjT7_P12ihipStream_tbENKUlT_T0_SN_SS_E_clIPjSG_PS9_SI_EEDaS16_S17_SN_SS_EUlS16_E_NS1_11comp_targetILNS1_3genE2ELNS1_11target_archE906ELNS1_3gpuE6ELNS1_3repE0EEENS1_47radix_sort_onesweep_sort_config_static_selectorELNS0_4arch9wavefront6targetE0EEEvSN_
	.p2align	8
	.type	_ZN7rocprim17ROCPRIM_400000_NS6detail17trampoline_kernelINS0_14default_configENS1_35radix_sort_onesweep_config_selectorIjN6thrust23THRUST_200600_302600_NS5tupleIffNS6_9null_typeES8_S8_S8_S8_S8_S8_S8_EEEEZZNS1_29radix_sort_onesweep_iterationIS3_Lb0ENS6_6detail15normal_iteratorINS6_10device_ptrIjEEEESG_NSD_INSE_IS9_EEEESI_jNS0_19identity_decomposerENS1_16block_id_wrapperIjLb1EEEEE10hipError_tT1_PNSt15iterator_traitsISN_E10value_typeET2_T3_PNSO_IST_E10value_typeET4_T5_PSY_SZ_PNS1_23onesweep_lookback_stateEbbT6_jjT7_P12ihipStream_tbENKUlT_T0_SN_SS_E_clIPjSG_PS9_SI_EEDaS16_S17_SN_SS_EUlS16_E_NS1_11comp_targetILNS1_3genE2ELNS1_11target_archE906ELNS1_3gpuE6ELNS1_3repE0EEENS1_47radix_sort_onesweep_sort_config_static_selectorELNS0_4arch9wavefront6targetE0EEEvSN_,@function
_ZN7rocprim17ROCPRIM_400000_NS6detail17trampoline_kernelINS0_14default_configENS1_35radix_sort_onesweep_config_selectorIjN6thrust23THRUST_200600_302600_NS5tupleIffNS6_9null_typeES8_S8_S8_S8_S8_S8_S8_EEEEZZNS1_29radix_sort_onesweep_iterationIS3_Lb0ENS6_6detail15normal_iteratorINS6_10device_ptrIjEEEESG_NSD_INSE_IS9_EEEESI_jNS0_19identity_decomposerENS1_16block_id_wrapperIjLb1EEEEE10hipError_tT1_PNSt15iterator_traitsISN_E10value_typeET2_T3_PNSO_IST_E10value_typeET4_T5_PSY_SZ_PNS1_23onesweep_lookback_stateEbbT6_jjT7_P12ihipStream_tbENKUlT_T0_SN_SS_E_clIPjSG_PS9_SI_EEDaS16_S17_SN_SS_EUlS16_E_NS1_11comp_targetILNS1_3genE2ELNS1_11target_archE906ELNS1_3gpuE6ELNS1_3repE0EEENS1_47radix_sort_onesweep_sort_config_static_selectorELNS0_4arch9wavefront6targetE0EEEvSN_: ; @_ZN7rocprim17ROCPRIM_400000_NS6detail17trampoline_kernelINS0_14default_configENS1_35radix_sort_onesweep_config_selectorIjN6thrust23THRUST_200600_302600_NS5tupleIffNS6_9null_typeES8_S8_S8_S8_S8_S8_S8_EEEEZZNS1_29radix_sort_onesweep_iterationIS3_Lb0ENS6_6detail15normal_iteratorINS6_10device_ptrIjEEEESG_NSD_INSE_IS9_EEEESI_jNS0_19identity_decomposerENS1_16block_id_wrapperIjLb1EEEEE10hipError_tT1_PNSt15iterator_traitsISN_E10value_typeET2_T3_PNSO_IST_E10value_typeET4_T5_PSY_SZ_PNS1_23onesweep_lookback_stateEbbT6_jjT7_P12ihipStream_tbENKUlT_T0_SN_SS_E_clIPjSG_PS9_SI_EEDaS16_S17_SN_SS_EUlS16_E_NS1_11comp_targetILNS1_3genE2ELNS1_11target_archE906ELNS1_3gpuE6ELNS1_3repE0EEENS1_47radix_sort_onesweep_sort_config_static_selectorELNS0_4arch9wavefront6targetE0EEEvSN_
; %bb.0:
	.section	.rodata,"a",@progbits
	.p2align	6, 0x0
	.amdhsa_kernel _ZN7rocprim17ROCPRIM_400000_NS6detail17trampoline_kernelINS0_14default_configENS1_35radix_sort_onesweep_config_selectorIjN6thrust23THRUST_200600_302600_NS5tupleIffNS6_9null_typeES8_S8_S8_S8_S8_S8_S8_EEEEZZNS1_29radix_sort_onesweep_iterationIS3_Lb0ENS6_6detail15normal_iteratorINS6_10device_ptrIjEEEESG_NSD_INSE_IS9_EEEESI_jNS0_19identity_decomposerENS1_16block_id_wrapperIjLb1EEEEE10hipError_tT1_PNSt15iterator_traitsISN_E10value_typeET2_T3_PNSO_IST_E10value_typeET4_T5_PSY_SZ_PNS1_23onesweep_lookback_stateEbbT6_jjT7_P12ihipStream_tbENKUlT_T0_SN_SS_E_clIPjSG_PS9_SI_EEDaS16_S17_SN_SS_EUlS16_E_NS1_11comp_targetILNS1_3genE2ELNS1_11target_archE906ELNS1_3gpuE6ELNS1_3repE0EEENS1_47radix_sort_onesweep_sort_config_static_selectorELNS0_4arch9wavefront6targetE0EEEvSN_
		.amdhsa_group_segment_fixed_size 0
		.amdhsa_private_segment_fixed_size 0
		.amdhsa_kernarg_size 88
		.amdhsa_user_sgpr_count 2
		.amdhsa_user_sgpr_dispatch_ptr 0
		.amdhsa_user_sgpr_queue_ptr 0
		.amdhsa_user_sgpr_kernarg_segment_ptr 1
		.amdhsa_user_sgpr_dispatch_id 0
		.amdhsa_user_sgpr_kernarg_preload_length 0
		.amdhsa_user_sgpr_kernarg_preload_offset 0
		.amdhsa_user_sgpr_private_segment_size 0
		.amdhsa_wavefront_size32 1
		.amdhsa_uses_dynamic_stack 0
		.amdhsa_enable_private_segment 0
		.amdhsa_system_sgpr_workgroup_id_x 1
		.amdhsa_system_sgpr_workgroup_id_y 0
		.amdhsa_system_sgpr_workgroup_id_z 0
		.amdhsa_system_sgpr_workgroup_info 0
		.amdhsa_system_vgpr_workitem_id 0
		.amdhsa_next_free_vgpr 1
		.amdhsa_next_free_sgpr 1
		.amdhsa_named_barrier_count 0
		.amdhsa_reserve_vcc 0
		.amdhsa_float_round_mode_32 0
		.amdhsa_float_round_mode_16_64 0
		.amdhsa_float_denorm_mode_32 3
		.amdhsa_float_denorm_mode_16_64 3
		.amdhsa_fp16_overflow 0
		.amdhsa_memory_ordered 1
		.amdhsa_forward_progress 1
		.amdhsa_inst_pref_size 0
		.amdhsa_round_robin_scheduling 0
		.amdhsa_exception_fp_ieee_invalid_op 0
		.amdhsa_exception_fp_denorm_src 0
		.amdhsa_exception_fp_ieee_div_zero 0
		.amdhsa_exception_fp_ieee_overflow 0
		.amdhsa_exception_fp_ieee_underflow 0
		.amdhsa_exception_fp_ieee_inexact 0
		.amdhsa_exception_int_div_zero 0
	.end_amdhsa_kernel
	.section	.text._ZN7rocprim17ROCPRIM_400000_NS6detail17trampoline_kernelINS0_14default_configENS1_35radix_sort_onesweep_config_selectorIjN6thrust23THRUST_200600_302600_NS5tupleIffNS6_9null_typeES8_S8_S8_S8_S8_S8_S8_EEEEZZNS1_29radix_sort_onesweep_iterationIS3_Lb0ENS6_6detail15normal_iteratorINS6_10device_ptrIjEEEESG_NSD_INSE_IS9_EEEESI_jNS0_19identity_decomposerENS1_16block_id_wrapperIjLb1EEEEE10hipError_tT1_PNSt15iterator_traitsISN_E10value_typeET2_T3_PNSO_IST_E10value_typeET4_T5_PSY_SZ_PNS1_23onesweep_lookback_stateEbbT6_jjT7_P12ihipStream_tbENKUlT_T0_SN_SS_E_clIPjSG_PS9_SI_EEDaS16_S17_SN_SS_EUlS16_E_NS1_11comp_targetILNS1_3genE2ELNS1_11target_archE906ELNS1_3gpuE6ELNS1_3repE0EEENS1_47radix_sort_onesweep_sort_config_static_selectorELNS0_4arch9wavefront6targetE0EEEvSN_,"axG",@progbits,_ZN7rocprim17ROCPRIM_400000_NS6detail17trampoline_kernelINS0_14default_configENS1_35radix_sort_onesweep_config_selectorIjN6thrust23THRUST_200600_302600_NS5tupleIffNS6_9null_typeES8_S8_S8_S8_S8_S8_S8_EEEEZZNS1_29radix_sort_onesweep_iterationIS3_Lb0ENS6_6detail15normal_iteratorINS6_10device_ptrIjEEEESG_NSD_INSE_IS9_EEEESI_jNS0_19identity_decomposerENS1_16block_id_wrapperIjLb1EEEEE10hipError_tT1_PNSt15iterator_traitsISN_E10value_typeET2_T3_PNSO_IST_E10value_typeET4_T5_PSY_SZ_PNS1_23onesweep_lookback_stateEbbT6_jjT7_P12ihipStream_tbENKUlT_T0_SN_SS_E_clIPjSG_PS9_SI_EEDaS16_S17_SN_SS_EUlS16_E_NS1_11comp_targetILNS1_3genE2ELNS1_11target_archE906ELNS1_3gpuE6ELNS1_3repE0EEENS1_47radix_sort_onesweep_sort_config_static_selectorELNS0_4arch9wavefront6targetE0EEEvSN_,comdat
.Lfunc_end196:
	.size	_ZN7rocprim17ROCPRIM_400000_NS6detail17trampoline_kernelINS0_14default_configENS1_35radix_sort_onesweep_config_selectorIjN6thrust23THRUST_200600_302600_NS5tupleIffNS6_9null_typeES8_S8_S8_S8_S8_S8_S8_EEEEZZNS1_29radix_sort_onesweep_iterationIS3_Lb0ENS6_6detail15normal_iteratorINS6_10device_ptrIjEEEESG_NSD_INSE_IS9_EEEESI_jNS0_19identity_decomposerENS1_16block_id_wrapperIjLb1EEEEE10hipError_tT1_PNSt15iterator_traitsISN_E10value_typeET2_T3_PNSO_IST_E10value_typeET4_T5_PSY_SZ_PNS1_23onesweep_lookback_stateEbbT6_jjT7_P12ihipStream_tbENKUlT_T0_SN_SS_E_clIPjSG_PS9_SI_EEDaS16_S17_SN_SS_EUlS16_E_NS1_11comp_targetILNS1_3genE2ELNS1_11target_archE906ELNS1_3gpuE6ELNS1_3repE0EEENS1_47radix_sort_onesweep_sort_config_static_selectorELNS0_4arch9wavefront6targetE0EEEvSN_, .Lfunc_end196-_ZN7rocprim17ROCPRIM_400000_NS6detail17trampoline_kernelINS0_14default_configENS1_35radix_sort_onesweep_config_selectorIjN6thrust23THRUST_200600_302600_NS5tupleIffNS6_9null_typeES8_S8_S8_S8_S8_S8_S8_EEEEZZNS1_29radix_sort_onesweep_iterationIS3_Lb0ENS6_6detail15normal_iteratorINS6_10device_ptrIjEEEESG_NSD_INSE_IS9_EEEESI_jNS0_19identity_decomposerENS1_16block_id_wrapperIjLb1EEEEE10hipError_tT1_PNSt15iterator_traitsISN_E10value_typeET2_T3_PNSO_IST_E10value_typeET4_T5_PSY_SZ_PNS1_23onesweep_lookback_stateEbbT6_jjT7_P12ihipStream_tbENKUlT_T0_SN_SS_E_clIPjSG_PS9_SI_EEDaS16_S17_SN_SS_EUlS16_E_NS1_11comp_targetILNS1_3genE2ELNS1_11target_archE906ELNS1_3gpuE6ELNS1_3repE0EEENS1_47radix_sort_onesweep_sort_config_static_selectorELNS0_4arch9wavefront6targetE0EEEvSN_
                                        ; -- End function
	.set _ZN7rocprim17ROCPRIM_400000_NS6detail17trampoline_kernelINS0_14default_configENS1_35radix_sort_onesweep_config_selectorIjN6thrust23THRUST_200600_302600_NS5tupleIffNS6_9null_typeES8_S8_S8_S8_S8_S8_S8_EEEEZZNS1_29radix_sort_onesweep_iterationIS3_Lb0ENS6_6detail15normal_iteratorINS6_10device_ptrIjEEEESG_NSD_INSE_IS9_EEEESI_jNS0_19identity_decomposerENS1_16block_id_wrapperIjLb1EEEEE10hipError_tT1_PNSt15iterator_traitsISN_E10value_typeET2_T3_PNSO_IST_E10value_typeET4_T5_PSY_SZ_PNS1_23onesweep_lookback_stateEbbT6_jjT7_P12ihipStream_tbENKUlT_T0_SN_SS_E_clIPjSG_PS9_SI_EEDaS16_S17_SN_SS_EUlS16_E_NS1_11comp_targetILNS1_3genE2ELNS1_11target_archE906ELNS1_3gpuE6ELNS1_3repE0EEENS1_47radix_sort_onesweep_sort_config_static_selectorELNS0_4arch9wavefront6targetE0EEEvSN_.num_vgpr, 0
	.set _ZN7rocprim17ROCPRIM_400000_NS6detail17trampoline_kernelINS0_14default_configENS1_35radix_sort_onesweep_config_selectorIjN6thrust23THRUST_200600_302600_NS5tupleIffNS6_9null_typeES8_S8_S8_S8_S8_S8_S8_EEEEZZNS1_29radix_sort_onesweep_iterationIS3_Lb0ENS6_6detail15normal_iteratorINS6_10device_ptrIjEEEESG_NSD_INSE_IS9_EEEESI_jNS0_19identity_decomposerENS1_16block_id_wrapperIjLb1EEEEE10hipError_tT1_PNSt15iterator_traitsISN_E10value_typeET2_T3_PNSO_IST_E10value_typeET4_T5_PSY_SZ_PNS1_23onesweep_lookback_stateEbbT6_jjT7_P12ihipStream_tbENKUlT_T0_SN_SS_E_clIPjSG_PS9_SI_EEDaS16_S17_SN_SS_EUlS16_E_NS1_11comp_targetILNS1_3genE2ELNS1_11target_archE906ELNS1_3gpuE6ELNS1_3repE0EEENS1_47radix_sort_onesweep_sort_config_static_selectorELNS0_4arch9wavefront6targetE0EEEvSN_.num_agpr, 0
	.set _ZN7rocprim17ROCPRIM_400000_NS6detail17trampoline_kernelINS0_14default_configENS1_35radix_sort_onesweep_config_selectorIjN6thrust23THRUST_200600_302600_NS5tupleIffNS6_9null_typeES8_S8_S8_S8_S8_S8_S8_EEEEZZNS1_29radix_sort_onesweep_iterationIS3_Lb0ENS6_6detail15normal_iteratorINS6_10device_ptrIjEEEESG_NSD_INSE_IS9_EEEESI_jNS0_19identity_decomposerENS1_16block_id_wrapperIjLb1EEEEE10hipError_tT1_PNSt15iterator_traitsISN_E10value_typeET2_T3_PNSO_IST_E10value_typeET4_T5_PSY_SZ_PNS1_23onesweep_lookback_stateEbbT6_jjT7_P12ihipStream_tbENKUlT_T0_SN_SS_E_clIPjSG_PS9_SI_EEDaS16_S17_SN_SS_EUlS16_E_NS1_11comp_targetILNS1_3genE2ELNS1_11target_archE906ELNS1_3gpuE6ELNS1_3repE0EEENS1_47radix_sort_onesweep_sort_config_static_selectorELNS0_4arch9wavefront6targetE0EEEvSN_.numbered_sgpr, 0
	.set _ZN7rocprim17ROCPRIM_400000_NS6detail17trampoline_kernelINS0_14default_configENS1_35radix_sort_onesweep_config_selectorIjN6thrust23THRUST_200600_302600_NS5tupleIffNS6_9null_typeES8_S8_S8_S8_S8_S8_S8_EEEEZZNS1_29radix_sort_onesweep_iterationIS3_Lb0ENS6_6detail15normal_iteratorINS6_10device_ptrIjEEEESG_NSD_INSE_IS9_EEEESI_jNS0_19identity_decomposerENS1_16block_id_wrapperIjLb1EEEEE10hipError_tT1_PNSt15iterator_traitsISN_E10value_typeET2_T3_PNSO_IST_E10value_typeET4_T5_PSY_SZ_PNS1_23onesweep_lookback_stateEbbT6_jjT7_P12ihipStream_tbENKUlT_T0_SN_SS_E_clIPjSG_PS9_SI_EEDaS16_S17_SN_SS_EUlS16_E_NS1_11comp_targetILNS1_3genE2ELNS1_11target_archE906ELNS1_3gpuE6ELNS1_3repE0EEENS1_47radix_sort_onesweep_sort_config_static_selectorELNS0_4arch9wavefront6targetE0EEEvSN_.num_named_barrier, 0
	.set _ZN7rocprim17ROCPRIM_400000_NS6detail17trampoline_kernelINS0_14default_configENS1_35radix_sort_onesweep_config_selectorIjN6thrust23THRUST_200600_302600_NS5tupleIffNS6_9null_typeES8_S8_S8_S8_S8_S8_S8_EEEEZZNS1_29radix_sort_onesweep_iterationIS3_Lb0ENS6_6detail15normal_iteratorINS6_10device_ptrIjEEEESG_NSD_INSE_IS9_EEEESI_jNS0_19identity_decomposerENS1_16block_id_wrapperIjLb1EEEEE10hipError_tT1_PNSt15iterator_traitsISN_E10value_typeET2_T3_PNSO_IST_E10value_typeET4_T5_PSY_SZ_PNS1_23onesweep_lookback_stateEbbT6_jjT7_P12ihipStream_tbENKUlT_T0_SN_SS_E_clIPjSG_PS9_SI_EEDaS16_S17_SN_SS_EUlS16_E_NS1_11comp_targetILNS1_3genE2ELNS1_11target_archE906ELNS1_3gpuE6ELNS1_3repE0EEENS1_47radix_sort_onesweep_sort_config_static_selectorELNS0_4arch9wavefront6targetE0EEEvSN_.private_seg_size, 0
	.set _ZN7rocprim17ROCPRIM_400000_NS6detail17trampoline_kernelINS0_14default_configENS1_35radix_sort_onesweep_config_selectorIjN6thrust23THRUST_200600_302600_NS5tupleIffNS6_9null_typeES8_S8_S8_S8_S8_S8_S8_EEEEZZNS1_29radix_sort_onesweep_iterationIS3_Lb0ENS6_6detail15normal_iteratorINS6_10device_ptrIjEEEESG_NSD_INSE_IS9_EEEESI_jNS0_19identity_decomposerENS1_16block_id_wrapperIjLb1EEEEE10hipError_tT1_PNSt15iterator_traitsISN_E10value_typeET2_T3_PNSO_IST_E10value_typeET4_T5_PSY_SZ_PNS1_23onesweep_lookback_stateEbbT6_jjT7_P12ihipStream_tbENKUlT_T0_SN_SS_E_clIPjSG_PS9_SI_EEDaS16_S17_SN_SS_EUlS16_E_NS1_11comp_targetILNS1_3genE2ELNS1_11target_archE906ELNS1_3gpuE6ELNS1_3repE0EEENS1_47radix_sort_onesweep_sort_config_static_selectorELNS0_4arch9wavefront6targetE0EEEvSN_.uses_vcc, 0
	.set _ZN7rocprim17ROCPRIM_400000_NS6detail17trampoline_kernelINS0_14default_configENS1_35radix_sort_onesweep_config_selectorIjN6thrust23THRUST_200600_302600_NS5tupleIffNS6_9null_typeES8_S8_S8_S8_S8_S8_S8_EEEEZZNS1_29radix_sort_onesweep_iterationIS3_Lb0ENS6_6detail15normal_iteratorINS6_10device_ptrIjEEEESG_NSD_INSE_IS9_EEEESI_jNS0_19identity_decomposerENS1_16block_id_wrapperIjLb1EEEEE10hipError_tT1_PNSt15iterator_traitsISN_E10value_typeET2_T3_PNSO_IST_E10value_typeET4_T5_PSY_SZ_PNS1_23onesweep_lookback_stateEbbT6_jjT7_P12ihipStream_tbENKUlT_T0_SN_SS_E_clIPjSG_PS9_SI_EEDaS16_S17_SN_SS_EUlS16_E_NS1_11comp_targetILNS1_3genE2ELNS1_11target_archE906ELNS1_3gpuE6ELNS1_3repE0EEENS1_47radix_sort_onesweep_sort_config_static_selectorELNS0_4arch9wavefront6targetE0EEEvSN_.uses_flat_scratch, 0
	.set _ZN7rocprim17ROCPRIM_400000_NS6detail17trampoline_kernelINS0_14default_configENS1_35radix_sort_onesweep_config_selectorIjN6thrust23THRUST_200600_302600_NS5tupleIffNS6_9null_typeES8_S8_S8_S8_S8_S8_S8_EEEEZZNS1_29radix_sort_onesweep_iterationIS3_Lb0ENS6_6detail15normal_iteratorINS6_10device_ptrIjEEEESG_NSD_INSE_IS9_EEEESI_jNS0_19identity_decomposerENS1_16block_id_wrapperIjLb1EEEEE10hipError_tT1_PNSt15iterator_traitsISN_E10value_typeET2_T3_PNSO_IST_E10value_typeET4_T5_PSY_SZ_PNS1_23onesweep_lookback_stateEbbT6_jjT7_P12ihipStream_tbENKUlT_T0_SN_SS_E_clIPjSG_PS9_SI_EEDaS16_S17_SN_SS_EUlS16_E_NS1_11comp_targetILNS1_3genE2ELNS1_11target_archE906ELNS1_3gpuE6ELNS1_3repE0EEENS1_47radix_sort_onesweep_sort_config_static_selectorELNS0_4arch9wavefront6targetE0EEEvSN_.has_dyn_sized_stack, 0
	.set _ZN7rocprim17ROCPRIM_400000_NS6detail17trampoline_kernelINS0_14default_configENS1_35radix_sort_onesweep_config_selectorIjN6thrust23THRUST_200600_302600_NS5tupleIffNS6_9null_typeES8_S8_S8_S8_S8_S8_S8_EEEEZZNS1_29radix_sort_onesweep_iterationIS3_Lb0ENS6_6detail15normal_iteratorINS6_10device_ptrIjEEEESG_NSD_INSE_IS9_EEEESI_jNS0_19identity_decomposerENS1_16block_id_wrapperIjLb1EEEEE10hipError_tT1_PNSt15iterator_traitsISN_E10value_typeET2_T3_PNSO_IST_E10value_typeET4_T5_PSY_SZ_PNS1_23onesweep_lookback_stateEbbT6_jjT7_P12ihipStream_tbENKUlT_T0_SN_SS_E_clIPjSG_PS9_SI_EEDaS16_S17_SN_SS_EUlS16_E_NS1_11comp_targetILNS1_3genE2ELNS1_11target_archE906ELNS1_3gpuE6ELNS1_3repE0EEENS1_47radix_sort_onesweep_sort_config_static_selectorELNS0_4arch9wavefront6targetE0EEEvSN_.has_recursion, 0
	.set _ZN7rocprim17ROCPRIM_400000_NS6detail17trampoline_kernelINS0_14default_configENS1_35radix_sort_onesweep_config_selectorIjN6thrust23THRUST_200600_302600_NS5tupleIffNS6_9null_typeES8_S8_S8_S8_S8_S8_S8_EEEEZZNS1_29radix_sort_onesweep_iterationIS3_Lb0ENS6_6detail15normal_iteratorINS6_10device_ptrIjEEEESG_NSD_INSE_IS9_EEEESI_jNS0_19identity_decomposerENS1_16block_id_wrapperIjLb1EEEEE10hipError_tT1_PNSt15iterator_traitsISN_E10value_typeET2_T3_PNSO_IST_E10value_typeET4_T5_PSY_SZ_PNS1_23onesweep_lookback_stateEbbT6_jjT7_P12ihipStream_tbENKUlT_T0_SN_SS_E_clIPjSG_PS9_SI_EEDaS16_S17_SN_SS_EUlS16_E_NS1_11comp_targetILNS1_3genE2ELNS1_11target_archE906ELNS1_3gpuE6ELNS1_3repE0EEENS1_47radix_sort_onesweep_sort_config_static_selectorELNS0_4arch9wavefront6targetE0EEEvSN_.has_indirect_call, 0
	.section	.AMDGPU.csdata,"",@progbits
; Kernel info:
; codeLenInByte = 0
; TotalNumSgprs: 0
; NumVgprs: 0
; ScratchSize: 0
; MemoryBound: 0
; FloatMode: 240
; IeeeMode: 1
; LDSByteSize: 0 bytes/workgroup (compile time only)
; SGPRBlocks: 0
; VGPRBlocks: 0
; NumSGPRsForWavesPerEU: 1
; NumVGPRsForWavesPerEU: 1
; NamedBarCnt: 0
; Occupancy: 16
; WaveLimiterHint : 0
; COMPUTE_PGM_RSRC2:SCRATCH_EN: 0
; COMPUTE_PGM_RSRC2:USER_SGPR: 2
; COMPUTE_PGM_RSRC2:TRAP_HANDLER: 0
; COMPUTE_PGM_RSRC2:TGID_X_EN: 1
; COMPUTE_PGM_RSRC2:TGID_Y_EN: 0
; COMPUTE_PGM_RSRC2:TGID_Z_EN: 0
; COMPUTE_PGM_RSRC2:TIDIG_COMP_CNT: 0
	.section	.text._ZN7rocprim17ROCPRIM_400000_NS6detail17trampoline_kernelINS0_14default_configENS1_35radix_sort_onesweep_config_selectorIjN6thrust23THRUST_200600_302600_NS5tupleIffNS6_9null_typeES8_S8_S8_S8_S8_S8_S8_EEEEZZNS1_29radix_sort_onesweep_iterationIS3_Lb0ENS6_6detail15normal_iteratorINS6_10device_ptrIjEEEESG_NSD_INSE_IS9_EEEESI_jNS0_19identity_decomposerENS1_16block_id_wrapperIjLb1EEEEE10hipError_tT1_PNSt15iterator_traitsISN_E10value_typeET2_T3_PNSO_IST_E10value_typeET4_T5_PSY_SZ_PNS1_23onesweep_lookback_stateEbbT6_jjT7_P12ihipStream_tbENKUlT_T0_SN_SS_E_clIPjSG_PS9_SI_EEDaS16_S17_SN_SS_EUlS16_E_NS1_11comp_targetILNS1_3genE4ELNS1_11target_archE910ELNS1_3gpuE8ELNS1_3repE0EEENS1_47radix_sort_onesweep_sort_config_static_selectorELNS0_4arch9wavefront6targetE0EEEvSN_,"axG",@progbits,_ZN7rocprim17ROCPRIM_400000_NS6detail17trampoline_kernelINS0_14default_configENS1_35radix_sort_onesweep_config_selectorIjN6thrust23THRUST_200600_302600_NS5tupleIffNS6_9null_typeES8_S8_S8_S8_S8_S8_S8_EEEEZZNS1_29radix_sort_onesweep_iterationIS3_Lb0ENS6_6detail15normal_iteratorINS6_10device_ptrIjEEEESG_NSD_INSE_IS9_EEEESI_jNS0_19identity_decomposerENS1_16block_id_wrapperIjLb1EEEEE10hipError_tT1_PNSt15iterator_traitsISN_E10value_typeET2_T3_PNSO_IST_E10value_typeET4_T5_PSY_SZ_PNS1_23onesweep_lookback_stateEbbT6_jjT7_P12ihipStream_tbENKUlT_T0_SN_SS_E_clIPjSG_PS9_SI_EEDaS16_S17_SN_SS_EUlS16_E_NS1_11comp_targetILNS1_3genE4ELNS1_11target_archE910ELNS1_3gpuE8ELNS1_3repE0EEENS1_47radix_sort_onesweep_sort_config_static_selectorELNS0_4arch9wavefront6targetE0EEEvSN_,comdat
	.protected	_ZN7rocprim17ROCPRIM_400000_NS6detail17trampoline_kernelINS0_14default_configENS1_35radix_sort_onesweep_config_selectorIjN6thrust23THRUST_200600_302600_NS5tupleIffNS6_9null_typeES8_S8_S8_S8_S8_S8_S8_EEEEZZNS1_29radix_sort_onesweep_iterationIS3_Lb0ENS6_6detail15normal_iteratorINS6_10device_ptrIjEEEESG_NSD_INSE_IS9_EEEESI_jNS0_19identity_decomposerENS1_16block_id_wrapperIjLb1EEEEE10hipError_tT1_PNSt15iterator_traitsISN_E10value_typeET2_T3_PNSO_IST_E10value_typeET4_T5_PSY_SZ_PNS1_23onesweep_lookback_stateEbbT6_jjT7_P12ihipStream_tbENKUlT_T0_SN_SS_E_clIPjSG_PS9_SI_EEDaS16_S17_SN_SS_EUlS16_E_NS1_11comp_targetILNS1_3genE4ELNS1_11target_archE910ELNS1_3gpuE8ELNS1_3repE0EEENS1_47radix_sort_onesweep_sort_config_static_selectorELNS0_4arch9wavefront6targetE0EEEvSN_ ; -- Begin function _ZN7rocprim17ROCPRIM_400000_NS6detail17trampoline_kernelINS0_14default_configENS1_35radix_sort_onesweep_config_selectorIjN6thrust23THRUST_200600_302600_NS5tupleIffNS6_9null_typeES8_S8_S8_S8_S8_S8_S8_EEEEZZNS1_29radix_sort_onesweep_iterationIS3_Lb0ENS6_6detail15normal_iteratorINS6_10device_ptrIjEEEESG_NSD_INSE_IS9_EEEESI_jNS0_19identity_decomposerENS1_16block_id_wrapperIjLb1EEEEE10hipError_tT1_PNSt15iterator_traitsISN_E10value_typeET2_T3_PNSO_IST_E10value_typeET4_T5_PSY_SZ_PNS1_23onesweep_lookback_stateEbbT6_jjT7_P12ihipStream_tbENKUlT_T0_SN_SS_E_clIPjSG_PS9_SI_EEDaS16_S17_SN_SS_EUlS16_E_NS1_11comp_targetILNS1_3genE4ELNS1_11target_archE910ELNS1_3gpuE8ELNS1_3repE0EEENS1_47radix_sort_onesweep_sort_config_static_selectorELNS0_4arch9wavefront6targetE0EEEvSN_
	.globl	_ZN7rocprim17ROCPRIM_400000_NS6detail17trampoline_kernelINS0_14default_configENS1_35radix_sort_onesweep_config_selectorIjN6thrust23THRUST_200600_302600_NS5tupleIffNS6_9null_typeES8_S8_S8_S8_S8_S8_S8_EEEEZZNS1_29radix_sort_onesweep_iterationIS3_Lb0ENS6_6detail15normal_iteratorINS6_10device_ptrIjEEEESG_NSD_INSE_IS9_EEEESI_jNS0_19identity_decomposerENS1_16block_id_wrapperIjLb1EEEEE10hipError_tT1_PNSt15iterator_traitsISN_E10value_typeET2_T3_PNSO_IST_E10value_typeET4_T5_PSY_SZ_PNS1_23onesweep_lookback_stateEbbT6_jjT7_P12ihipStream_tbENKUlT_T0_SN_SS_E_clIPjSG_PS9_SI_EEDaS16_S17_SN_SS_EUlS16_E_NS1_11comp_targetILNS1_3genE4ELNS1_11target_archE910ELNS1_3gpuE8ELNS1_3repE0EEENS1_47radix_sort_onesweep_sort_config_static_selectorELNS0_4arch9wavefront6targetE0EEEvSN_
	.p2align	8
	.type	_ZN7rocprim17ROCPRIM_400000_NS6detail17trampoline_kernelINS0_14default_configENS1_35radix_sort_onesweep_config_selectorIjN6thrust23THRUST_200600_302600_NS5tupleIffNS6_9null_typeES8_S8_S8_S8_S8_S8_S8_EEEEZZNS1_29radix_sort_onesweep_iterationIS3_Lb0ENS6_6detail15normal_iteratorINS6_10device_ptrIjEEEESG_NSD_INSE_IS9_EEEESI_jNS0_19identity_decomposerENS1_16block_id_wrapperIjLb1EEEEE10hipError_tT1_PNSt15iterator_traitsISN_E10value_typeET2_T3_PNSO_IST_E10value_typeET4_T5_PSY_SZ_PNS1_23onesweep_lookback_stateEbbT6_jjT7_P12ihipStream_tbENKUlT_T0_SN_SS_E_clIPjSG_PS9_SI_EEDaS16_S17_SN_SS_EUlS16_E_NS1_11comp_targetILNS1_3genE4ELNS1_11target_archE910ELNS1_3gpuE8ELNS1_3repE0EEENS1_47radix_sort_onesweep_sort_config_static_selectorELNS0_4arch9wavefront6targetE0EEEvSN_,@function
_ZN7rocprim17ROCPRIM_400000_NS6detail17trampoline_kernelINS0_14default_configENS1_35radix_sort_onesweep_config_selectorIjN6thrust23THRUST_200600_302600_NS5tupleIffNS6_9null_typeES8_S8_S8_S8_S8_S8_S8_EEEEZZNS1_29radix_sort_onesweep_iterationIS3_Lb0ENS6_6detail15normal_iteratorINS6_10device_ptrIjEEEESG_NSD_INSE_IS9_EEEESI_jNS0_19identity_decomposerENS1_16block_id_wrapperIjLb1EEEEE10hipError_tT1_PNSt15iterator_traitsISN_E10value_typeET2_T3_PNSO_IST_E10value_typeET4_T5_PSY_SZ_PNS1_23onesweep_lookback_stateEbbT6_jjT7_P12ihipStream_tbENKUlT_T0_SN_SS_E_clIPjSG_PS9_SI_EEDaS16_S17_SN_SS_EUlS16_E_NS1_11comp_targetILNS1_3genE4ELNS1_11target_archE910ELNS1_3gpuE8ELNS1_3repE0EEENS1_47radix_sort_onesweep_sort_config_static_selectorELNS0_4arch9wavefront6targetE0EEEvSN_: ; @_ZN7rocprim17ROCPRIM_400000_NS6detail17trampoline_kernelINS0_14default_configENS1_35radix_sort_onesweep_config_selectorIjN6thrust23THRUST_200600_302600_NS5tupleIffNS6_9null_typeES8_S8_S8_S8_S8_S8_S8_EEEEZZNS1_29radix_sort_onesweep_iterationIS3_Lb0ENS6_6detail15normal_iteratorINS6_10device_ptrIjEEEESG_NSD_INSE_IS9_EEEESI_jNS0_19identity_decomposerENS1_16block_id_wrapperIjLb1EEEEE10hipError_tT1_PNSt15iterator_traitsISN_E10value_typeET2_T3_PNSO_IST_E10value_typeET4_T5_PSY_SZ_PNS1_23onesweep_lookback_stateEbbT6_jjT7_P12ihipStream_tbENKUlT_T0_SN_SS_E_clIPjSG_PS9_SI_EEDaS16_S17_SN_SS_EUlS16_E_NS1_11comp_targetILNS1_3genE4ELNS1_11target_archE910ELNS1_3gpuE8ELNS1_3repE0EEENS1_47radix_sort_onesweep_sort_config_static_selectorELNS0_4arch9wavefront6targetE0EEEvSN_
; %bb.0:
	.section	.rodata,"a",@progbits
	.p2align	6, 0x0
	.amdhsa_kernel _ZN7rocprim17ROCPRIM_400000_NS6detail17trampoline_kernelINS0_14default_configENS1_35radix_sort_onesweep_config_selectorIjN6thrust23THRUST_200600_302600_NS5tupleIffNS6_9null_typeES8_S8_S8_S8_S8_S8_S8_EEEEZZNS1_29radix_sort_onesweep_iterationIS3_Lb0ENS6_6detail15normal_iteratorINS6_10device_ptrIjEEEESG_NSD_INSE_IS9_EEEESI_jNS0_19identity_decomposerENS1_16block_id_wrapperIjLb1EEEEE10hipError_tT1_PNSt15iterator_traitsISN_E10value_typeET2_T3_PNSO_IST_E10value_typeET4_T5_PSY_SZ_PNS1_23onesweep_lookback_stateEbbT6_jjT7_P12ihipStream_tbENKUlT_T0_SN_SS_E_clIPjSG_PS9_SI_EEDaS16_S17_SN_SS_EUlS16_E_NS1_11comp_targetILNS1_3genE4ELNS1_11target_archE910ELNS1_3gpuE8ELNS1_3repE0EEENS1_47radix_sort_onesweep_sort_config_static_selectorELNS0_4arch9wavefront6targetE0EEEvSN_
		.amdhsa_group_segment_fixed_size 0
		.amdhsa_private_segment_fixed_size 0
		.amdhsa_kernarg_size 88
		.amdhsa_user_sgpr_count 2
		.amdhsa_user_sgpr_dispatch_ptr 0
		.amdhsa_user_sgpr_queue_ptr 0
		.amdhsa_user_sgpr_kernarg_segment_ptr 1
		.amdhsa_user_sgpr_dispatch_id 0
		.amdhsa_user_sgpr_kernarg_preload_length 0
		.amdhsa_user_sgpr_kernarg_preload_offset 0
		.amdhsa_user_sgpr_private_segment_size 0
		.amdhsa_wavefront_size32 1
		.amdhsa_uses_dynamic_stack 0
		.amdhsa_enable_private_segment 0
		.amdhsa_system_sgpr_workgroup_id_x 1
		.amdhsa_system_sgpr_workgroup_id_y 0
		.amdhsa_system_sgpr_workgroup_id_z 0
		.amdhsa_system_sgpr_workgroup_info 0
		.amdhsa_system_vgpr_workitem_id 0
		.amdhsa_next_free_vgpr 1
		.amdhsa_next_free_sgpr 1
		.amdhsa_named_barrier_count 0
		.amdhsa_reserve_vcc 0
		.amdhsa_float_round_mode_32 0
		.amdhsa_float_round_mode_16_64 0
		.amdhsa_float_denorm_mode_32 3
		.amdhsa_float_denorm_mode_16_64 3
		.amdhsa_fp16_overflow 0
		.amdhsa_memory_ordered 1
		.amdhsa_forward_progress 1
		.amdhsa_inst_pref_size 0
		.amdhsa_round_robin_scheduling 0
		.amdhsa_exception_fp_ieee_invalid_op 0
		.amdhsa_exception_fp_denorm_src 0
		.amdhsa_exception_fp_ieee_div_zero 0
		.amdhsa_exception_fp_ieee_overflow 0
		.amdhsa_exception_fp_ieee_underflow 0
		.amdhsa_exception_fp_ieee_inexact 0
		.amdhsa_exception_int_div_zero 0
	.end_amdhsa_kernel
	.section	.text._ZN7rocprim17ROCPRIM_400000_NS6detail17trampoline_kernelINS0_14default_configENS1_35radix_sort_onesweep_config_selectorIjN6thrust23THRUST_200600_302600_NS5tupleIffNS6_9null_typeES8_S8_S8_S8_S8_S8_S8_EEEEZZNS1_29radix_sort_onesweep_iterationIS3_Lb0ENS6_6detail15normal_iteratorINS6_10device_ptrIjEEEESG_NSD_INSE_IS9_EEEESI_jNS0_19identity_decomposerENS1_16block_id_wrapperIjLb1EEEEE10hipError_tT1_PNSt15iterator_traitsISN_E10value_typeET2_T3_PNSO_IST_E10value_typeET4_T5_PSY_SZ_PNS1_23onesweep_lookback_stateEbbT6_jjT7_P12ihipStream_tbENKUlT_T0_SN_SS_E_clIPjSG_PS9_SI_EEDaS16_S17_SN_SS_EUlS16_E_NS1_11comp_targetILNS1_3genE4ELNS1_11target_archE910ELNS1_3gpuE8ELNS1_3repE0EEENS1_47radix_sort_onesweep_sort_config_static_selectorELNS0_4arch9wavefront6targetE0EEEvSN_,"axG",@progbits,_ZN7rocprim17ROCPRIM_400000_NS6detail17trampoline_kernelINS0_14default_configENS1_35radix_sort_onesweep_config_selectorIjN6thrust23THRUST_200600_302600_NS5tupleIffNS6_9null_typeES8_S8_S8_S8_S8_S8_S8_EEEEZZNS1_29radix_sort_onesweep_iterationIS3_Lb0ENS6_6detail15normal_iteratorINS6_10device_ptrIjEEEESG_NSD_INSE_IS9_EEEESI_jNS0_19identity_decomposerENS1_16block_id_wrapperIjLb1EEEEE10hipError_tT1_PNSt15iterator_traitsISN_E10value_typeET2_T3_PNSO_IST_E10value_typeET4_T5_PSY_SZ_PNS1_23onesweep_lookback_stateEbbT6_jjT7_P12ihipStream_tbENKUlT_T0_SN_SS_E_clIPjSG_PS9_SI_EEDaS16_S17_SN_SS_EUlS16_E_NS1_11comp_targetILNS1_3genE4ELNS1_11target_archE910ELNS1_3gpuE8ELNS1_3repE0EEENS1_47radix_sort_onesweep_sort_config_static_selectorELNS0_4arch9wavefront6targetE0EEEvSN_,comdat
.Lfunc_end197:
	.size	_ZN7rocprim17ROCPRIM_400000_NS6detail17trampoline_kernelINS0_14default_configENS1_35radix_sort_onesweep_config_selectorIjN6thrust23THRUST_200600_302600_NS5tupleIffNS6_9null_typeES8_S8_S8_S8_S8_S8_S8_EEEEZZNS1_29radix_sort_onesweep_iterationIS3_Lb0ENS6_6detail15normal_iteratorINS6_10device_ptrIjEEEESG_NSD_INSE_IS9_EEEESI_jNS0_19identity_decomposerENS1_16block_id_wrapperIjLb1EEEEE10hipError_tT1_PNSt15iterator_traitsISN_E10value_typeET2_T3_PNSO_IST_E10value_typeET4_T5_PSY_SZ_PNS1_23onesweep_lookback_stateEbbT6_jjT7_P12ihipStream_tbENKUlT_T0_SN_SS_E_clIPjSG_PS9_SI_EEDaS16_S17_SN_SS_EUlS16_E_NS1_11comp_targetILNS1_3genE4ELNS1_11target_archE910ELNS1_3gpuE8ELNS1_3repE0EEENS1_47radix_sort_onesweep_sort_config_static_selectorELNS0_4arch9wavefront6targetE0EEEvSN_, .Lfunc_end197-_ZN7rocprim17ROCPRIM_400000_NS6detail17trampoline_kernelINS0_14default_configENS1_35radix_sort_onesweep_config_selectorIjN6thrust23THRUST_200600_302600_NS5tupleIffNS6_9null_typeES8_S8_S8_S8_S8_S8_S8_EEEEZZNS1_29radix_sort_onesweep_iterationIS3_Lb0ENS6_6detail15normal_iteratorINS6_10device_ptrIjEEEESG_NSD_INSE_IS9_EEEESI_jNS0_19identity_decomposerENS1_16block_id_wrapperIjLb1EEEEE10hipError_tT1_PNSt15iterator_traitsISN_E10value_typeET2_T3_PNSO_IST_E10value_typeET4_T5_PSY_SZ_PNS1_23onesweep_lookback_stateEbbT6_jjT7_P12ihipStream_tbENKUlT_T0_SN_SS_E_clIPjSG_PS9_SI_EEDaS16_S17_SN_SS_EUlS16_E_NS1_11comp_targetILNS1_3genE4ELNS1_11target_archE910ELNS1_3gpuE8ELNS1_3repE0EEENS1_47radix_sort_onesweep_sort_config_static_selectorELNS0_4arch9wavefront6targetE0EEEvSN_
                                        ; -- End function
	.set _ZN7rocprim17ROCPRIM_400000_NS6detail17trampoline_kernelINS0_14default_configENS1_35radix_sort_onesweep_config_selectorIjN6thrust23THRUST_200600_302600_NS5tupleIffNS6_9null_typeES8_S8_S8_S8_S8_S8_S8_EEEEZZNS1_29radix_sort_onesweep_iterationIS3_Lb0ENS6_6detail15normal_iteratorINS6_10device_ptrIjEEEESG_NSD_INSE_IS9_EEEESI_jNS0_19identity_decomposerENS1_16block_id_wrapperIjLb1EEEEE10hipError_tT1_PNSt15iterator_traitsISN_E10value_typeET2_T3_PNSO_IST_E10value_typeET4_T5_PSY_SZ_PNS1_23onesweep_lookback_stateEbbT6_jjT7_P12ihipStream_tbENKUlT_T0_SN_SS_E_clIPjSG_PS9_SI_EEDaS16_S17_SN_SS_EUlS16_E_NS1_11comp_targetILNS1_3genE4ELNS1_11target_archE910ELNS1_3gpuE8ELNS1_3repE0EEENS1_47radix_sort_onesweep_sort_config_static_selectorELNS0_4arch9wavefront6targetE0EEEvSN_.num_vgpr, 0
	.set _ZN7rocprim17ROCPRIM_400000_NS6detail17trampoline_kernelINS0_14default_configENS1_35radix_sort_onesweep_config_selectorIjN6thrust23THRUST_200600_302600_NS5tupleIffNS6_9null_typeES8_S8_S8_S8_S8_S8_S8_EEEEZZNS1_29radix_sort_onesweep_iterationIS3_Lb0ENS6_6detail15normal_iteratorINS6_10device_ptrIjEEEESG_NSD_INSE_IS9_EEEESI_jNS0_19identity_decomposerENS1_16block_id_wrapperIjLb1EEEEE10hipError_tT1_PNSt15iterator_traitsISN_E10value_typeET2_T3_PNSO_IST_E10value_typeET4_T5_PSY_SZ_PNS1_23onesweep_lookback_stateEbbT6_jjT7_P12ihipStream_tbENKUlT_T0_SN_SS_E_clIPjSG_PS9_SI_EEDaS16_S17_SN_SS_EUlS16_E_NS1_11comp_targetILNS1_3genE4ELNS1_11target_archE910ELNS1_3gpuE8ELNS1_3repE0EEENS1_47radix_sort_onesweep_sort_config_static_selectorELNS0_4arch9wavefront6targetE0EEEvSN_.num_agpr, 0
	.set _ZN7rocprim17ROCPRIM_400000_NS6detail17trampoline_kernelINS0_14default_configENS1_35radix_sort_onesweep_config_selectorIjN6thrust23THRUST_200600_302600_NS5tupleIffNS6_9null_typeES8_S8_S8_S8_S8_S8_S8_EEEEZZNS1_29radix_sort_onesweep_iterationIS3_Lb0ENS6_6detail15normal_iteratorINS6_10device_ptrIjEEEESG_NSD_INSE_IS9_EEEESI_jNS0_19identity_decomposerENS1_16block_id_wrapperIjLb1EEEEE10hipError_tT1_PNSt15iterator_traitsISN_E10value_typeET2_T3_PNSO_IST_E10value_typeET4_T5_PSY_SZ_PNS1_23onesweep_lookback_stateEbbT6_jjT7_P12ihipStream_tbENKUlT_T0_SN_SS_E_clIPjSG_PS9_SI_EEDaS16_S17_SN_SS_EUlS16_E_NS1_11comp_targetILNS1_3genE4ELNS1_11target_archE910ELNS1_3gpuE8ELNS1_3repE0EEENS1_47radix_sort_onesweep_sort_config_static_selectorELNS0_4arch9wavefront6targetE0EEEvSN_.numbered_sgpr, 0
	.set _ZN7rocprim17ROCPRIM_400000_NS6detail17trampoline_kernelINS0_14default_configENS1_35radix_sort_onesweep_config_selectorIjN6thrust23THRUST_200600_302600_NS5tupleIffNS6_9null_typeES8_S8_S8_S8_S8_S8_S8_EEEEZZNS1_29radix_sort_onesweep_iterationIS3_Lb0ENS6_6detail15normal_iteratorINS6_10device_ptrIjEEEESG_NSD_INSE_IS9_EEEESI_jNS0_19identity_decomposerENS1_16block_id_wrapperIjLb1EEEEE10hipError_tT1_PNSt15iterator_traitsISN_E10value_typeET2_T3_PNSO_IST_E10value_typeET4_T5_PSY_SZ_PNS1_23onesweep_lookback_stateEbbT6_jjT7_P12ihipStream_tbENKUlT_T0_SN_SS_E_clIPjSG_PS9_SI_EEDaS16_S17_SN_SS_EUlS16_E_NS1_11comp_targetILNS1_3genE4ELNS1_11target_archE910ELNS1_3gpuE8ELNS1_3repE0EEENS1_47radix_sort_onesweep_sort_config_static_selectorELNS0_4arch9wavefront6targetE0EEEvSN_.num_named_barrier, 0
	.set _ZN7rocprim17ROCPRIM_400000_NS6detail17trampoline_kernelINS0_14default_configENS1_35radix_sort_onesweep_config_selectorIjN6thrust23THRUST_200600_302600_NS5tupleIffNS6_9null_typeES8_S8_S8_S8_S8_S8_S8_EEEEZZNS1_29radix_sort_onesweep_iterationIS3_Lb0ENS6_6detail15normal_iteratorINS6_10device_ptrIjEEEESG_NSD_INSE_IS9_EEEESI_jNS0_19identity_decomposerENS1_16block_id_wrapperIjLb1EEEEE10hipError_tT1_PNSt15iterator_traitsISN_E10value_typeET2_T3_PNSO_IST_E10value_typeET4_T5_PSY_SZ_PNS1_23onesweep_lookback_stateEbbT6_jjT7_P12ihipStream_tbENKUlT_T0_SN_SS_E_clIPjSG_PS9_SI_EEDaS16_S17_SN_SS_EUlS16_E_NS1_11comp_targetILNS1_3genE4ELNS1_11target_archE910ELNS1_3gpuE8ELNS1_3repE0EEENS1_47radix_sort_onesweep_sort_config_static_selectorELNS0_4arch9wavefront6targetE0EEEvSN_.private_seg_size, 0
	.set _ZN7rocprim17ROCPRIM_400000_NS6detail17trampoline_kernelINS0_14default_configENS1_35radix_sort_onesweep_config_selectorIjN6thrust23THRUST_200600_302600_NS5tupleIffNS6_9null_typeES8_S8_S8_S8_S8_S8_S8_EEEEZZNS1_29radix_sort_onesweep_iterationIS3_Lb0ENS6_6detail15normal_iteratorINS6_10device_ptrIjEEEESG_NSD_INSE_IS9_EEEESI_jNS0_19identity_decomposerENS1_16block_id_wrapperIjLb1EEEEE10hipError_tT1_PNSt15iterator_traitsISN_E10value_typeET2_T3_PNSO_IST_E10value_typeET4_T5_PSY_SZ_PNS1_23onesweep_lookback_stateEbbT6_jjT7_P12ihipStream_tbENKUlT_T0_SN_SS_E_clIPjSG_PS9_SI_EEDaS16_S17_SN_SS_EUlS16_E_NS1_11comp_targetILNS1_3genE4ELNS1_11target_archE910ELNS1_3gpuE8ELNS1_3repE0EEENS1_47radix_sort_onesweep_sort_config_static_selectorELNS0_4arch9wavefront6targetE0EEEvSN_.uses_vcc, 0
	.set _ZN7rocprim17ROCPRIM_400000_NS6detail17trampoline_kernelINS0_14default_configENS1_35radix_sort_onesweep_config_selectorIjN6thrust23THRUST_200600_302600_NS5tupleIffNS6_9null_typeES8_S8_S8_S8_S8_S8_S8_EEEEZZNS1_29radix_sort_onesweep_iterationIS3_Lb0ENS6_6detail15normal_iteratorINS6_10device_ptrIjEEEESG_NSD_INSE_IS9_EEEESI_jNS0_19identity_decomposerENS1_16block_id_wrapperIjLb1EEEEE10hipError_tT1_PNSt15iterator_traitsISN_E10value_typeET2_T3_PNSO_IST_E10value_typeET4_T5_PSY_SZ_PNS1_23onesweep_lookback_stateEbbT6_jjT7_P12ihipStream_tbENKUlT_T0_SN_SS_E_clIPjSG_PS9_SI_EEDaS16_S17_SN_SS_EUlS16_E_NS1_11comp_targetILNS1_3genE4ELNS1_11target_archE910ELNS1_3gpuE8ELNS1_3repE0EEENS1_47radix_sort_onesweep_sort_config_static_selectorELNS0_4arch9wavefront6targetE0EEEvSN_.uses_flat_scratch, 0
	.set _ZN7rocprim17ROCPRIM_400000_NS6detail17trampoline_kernelINS0_14default_configENS1_35radix_sort_onesweep_config_selectorIjN6thrust23THRUST_200600_302600_NS5tupleIffNS6_9null_typeES8_S8_S8_S8_S8_S8_S8_EEEEZZNS1_29radix_sort_onesweep_iterationIS3_Lb0ENS6_6detail15normal_iteratorINS6_10device_ptrIjEEEESG_NSD_INSE_IS9_EEEESI_jNS0_19identity_decomposerENS1_16block_id_wrapperIjLb1EEEEE10hipError_tT1_PNSt15iterator_traitsISN_E10value_typeET2_T3_PNSO_IST_E10value_typeET4_T5_PSY_SZ_PNS1_23onesweep_lookback_stateEbbT6_jjT7_P12ihipStream_tbENKUlT_T0_SN_SS_E_clIPjSG_PS9_SI_EEDaS16_S17_SN_SS_EUlS16_E_NS1_11comp_targetILNS1_3genE4ELNS1_11target_archE910ELNS1_3gpuE8ELNS1_3repE0EEENS1_47radix_sort_onesweep_sort_config_static_selectorELNS0_4arch9wavefront6targetE0EEEvSN_.has_dyn_sized_stack, 0
	.set _ZN7rocprim17ROCPRIM_400000_NS6detail17trampoline_kernelINS0_14default_configENS1_35radix_sort_onesweep_config_selectorIjN6thrust23THRUST_200600_302600_NS5tupleIffNS6_9null_typeES8_S8_S8_S8_S8_S8_S8_EEEEZZNS1_29radix_sort_onesweep_iterationIS3_Lb0ENS6_6detail15normal_iteratorINS6_10device_ptrIjEEEESG_NSD_INSE_IS9_EEEESI_jNS0_19identity_decomposerENS1_16block_id_wrapperIjLb1EEEEE10hipError_tT1_PNSt15iterator_traitsISN_E10value_typeET2_T3_PNSO_IST_E10value_typeET4_T5_PSY_SZ_PNS1_23onesweep_lookback_stateEbbT6_jjT7_P12ihipStream_tbENKUlT_T0_SN_SS_E_clIPjSG_PS9_SI_EEDaS16_S17_SN_SS_EUlS16_E_NS1_11comp_targetILNS1_3genE4ELNS1_11target_archE910ELNS1_3gpuE8ELNS1_3repE0EEENS1_47radix_sort_onesweep_sort_config_static_selectorELNS0_4arch9wavefront6targetE0EEEvSN_.has_recursion, 0
	.set _ZN7rocprim17ROCPRIM_400000_NS6detail17trampoline_kernelINS0_14default_configENS1_35radix_sort_onesweep_config_selectorIjN6thrust23THRUST_200600_302600_NS5tupleIffNS6_9null_typeES8_S8_S8_S8_S8_S8_S8_EEEEZZNS1_29radix_sort_onesweep_iterationIS3_Lb0ENS6_6detail15normal_iteratorINS6_10device_ptrIjEEEESG_NSD_INSE_IS9_EEEESI_jNS0_19identity_decomposerENS1_16block_id_wrapperIjLb1EEEEE10hipError_tT1_PNSt15iterator_traitsISN_E10value_typeET2_T3_PNSO_IST_E10value_typeET4_T5_PSY_SZ_PNS1_23onesweep_lookback_stateEbbT6_jjT7_P12ihipStream_tbENKUlT_T0_SN_SS_E_clIPjSG_PS9_SI_EEDaS16_S17_SN_SS_EUlS16_E_NS1_11comp_targetILNS1_3genE4ELNS1_11target_archE910ELNS1_3gpuE8ELNS1_3repE0EEENS1_47radix_sort_onesweep_sort_config_static_selectorELNS0_4arch9wavefront6targetE0EEEvSN_.has_indirect_call, 0
	.section	.AMDGPU.csdata,"",@progbits
; Kernel info:
; codeLenInByte = 0
; TotalNumSgprs: 0
; NumVgprs: 0
; ScratchSize: 0
; MemoryBound: 0
; FloatMode: 240
; IeeeMode: 1
; LDSByteSize: 0 bytes/workgroup (compile time only)
; SGPRBlocks: 0
; VGPRBlocks: 0
; NumSGPRsForWavesPerEU: 1
; NumVGPRsForWavesPerEU: 1
; NamedBarCnt: 0
; Occupancy: 16
; WaveLimiterHint : 0
; COMPUTE_PGM_RSRC2:SCRATCH_EN: 0
; COMPUTE_PGM_RSRC2:USER_SGPR: 2
; COMPUTE_PGM_RSRC2:TRAP_HANDLER: 0
; COMPUTE_PGM_RSRC2:TGID_X_EN: 1
; COMPUTE_PGM_RSRC2:TGID_Y_EN: 0
; COMPUTE_PGM_RSRC2:TGID_Z_EN: 0
; COMPUTE_PGM_RSRC2:TIDIG_COMP_CNT: 0
	.section	.text._ZN7rocprim17ROCPRIM_400000_NS6detail17trampoline_kernelINS0_14default_configENS1_35radix_sort_onesweep_config_selectorIjN6thrust23THRUST_200600_302600_NS5tupleIffNS6_9null_typeES8_S8_S8_S8_S8_S8_S8_EEEEZZNS1_29radix_sort_onesweep_iterationIS3_Lb0ENS6_6detail15normal_iteratorINS6_10device_ptrIjEEEESG_NSD_INSE_IS9_EEEESI_jNS0_19identity_decomposerENS1_16block_id_wrapperIjLb1EEEEE10hipError_tT1_PNSt15iterator_traitsISN_E10value_typeET2_T3_PNSO_IST_E10value_typeET4_T5_PSY_SZ_PNS1_23onesweep_lookback_stateEbbT6_jjT7_P12ihipStream_tbENKUlT_T0_SN_SS_E_clIPjSG_PS9_SI_EEDaS16_S17_SN_SS_EUlS16_E_NS1_11comp_targetILNS1_3genE3ELNS1_11target_archE908ELNS1_3gpuE7ELNS1_3repE0EEENS1_47radix_sort_onesweep_sort_config_static_selectorELNS0_4arch9wavefront6targetE0EEEvSN_,"axG",@progbits,_ZN7rocprim17ROCPRIM_400000_NS6detail17trampoline_kernelINS0_14default_configENS1_35radix_sort_onesweep_config_selectorIjN6thrust23THRUST_200600_302600_NS5tupleIffNS6_9null_typeES8_S8_S8_S8_S8_S8_S8_EEEEZZNS1_29radix_sort_onesweep_iterationIS3_Lb0ENS6_6detail15normal_iteratorINS6_10device_ptrIjEEEESG_NSD_INSE_IS9_EEEESI_jNS0_19identity_decomposerENS1_16block_id_wrapperIjLb1EEEEE10hipError_tT1_PNSt15iterator_traitsISN_E10value_typeET2_T3_PNSO_IST_E10value_typeET4_T5_PSY_SZ_PNS1_23onesweep_lookback_stateEbbT6_jjT7_P12ihipStream_tbENKUlT_T0_SN_SS_E_clIPjSG_PS9_SI_EEDaS16_S17_SN_SS_EUlS16_E_NS1_11comp_targetILNS1_3genE3ELNS1_11target_archE908ELNS1_3gpuE7ELNS1_3repE0EEENS1_47radix_sort_onesweep_sort_config_static_selectorELNS0_4arch9wavefront6targetE0EEEvSN_,comdat
	.protected	_ZN7rocprim17ROCPRIM_400000_NS6detail17trampoline_kernelINS0_14default_configENS1_35radix_sort_onesweep_config_selectorIjN6thrust23THRUST_200600_302600_NS5tupleIffNS6_9null_typeES8_S8_S8_S8_S8_S8_S8_EEEEZZNS1_29radix_sort_onesweep_iterationIS3_Lb0ENS6_6detail15normal_iteratorINS6_10device_ptrIjEEEESG_NSD_INSE_IS9_EEEESI_jNS0_19identity_decomposerENS1_16block_id_wrapperIjLb1EEEEE10hipError_tT1_PNSt15iterator_traitsISN_E10value_typeET2_T3_PNSO_IST_E10value_typeET4_T5_PSY_SZ_PNS1_23onesweep_lookback_stateEbbT6_jjT7_P12ihipStream_tbENKUlT_T0_SN_SS_E_clIPjSG_PS9_SI_EEDaS16_S17_SN_SS_EUlS16_E_NS1_11comp_targetILNS1_3genE3ELNS1_11target_archE908ELNS1_3gpuE7ELNS1_3repE0EEENS1_47radix_sort_onesweep_sort_config_static_selectorELNS0_4arch9wavefront6targetE0EEEvSN_ ; -- Begin function _ZN7rocprim17ROCPRIM_400000_NS6detail17trampoline_kernelINS0_14default_configENS1_35radix_sort_onesweep_config_selectorIjN6thrust23THRUST_200600_302600_NS5tupleIffNS6_9null_typeES8_S8_S8_S8_S8_S8_S8_EEEEZZNS1_29radix_sort_onesweep_iterationIS3_Lb0ENS6_6detail15normal_iteratorINS6_10device_ptrIjEEEESG_NSD_INSE_IS9_EEEESI_jNS0_19identity_decomposerENS1_16block_id_wrapperIjLb1EEEEE10hipError_tT1_PNSt15iterator_traitsISN_E10value_typeET2_T3_PNSO_IST_E10value_typeET4_T5_PSY_SZ_PNS1_23onesweep_lookback_stateEbbT6_jjT7_P12ihipStream_tbENKUlT_T0_SN_SS_E_clIPjSG_PS9_SI_EEDaS16_S17_SN_SS_EUlS16_E_NS1_11comp_targetILNS1_3genE3ELNS1_11target_archE908ELNS1_3gpuE7ELNS1_3repE0EEENS1_47radix_sort_onesweep_sort_config_static_selectorELNS0_4arch9wavefront6targetE0EEEvSN_
	.globl	_ZN7rocprim17ROCPRIM_400000_NS6detail17trampoline_kernelINS0_14default_configENS1_35radix_sort_onesweep_config_selectorIjN6thrust23THRUST_200600_302600_NS5tupleIffNS6_9null_typeES8_S8_S8_S8_S8_S8_S8_EEEEZZNS1_29radix_sort_onesweep_iterationIS3_Lb0ENS6_6detail15normal_iteratorINS6_10device_ptrIjEEEESG_NSD_INSE_IS9_EEEESI_jNS0_19identity_decomposerENS1_16block_id_wrapperIjLb1EEEEE10hipError_tT1_PNSt15iterator_traitsISN_E10value_typeET2_T3_PNSO_IST_E10value_typeET4_T5_PSY_SZ_PNS1_23onesweep_lookback_stateEbbT6_jjT7_P12ihipStream_tbENKUlT_T0_SN_SS_E_clIPjSG_PS9_SI_EEDaS16_S17_SN_SS_EUlS16_E_NS1_11comp_targetILNS1_3genE3ELNS1_11target_archE908ELNS1_3gpuE7ELNS1_3repE0EEENS1_47radix_sort_onesweep_sort_config_static_selectorELNS0_4arch9wavefront6targetE0EEEvSN_
	.p2align	8
	.type	_ZN7rocprim17ROCPRIM_400000_NS6detail17trampoline_kernelINS0_14default_configENS1_35radix_sort_onesweep_config_selectorIjN6thrust23THRUST_200600_302600_NS5tupleIffNS6_9null_typeES8_S8_S8_S8_S8_S8_S8_EEEEZZNS1_29radix_sort_onesweep_iterationIS3_Lb0ENS6_6detail15normal_iteratorINS6_10device_ptrIjEEEESG_NSD_INSE_IS9_EEEESI_jNS0_19identity_decomposerENS1_16block_id_wrapperIjLb1EEEEE10hipError_tT1_PNSt15iterator_traitsISN_E10value_typeET2_T3_PNSO_IST_E10value_typeET4_T5_PSY_SZ_PNS1_23onesweep_lookback_stateEbbT6_jjT7_P12ihipStream_tbENKUlT_T0_SN_SS_E_clIPjSG_PS9_SI_EEDaS16_S17_SN_SS_EUlS16_E_NS1_11comp_targetILNS1_3genE3ELNS1_11target_archE908ELNS1_3gpuE7ELNS1_3repE0EEENS1_47radix_sort_onesweep_sort_config_static_selectorELNS0_4arch9wavefront6targetE0EEEvSN_,@function
_ZN7rocprim17ROCPRIM_400000_NS6detail17trampoline_kernelINS0_14default_configENS1_35radix_sort_onesweep_config_selectorIjN6thrust23THRUST_200600_302600_NS5tupleIffNS6_9null_typeES8_S8_S8_S8_S8_S8_S8_EEEEZZNS1_29radix_sort_onesweep_iterationIS3_Lb0ENS6_6detail15normal_iteratorINS6_10device_ptrIjEEEESG_NSD_INSE_IS9_EEEESI_jNS0_19identity_decomposerENS1_16block_id_wrapperIjLb1EEEEE10hipError_tT1_PNSt15iterator_traitsISN_E10value_typeET2_T3_PNSO_IST_E10value_typeET4_T5_PSY_SZ_PNS1_23onesweep_lookback_stateEbbT6_jjT7_P12ihipStream_tbENKUlT_T0_SN_SS_E_clIPjSG_PS9_SI_EEDaS16_S17_SN_SS_EUlS16_E_NS1_11comp_targetILNS1_3genE3ELNS1_11target_archE908ELNS1_3gpuE7ELNS1_3repE0EEENS1_47radix_sort_onesweep_sort_config_static_selectorELNS0_4arch9wavefront6targetE0EEEvSN_: ; @_ZN7rocprim17ROCPRIM_400000_NS6detail17trampoline_kernelINS0_14default_configENS1_35radix_sort_onesweep_config_selectorIjN6thrust23THRUST_200600_302600_NS5tupleIffNS6_9null_typeES8_S8_S8_S8_S8_S8_S8_EEEEZZNS1_29radix_sort_onesweep_iterationIS3_Lb0ENS6_6detail15normal_iteratorINS6_10device_ptrIjEEEESG_NSD_INSE_IS9_EEEESI_jNS0_19identity_decomposerENS1_16block_id_wrapperIjLb1EEEEE10hipError_tT1_PNSt15iterator_traitsISN_E10value_typeET2_T3_PNSO_IST_E10value_typeET4_T5_PSY_SZ_PNS1_23onesweep_lookback_stateEbbT6_jjT7_P12ihipStream_tbENKUlT_T0_SN_SS_E_clIPjSG_PS9_SI_EEDaS16_S17_SN_SS_EUlS16_E_NS1_11comp_targetILNS1_3genE3ELNS1_11target_archE908ELNS1_3gpuE7ELNS1_3repE0EEENS1_47radix_sort_onesweep_sort_config_static_selectorELNS0_4arch9wavefront6targetE0EEEvSN_
; %bb.0:
	.section	.rodata,"a",@progbits
	.p2align	6, 0x0
	.amdhsa_kernel _ZN7rocprim17ROCPRIM_400000_NS6detail17trampoline_kernelINS0_14default_configENS1_35radix_sort_onesweep_config_selectorIjN6thrust23THRUST_200600_302600_NS5tupleIffNS6_9null_typeES8_S8_S8_S8_S8_S8_S8_EEEEZZNS1_29radix_sort_onesweep_iterationIS3_Lb0ENS6_6detail15normal_iteratorINS6_10device_ptrIjEEEESG_NSD_INSE_IS9_EEEESI_jNS0_19identity_decomposerENS1_16block_id_wrapperIjLb1EEEEE10hipError_tT1_PNSt15iterator_traitsISN_E10value_typeET2_T3_PNSO_IST_E10value_typeET4_T5_PSY_SZ_PNS1_23onesweep_lookback_stateEbbT6_jjT7_P12ihipStream_tbENKUlT_T0_SN_SS_E_clIPjSG_PS9_SI_EEDaS16_S17_SN_SS_EUlS16_E_NS1_11comp_targetILNS1_3genE3ELNS1_11target_archE908ELNS1_3gpuE7ELNS1_3repE0EEENS1_47radix_sort_onesweep_sort_config_static_selectorELNS0_4arch9wavefront6targetE0EEEvSN_
		.amdhsa_group_segment_fixed_size 0
		.amdhsa_private_segment_fixed_size 0
		.amdhsa_kernarg_size 88
		.amdhsa_user_sgpr_count 2
		.amdhsa_user_sgpr_dispatch_ptr 0
		.amdhsa_user_sgpr_queue_ptr 0
		.amdhsa_user_sgpr_kernarg_segment_ptr 1
		.amdhsa_user_sgpr_dispatch_id 0
		.amdhsa_user_sgpr_kernarg_preload_length 0
		.amdhsa_user_sgpr_kernarg_preload_offset 0
		.amdhsa_user_sgpr_private_segment_size 0
		.amdhsa_wavefront_size32 1
		.amdhsa_uses_dynamic_stack 0
		.amdhsa_enable_private_segment 0
		.amdhsa_system_sgpr_workgroup_id_x 1
		.amdhsa_system_sgpr_workgroup_id_y 0
		.amdhsa_system_sgpr_workgroup_id_z 0
		.amdhsa_system_sgpr_workgroup_info 0
		.amdhsa_system_vgpr_workitem_id 0
		.amdhsa_next_free_vgpr 1
		.amdhsa_next_free_sgpr 1
		.amdhsa_named_barrier_count 0
		.amdhsa_reserve_vcc 0
		.amdhsa_float_round_mode_32 0
		.amdhsa_float_round_mode_16_64 0
		.amdhsa_float_denorm_mode_32 3
		.amdhsa_float_denorm_mode_16_64 3
		.amdhsa_fp16_overflow 0
		.amdhsa_memory_ordered 1
		.amdhsa_forward_progress 1
		.amdhsa_inst_pref_size 0
		.amdhsa_round_robin_scheduling 0
		.amdhsa_exception_fp_ieee_invalid_op 0
		.amdhsa_exception_fp_denorm_src 0
		.amdhsa_exception_fp_ieee_div_zero 0
		.amdhsa_exception_fp_ieee_overflow 0
		.amdhsa_exception_fp_ieee_underflow 0
		.amdhsa_exception_fp_ieee_inexact 0
		.amdhsa_exception_int_div_zero 0
	.end_amdhsa_kernel
	.section	.text._ZN7rocprim17ROCPRIM_400000_NS6detail17trampoline_kernelINS0_14default_configENS1_35radix_sort_onesweep_config_selectorIjN6thrust23THRUST_200600_302600_NS5tupleIffNS6_9null_typeES8_S8_S8_S8_S8_S8_S8_EEEEZZNS1_29radix_sort_onesweep_iterationIS3_Lb0ENS6_6detail15normal_iteratorINS6_10device_ptrIjEEEESG_NSD_INSE_IS9_EEEESI_jNS0_19identity_decomposerENS1_16block_id_wrapperIjLb1EEEEE10hipError_tT1_PNSt15iterator_traitsISN_E10value_typeET2_T3_PNSO_IST_E10value_typeET4_T5_PSY_SZ_PNS1_23onesweep_lookback_stateEbbT6_jjT7_P12ihipStream_tbENKUlT_T0_SN_SS_E_clIPjSG_PS9_SI_EEDaS16_S17_SN_SS_EUlS16_E_NS1_11comp_targetILNS1_3genE3ELNS1_11target_archE908ELNS1_3gpuE7ELNS1_3repE0EEENS1_47radix_sort_onesweep_sort_config_static_selectorELNS0_4arch9wavefront6targetE0EEEvSN_,"axG",@progbits,_ZN7rocprim17ROCPRIM_400000_NS6detail17trampoline_kernelINS0_14default_configENS1_35radix_sort_onesweep_config_selectorIjN6thrust23THRUST_200600_302600_NS5tupleIffNS6_9null_typeES8_S8_S8_S8_S8_S8_S8_EEEEZZNS1_29radix_sort_onesweep_iterationIS3_Lb0ENS6_6detail15normal_iteratorINS6_10device_ptrIjEEEESG_NSD_INSE_IS9_EEEESI_jNS0_19identity_decomposerENS1_16block_id_wrapperIjLb1EEEEE10hipError_tT1_PNSt15iterator_traitsISN_E10value_typeET2_T3_PNSO_IST_E10value_typeET4_T5_PSY_SZ_PNS1_23onesweep_lookback_stateEbbT6_jjT7_P12ihipStream_tbENKUlT_T0_SN_SS_E_clIPjSG_PS9_SI_EEDaS16_S17_SN_SS_EUlS16_E_NS1_11comp_targetILNS1_3genE3ELNS1_11target_archE908ELNS1_3gpuE7ELNS1_3repE0EEENS1_47radix_sort_onesweep_sort_config_static_selectorELNS0_4arch9wavefront6targetE0EEEvSN_,comdat
.Lfunc_end198:
	.size	_ZN7rocprim17ROCPRIM_400000_NS6detail17trampoline_kernelINS0_14default_configENS1_35radix_sort_onesweep_config_selectorIjN6thrust23THRUST_200600_302600_NS5tupleIffNS6_9null_typeES8_S8_S8_S8_S8_S8_S8_EEEEZZNS1_29radix_sort_onesweep_iterationIS3_Lb0ENS6_6detail15normal_iteratorINS6_10device_ptrIjEEEESG_NSD_INSE_IS9_EEEESI_jNS0_19identity_decomposerENS1_16block_id_wrapperIjLb1EEEEE10hipError_tT1_PNSt15iterator_traitsISN_E10value_typeET2_T3_PNSO_IST_E10value_typeET4_T5_PSY_SZ_PNS1_23onesweep_lookback_stateEbbT6_jjT7_P12ihipStream_tbENKUlT_T0_SN_SS_E_clIPjSG_PS9_SI_EEDaS16_S17_SN_SS_EUlS16_E_NS1_11comp_targetILNS1_3genE3ELNS1_11target_archE908ELNS1_3gpuE7ELNS1_3repE0EEENS1_47radix_sort_onesweep_sort_config_static_selectorELNS0_4arch9wavefront6targetE0EEEvSN_, .Lfunc_end198-_ZN7rocprim17ROCPRIM_400000_NS6detail17trampoline_kernelINS0_14default_configENS1_35radix_sort_onesweep_config_selectorIjN6thrust23THRUST_200600_302600_NS5tupleIffNS6_9null_typeES8_S8_S8_S8_S8_S8_S8_EEEEZZNS1_29radix_sort_onesweep_iterationIS3_Lb0ENS6_6detail15normal_iteratorINS6_10device_ptrIjEEEESG_NSD_INSE_IS9_EEEESI_jNS0_19identity_decomposerENS1_16block_id_wrapperIjLb1EEEEE10hipError_tT1_PNSt15iterator_traitsISN_E10value_typeET2_T3_PNSO_IST_E10value_typeET4_T5_PSY_SZ_PNS1_23onesweep_lookback_stateEbbT6_jjT7_P12ihipStream_tbENKUlT_T0_SN_SS_E_clIPjSG_PS9_SI_EEDaS16_S17_SN_SS_EUlS16_E_NS1_11comp_targetILNS1_3genE3ELNS1_11target_archE908ELNS1_3gpuE7ELNS1_3repE0EEENS1_47radix_sort_onesweep_sort_config_static_selectorELNS0_4arch9wavefront6targetE0EEEvSN_
                                        ; -- End function
	.set _ZN7rocprim17ROCPRIM_400000_NS6detail17trampoline_kernelINS0_14default_configENS1_35radix_sort_onesweep_config_selectorIjN6thrust23THRUST_200600_302600_NS5tupleIffNS6_9null_typeES8_S8_S8_S8_S8_S8_S8_EEEEZZNS1_29radix_sort_onesweep_iterationIS3_Lb0ENS6_6detail15normal_iteratorINS6_10device_ptrIjEEEESG_NSD_INSE_IS9_EEEESI_jNS0_19identity_decomposerENS1_16block_id_wrapperIjLb1EEEEE10hipError_tT1_PNSt15iterator_traitsISN_E10value_typeET2_T3_PNSO_IST_E10value_typeET4_T5_PSY_SZ_PNS1_23onesweep_lookback_stateEbbT6_jjT7_P12ihipStream_tbENKUlT_T0_SN_SS_E_clIPjSG_PS9_SI_EEDaS16_S17_SN_SS_EUlS16_E_NS1_11comp_targetILNS1_3genE3ELNS1_11target_archE908ELNS1_3gpuE7ELNS1_3repE0EEENS1_47radix_sort_onesweep_sort_config_static_selectorELNS0_4arch9wavefront6targetE0EEEvSN_.num_vgpr, 0
	.set _ZN7rocprim17ROCPRIM_400000_NS6detail17trampoline_kernelINS0_14default_configENS1_35radix_sort_onesweep_config_selectorIjN6thrust23THRUST_200600_302600_NS5tupleIffNS6_9null_typeES8_S8_S8_S8_S8_S8_S8_EEEEZZNS1_29radix_sort_onesweep_iterationIS3_Lb0ENS6_6detail15normal_iteratorINS6_10device_ptrIjEEEESG_NSD_INSE_IS9_EEEESI_jNS0_19identity_decomposerENS1_16block_id_wrapperIjLb1EEEEE10hipError_tT1_PNSt15iterator_traitsISN_E10value_typeET2_T3_PNSO_IST_E10value_typeET4_T5_PSY_SZ_PNS1_23onesweep_lookback_stateEbbT6_jjT7_P12ihipStream_tbENKUlT_T0_SN_SS_E_clIPjSG_PS9_SI_EEDaS16_S17_SN_SS_EUlS16_E_NS1_11comp_targetILNS1_3genE3ELNS1_11target_archE908ELNS1_3gpuE7ELNS1_3repE0EEENS1_47radix_sort_onesweep_sort_config_static_selectorELNS0_4arch9wavefront6targetE0EEEvSN_.num_agpr, 0
	.set _ZN7rocprim17ROCPRIM_400000_NS6detail17trampoline_kernelINS0_14default_configENS1_35radix_sort_onesweep_config_selectorIjN6thrust23THRUST_200600_302600_NS5tupleIffNS6_9null_typeES8_S8_S8_S8_S8_S8_S8_EEEEZZNS1_29radix_sort_onesweep_iterationIS3_Lb0ENS6_6detail15normal_iteratorINS6_10device_ptrIjEEEESG_NSD_INSE_IS9_EEEESI_jNS0_19identity_decomposerENS1_16block_id_wrapperIjLb1EEEEE10hipError_tT1_PNSt15iterator_traitsISN_E10value_typeET2_T3_PNSO_IST_E10value_typeET4_T5_PSY_SZ_PNS1_23onesweep_lookback_stateEbbT6_jjT7_P12ihipStream_tbENKUlT_T0_SN_SS_E_clIPjSG_PS9_SI_EEDaS16_S17_SN_SS_EUlS16_E_NS1_11comp_targetILNS1_3genE3ELNS1_11target_archE908ELNS1_3gpuE7ELNS1_3repE0EEENS1_47radix_sort_onesweep_sort_config_static_selectorELNS0_4arch9wavefront6targetE0EEEvSN_.numbered_sgpr, 0
	.set _ZN7rocprim17ROCPRIM_400000_NS6detail17trampoline_kernelINS0_14default_configENS1_35radix_sort_onesweep_config_selectorIjN6thrust23THRUST_200600_302600_NS5tupleIffNS6_9null_typeES8_S8_S8_S8_S8_S8_S8_EEEEZZNS1_29radix_sort_onesweep_iterationIS3_Lb0ENS6_6detail15normal_iteratorINS6_10device_ptrIjEEEESG_NSD_INSE_IS9_EEEESI_jNS0_19identity_decomposerENS1_16block_id_wrapperIjLb1EEEEE10hipError_tT1_PNSt15iterator_traitsISN_E10value_typeET2_T3_PNSO_IST_E10value_typeET4_T5_PSY_SZ_PNS1_23onesweep_lookback_stateEbbT6_jjT7_P12ihipStream_tbENKUlT_T0_SN_SS_E_clIPjSG_PS9_SI_EEDaS16_S17_SN_SS_EUlS16_E_NS1_11comp_targetILNS1_3genE3ELNS1_11target_archE908ELNS1_3gpuE7ELNS1_3repE0EEENS1_47radix_sort_onesweep_sort_config_static_selectorELNS0_4arch9wavefront6targetE0EEEvSN_.num_named_barrier, 0
	.set _ZN7rocprim17ROCPRIM_400000_NS6detail17trampoline_kernelINS0_14default_configENS1_35radix_sort_onesweep_config_selectorIjN6thrust23THRUST_200600_302600_NS5tupleIffNS6_9null_typeES8_S8_S8_S8_S8_S8_S8_EEEEZZNS1_29radix_sort_onesweep_iterationIS3_Lb0ENS6_6detail15normal_iteratorINS6_10device_ptrIjEEEESG_NSD_INSE_IS9_EEEESI_jNS0_19identity_decomposerENS1_16block_id_wrapperIjLb1EEEEE10hipError_tT1_PNSt15iterator_traitsISN_E10value_typeET2_T3_PNSO_IST_E10value_typeET4_T5_PSY_SZ_PNS1_23onesweep_lookback_stateEbbT6_jjT7_P12ihipStream_tbENKUlT_T0_SN_SS_E_clIPjSG_PS9_SI_EEDaS16_S17_SN_SS_EUlS16_E_NS1_11comp_targetILNS1_3genE3ELNS1_11target_archE908ELNS1_3gpuE7ELNS1_3repE0EEENS1_47radix_sort_onesweep_sort_config_static_selectorELNS0_4arch9wavefront6targetE0EEEvSN_.private_seg_size, 0
	.set _ZN7rocprim17ROCPRIM_400000_NS6detail17trampoline_kernelINS0_14default_configENS1_35radix_sort_onesweep_config_selectorIjN6thrust23THRUST_200600_302600_NS5tupleIffNS6_9null_typeES8_S8_S8_S8_S8_S8_S8_EEEEZZNS1_29radix_sort_onesweep_iterationIS3_Lb0ENS6_6detail15normal_iteratorINS6_10device_ptrIjEEEESG_NSD_INSE_IS9_EEEESI_jNS0_19identity_decomposerENS1_16block_id_wrapperIjLb1EEEEE10hipError_tT1_PNSt15iterator_traitsISN_E10value_typeET2_T3_PNSO_IST_E10value_typeET4_T5_PSY_SZ_PNS1_23onesweep_lookback_stateEbbT6_jjT7_P12ihipStream_tbENKUlT_T0_SN_SS_E_clIPjSG_PS9_SI_EEDaS16_S17_SN_SS_EUlS16_E_NS1_11comp_targetILNS1_3genE3ELNS1_11target_archE908ELNS1_3gpuE7ELNS1_3repE0EEENS1_47radix_sort_onesweep_sort_config_static_selectorELNS0_4arch9wavefront6targetE0EEEvSN_.uses_vcc, 0
	.set _ZN7rocprim17ROCPRIM_400000_NS6detail17trampoline_kernelINS0_14default_configENS1_35radix_sort_onesweep_config_selectorIjN6thrust23THRUST_200600_302600_NS5tupleIffNS6_9null_typeES8_S8_S8_S8_S8_S8_S8_EEEEZZNS1_29radix_sort_onesweep_iterationIS3_Lb0ENS6_6detail15normal_iteratorINS6_10device_ptrIjEEEESG_NSD_INSE_IS9_EEEESI_jNS0_19identity_decomposerENS1_16block_id_wrapperIjLb1EEEEE10hipError_tT1_PNSt15iterator_traitsISN_E10value_typeET2_T3_PNSO_IST_E10value_typeET4_T5_PSY_SZ_PNS1_23onesweep_lookback_stateEbbT6_jjT7_P12ihipStream_tbENKUlT_T0_SN_SS_E_clIPjSG_PS9_SI_EEDaS16_S17_SN_SS_EUlS16_E_NS1_11comp_targetILNS1_3genE3ELNS1_11target_archE908ELNS1_3gpuE7ELNS1_3repE0EEENS1_47radix_sort_onesweep_sort_config_static_selectorELNS0_4arch9wavefront6targetE0EEEvSN_.uses_flat_scratch, 0
	.set _ZN7rocprim17ROCPRIM_400000_NS6detail17trampoline_kernelINS0_14default_configENS1_35radix_sort_onesweep_config_selectorIjN6thrust23THRUST_200600_302600_NS5tupleIffNS6_9null_typeES8_S8_S8_S8_S8_S8_S8_EEEEZZNS1_29radix_sort_onesweep_iterationIS3_Lb0ENS6_6detail15normal_iteratorINS6_10device_ptrIjEEEESG_NSD_INSE_IS9_EEEESI_jNS0_19identity_decomposerENS1_16block_id_wrapperIjLb1EEEEE10hipError_tT1_PNSt15iterator_traitsISN_E10value_typeET2_T3_PNSO_IST_E10value_typeET4_T5_PSY_SZ_PNS1_23onesweep_lookback_stateEbbT6_jjT7_P12ihipStream_tbENKUlT_T0_SN_SS_E_clIPjSG_PS9_SI_EEDaS16_S17_SN_SS_EUlS16_E_NS1_11comp_targetILNS1_3genE3ELNS1_11target_archE908ELNS1_3gpuE7ELNS1_3repE0EEENS1_47radix_sort_onesweep_sort_config_static_selectorELNS0_4arch9wavefront6targetE0EEEvSN_.has_dyn_sized_stack, 0
	.set _ZN7rocprim17ROCPRIM_400000_NS6detail17trampoline_kernelINS0_14default_configENS1_35radix_sort_onesweep_config_selectorIjN6thrust23THRUST_200600_302600_NS5tupleIffNS6_9null_typeES8_S8_S8_S8_S8_S8_S8_EEEEZZNS1_29radix_sort_onesweep_iterationIS3_Lb0ENS6_6detail15normal_iteratorINS6_10device_ptrIjEEEESG_NSD_INSE_IS9_EEEESI_jNS0_19identity_decomposerENS1_16block_id_wrapperIjLb1EEEEE10hipError_tT1_PNSt15iterator_traitsISN_E10value_typeET2_T3_PNSO_IST_E10value_typeET4_T5_PSY_SZ_PNS1_23onesweep_lookback_stateEbbT6_jjT7_P12ihipStream_tbENKUlT_T0_SN_SS_E_clIPjSG_PS9_SI_EEDaS16_S17_SN_SS_EUlS16_E_NS1_11comp_targetILNS1_3genE3ELNS1_11target_archE908ELNS1_3gpuE7ELNS1_3repE0EEENS1_47radix_sort_onesweep_sort_config_static_selectorELNS0_4arch9wavefront6targetE0EEEvSN_.has_recursion, 0
	.set _ZN7rocprim17ROCPRIM_400000_NS6detail17trampoline_kernelINS0_14default_configENS1_35radix_sort_onesweep_config_selectorIjN6thrust23THRUST_200600_302600_NS5tupleIffNS6_9null_typeES8_S8_S8_S8_S8_S8_S8_EEEEZZNS1_29radix_sort_onesweep_iterationIS3_Lb0ENS6_6detail15normal_iteratorINS6_10device_ptrIjEEEESG_NSD_INSE_IS9_EEEESI_jNS0_19identity_decomposerENS1_16block_id_wrapperIjLb1EEEEE10hipError_tT1_PNSt15iterator_traitsISN_E10value_typeET2_T3_PNSO_IST_E10value_typeET4_T5_PSY_SZ_PNS1_23onesweep_lookback_stateEbbT6_jjT7_P12ihipStream_tbENKUlT_T0_SN_SS_E_clIPjSG_PS9_SI_EEDaS16_S17_SN_SS_EUlS16_E_NS1_11comp_targetILNS1_3genE3ELNS1_11target_archE908ELNS1_3gpuE7ELNS1_3repE0EEENS1_47radix_sort_onesweep_sort_config_static_selectorELNS0_4arch9wavefront6targetE0EEEvSN_.has_indirect_call, 0
	.section	.AMDGPU.csdata,"",@progbits
; Kernel info:
; codeLenInByte = 0
; TotalNumSgprs: 0
; NumVgprs: 0
; ScratchSize: 0
; MemoryBound: 0
; FloatMode: 240
; IeeeMode: 1
; LDSByteSize: 0 bytes/workgroup (compile time only)
; SGPRBlocks: 0
; VGPRBlocks: 0
; NumSGPRsForWavesPerEU: 1
; NumVGPRsForWavesPerEU: 1
; NamedBarCnt: 0
; Occupancy: 16
; WaveLimiterHint : 0
; COMPUTE_PGM_RSRC2:SCRATCH_EN: 0
; COMPUTE_PGM_RSRC2:USER_SGPR: 2
; COMPUTE_PGM_RSRC2:TRAP_HANDLER: 0
; COMPUTE_PGM_RSRC2:TGID_X_EN: 1
; COMPUTE_PGM_RSRC2:TGID_Y_EN: 0
; COMPUTE_PGM_RSRC2:TGID_Z_EN: 0
; COMPUTE_PGM_RSRC2:TIDIG_COMP_CNT: 0
	.section	.text._ZN7rocprim17ROCPRIM_400000_NS6detail17trampoline_kernelINS0_14default_configENS1_35radix_sort_onesweep_config_selectorIjN6thrust23THRUST_200600_302600_NS5tupleIffNS6_9null_typeES8_S8_S8_S8_S8_S8_S8_EEEEZZNS1_29radix_sort_onesweep_iterationIS3_Lb0ENS6_6detail15normal_iteratorINS6_10device_ptrIjEEEESG_NSD_INSE_IS9_EEEESI_jNS0_19identity_decomposerENS1_16block_id_wrapperIjLb1EEEEE10hipError_tT1_PNSt15iterator_traitsISN_E10value_typeET2_T3_PNSO_IST_E10value_typeET4_T5_PSY_SZ_PNS1_23onesweep_lookback_stateEbbT6_jjT7_P12ihipStream_tbENKUlT_T0_SN_SS_E_clIPjSG_PS9_SI_EEDaS16_S17_SN_SS_EUlS16_E_NS1_11comp_targetILNS1_3genE10ELNS1_11target_archE1201ELNS1_3gpuE5ELNS1_3repE0EEENS1_47radix_sort_onesweep_sort_config_static_selectorELNS0_4arch9wavefront6targetE0EEEvSN_,"axG",@progbits,_ZN7rocprim17ROCPRIM_400000_NS6detail17trampoline_kernelINS0_14default_configENS1_35radix_sort_onesweep_config_selectorIjN6thrust23THRUST_200600_302600_NS5tupleIffNS6_9null_typeES8_S8_S8_S8_S8_S8_S8_EEEEZZNS1_29radix_sort_onesweep_iterationIS3_Lb0ENS6_6detail15normal_iteratorINS6_10device_ptrIjEEEESG_NSD_INSE_IS9_EEEESI_jNS0_19identity_decomposerENS1_16block_id_wrapperIjLb1EEEEE10hipError_tT1_PNSt15iterator_traitsISN_E10value_typeET2_T3_PNSO_IST_E10value_typeET4_T5_PSY_SZ_PNS1_23onesweep_lookback_stateEbbT6_jjT7_P12ihipStream_tbENKUlT_T0_SN_SS_E_clIPjSG_PS9_SI_EEDaS16_S17_SN_SS_EUlS16_E_NS1_11comp_targetILNS1_3genE10ELNS1_11target_archE1201ELNS1_3gpuE5ELNS1_3repE0EEENS1_47radix_sort_onesweep_sort_config_static_selectorELNS0_4arch9wavefront6targetE0EEEvSN_,comdat
	.protected	_ZN7rocprim17ROCPRIM_400000_NS6detail17trampoline_kernelINS0_14default_configENS1_35radix_sort_onesweep_config_selectorIjN6thrust23THRUST_200600_302600_NS5tupleIffNS6_9null_typeES8_S8_S8_S8_S8_S8_S8_EEEEZZNS1_29radix_sort_onesweep_iterationIS3_Lb0ENS6_6detail15normal_iteratorINS6_10device_ptrIjEEEESG_NSD_INSE_IS9_EEEESI_jNS0_19identity_decomposerENS1_16block_id_wrapperIjLb1EEEEE10hipError_tT1_PNSt15iterator_traitsISN_E10value_typeET2_T3_PNSO_IST_E10value_typeET4_T5_PSY_SZ_PNS1_23onesweep_lookback_stateEbbT6_jjT7_P12ihipStream_tbENKUlT_T0_SN_SS_E_clIPjSG_PS9_SI_EEDaS16_S17_SN_SS_EUlS16_E_NS1_11comp_targetILNS1_3genE10ELNS1_11target_archE1201ELNS1_3gpuE5ELNS1_3repE0EEENS1_47radix_sort_onesweep_sort_config_static_selectorELNS0_4arch9wavefront6targetE0EEEvSN_ ; -- Begin function _ZN7rocprim17ROCPRIM_400000_NS6detail17trampoline_kernelINS0_14default_configENS1_35radix_sort_onesweep_config_selectorIjN6thrust23THRUST_200600_302600_NS5tupleIffNS6_9null_typeES8_S8_S8_S8_S8_S8_S8_EEEEZZNS1_29radix_sort_onesweep_iterationIS3_Lb0ENS6_6detail15normal_iteratorINS6_10device_ptrIjEEEESG_NSD_INSE_IS9_EEEESI_jNS0_19identity_decomposerENS1_16block_id_wrapperIjLb1EEEEE10hipError_tT1_PNSt15iterator_traitsISN_E10value_typeET2_T3_PNSO_IST_E10value_typeET4_T5_PSY_SZ_PNS1_23onesweep_lookback_stateEbbT6_jjT7_P12ihipStream_tbENKUlT_T0_SN_SS_E_clIPjSG_PS9_SI_EEDaS16_S17_SN_SS_EUlS16_E_NS1_11comp_targetILNS1_3genE10ELNS1_11target_archE1201ELNS1_3gpuE5ELNS1_3repE0EEENS1_47radix_sort_onesweep_sort_config_static_selectorELNS0_4arch9wavefront6targetE0EEEvSN_
	.globl	_ZN7rocprim17ROCPRIM_400000_NS6detail17trampoline_kernelINS0_14default_configENS1_35radix_sort_onesweep_config_selectorIjN6thrust23THRUST_200600_302600_NS5tupleIffNS6_9null_typeES8_S8_S8_S8_S8_S8_S8_EEEEZZNS1_29radix_sort_onesweep_iterationIS3_Lb0ENS6_6detail15normal_iteratorINS6_10device_ptrIjEEEESG_NSD_INSE_IS9_EEEESI_jNS0_19identity_decomposerENS1_16block_id_wrapperIjLb1EEEEE10hipError_tT1_PNSt15iterator_traitsISN_E10value_typeET2_T3_PNSO_IST_E10value_typeET4_T5_PSY_SZ_PNS1_23onesweep_lookback_stateEbbT6_jjT7_P12ihipStream_tbENKUlT_T0_SN_SS_E_clIPjSG_PS9_SI_EEDaS16_S17_SN_SS_EUlS16_E_NS1_11comp_targetILNS1_3genE10ELNS1_11target_archE1201ELNS1_3gpuE5ELNS1_3repE0EEENS1_47radix_sort_onesweep_sort_config_static_selectorELNS0_4arch9wavefront6targetE0EEEvSN_
	.p2align	8
	.type	_ZN7rocprim17ROCPRIM_400000_NS6detail17trampoline_kernelINS0_14default_configENS1_35radix_sort_onesweep_config_selectorIjN6thrust23THRUST_200600_302600_NS5tupleIffNS6_9null_typeES8_S8_S8_S8_S8_S8_S8_EEEEZZNS1_29radix_sort_onesweep_iterationIS3_Lb0ENS6_6detail15normal_iteratorINS6_10device_ptrIjEEEESG_NSD_INSE_IS9_EEEESI_jNS0_19identity_decomposerENS1_16block_id_wrapperIjLb1EEEEE10hipError_tT1_PNSt15iterator_traitsISN_E10value_typeET2_T3_PNSO_IST_E10value_typeET4_T5_PSY_SZ_PNS1_23onesweep_lookback_stateEbbT6_jjT7_P12ihipStream_tbENKUlT_T0_SN_SS_E_clIPjSG_PS9_SI_EEDaS16_S17_SN_SS_EUlS16_E_NS1_11comp_targetILNS1_3genE10ELNS1_11target_archE1201ELNS1_3gpuE5ELNS1_3repE0EEENS1_47radix_sort_onesweep_sort_config_static_selectorELNS0_4arch9wavefront6targetE0EEEvSN_,@function
_ZN7rocprim17ROCPRIM_400000_NS6detail17trampoline_kernelINS0_14default_configENS1_35radix_sort_onesweep_config_selectorIjN6thrust23THRUST_200600_302600_NS5tupleIffNS6_9null_typeES8_S8_S8_S8_S8_S8_S8_EEEEZZNS1_29radix_sort_onesweep_iterationIS3_Lb0ENS6_6detail15normal_iteratorINS6_10device_ptrIjEEEESG_NSD_INSE_IS9_EEEESI_jNS0_19identity_decomposerENS1_16block_id_wrapperIjLb1EEEEE10hipError_tT1_PNSt15iterator_traitsISN_E10value_typeET2_T3_PNSO_IST_E10value_typeET4_T5_PSY_SZ_PNS1_23onesweep_lookback_stateEbbT6_jjT7_P12ihipStream_tbENKUlT_T0_SN_SS_E_clIPjSG_PS9_SI_EEDaS16_S17_SN_SS_EUlS16_E_NS1_11comp_targetILNS1_3genE10ELNS1_11target_archE1201ELNS1_3gpuE5ELNS1_3repE0EEENS1_47radix_sort_onesweep_sort_config_static_selectorELNS0_4arch9wavefront6targetE0EEEvSN_: ; @_ZN7rocprim17ROCPRIM_400000_NS6detail17trampoline_kernelINS0_14default_configENS1_35radix_sort_onesweep_config_selectorIjN6thrust23THRUST_200600_302600_NS5tupleIffNS6_9null_typeES8_S8_S8_S8_S8_S8_S8_EEEEZZNS1_29radix_sort_onesweep_iterationIS3_Lb0ENS6_6detail15normal_iteratorINS6_10device_ptrIjEEEESG_NSD_INSE_IS9_EEEESI_jNS0_19identity_decomposerENS1_16block_id_wrapperIjLb1EEEEE10hipError_tT1_PNSt15iterator_traitsISN_E10value_typeET2_T3_PNSO_IST_E10value_typeET4_T5_PSY_SZ_PNS1_23onesweep_lookback_stateEbbT6_jjT7_P12ihipStream_tbENKUlT_T0_SN_SS_E_clIPjSG_PS9_SI_EEDaS16_S17_SN_SS_EUlS16_E_NS1_11comp_targetILNS1_3genE10ELNS1_11target_archE1201ELNS1_3gpuE5ELNS1_3repE0EEENS1_47radix_sort_onesweep_sort_config_static_selectorELNS0_4arch9wavefront6targetE0EEEvSN_
; %bb.0:
	.section	.rodata,"a",@progbits
	.p2align	6, 0x0
	.amdhsa_kernel _ZN7rocprim17ROCPRIM_400000_NS6detail17trampoline_kernelINS0_14default_configENS1_35radix_sort_onesweep_config_selectorIjN6thrust23THRUST_200600_302600_NS5tupleIffNS6_9null_typeES8_S8_S8_S8_S8_S8_S8_EEEEZZNS1_29radix_sort_onesweep_iterationIS3_Lb0ENS6_6detail15normal_iteratorINS6_10device_ptrIjEEEESG_NSD_INSE_IS9_EEEESI_jNS0_19identity_decomposerENS1_16block_id_wrapperIjLb1EEEEE10hipError_tT1_PNSt15iterator_traitsISN_E10value_typeET2_T3_PNSO_IST_E10value_typeET4_T5_PSY_SZ_PNS1_23onesweep_lookback_stateEbbT6_jjT7_P12ihipStream_tbENKUlT_T0_SN_SS_E_clIPjSG_PS9_SI_EEDaS16_S17_SN_SS_EUlS16_E_NS1_11comp_targetILNS1_3genE10ELNS1_11target_archE1201ELNS1_3gpuE5ELNS1_3repE0EEENS1_47radix_sort_onesweep_sort_config_static_selectorELNS0_4arch9wavefront6targetE0EEEvSN_
		.amdhsa_group_segment_fixed_size 0
		.amdhsa_private_segment_fixed_size 0
		.amdhsa_kernarg_size 88
		.amdhsa_user_sgpr_count 2
		.amdhsa_user_sgpr_dispatch_ptr 0
		.amdhsa_user_sgpr_queue_ptr 0
		.amdhsa_user_sgpr_kernarg_segment_ptr 1
		.amdhsa_user_sgpr_dispatch_id 0
		.amdhsa_user_sgpr_kernarg_preload_length 0
		.amdhsa_user_sgpr_kernarg_preload_offset 0
		.amdhsa_user_sgpr_private_segment_size 0
		.amdhsa_wavefront_size32 1
		.amdhsa_uses_dynamic_stack 0
		.amdhsa_enable_private_segment 0
		.amdhsa_system_sgpr_workgroup_id_x 1
		.amdhsa_system_sgpr_workgroup_id_y 0
		.amdhsa_system_sgpr_workgroup_id_z 0
		.amdhsa_system_sgpr_workgroup_info 0
		.amdhsa_system_vgpr_workitem_id 0
		.amdhsa_next_free_vgpr 1
		.amdhsa_next_free_sgpr 1
		.amdhsa_named_barrier_count 0
		.amdhsa_reserve_vcc 0
		.amdhsa_float_round_mode_32 0
		.amdhsa_float_round_mode_16_64 0
		.amdhsa_float_denorm_mode_32 3
		.amdhsa_float_denorm_mode_16_64 3
		.amdhsa_fp16_overflow 0
		.amdhsa_memory_ordered 1
		.amdhsa_forward_progress 1
		.amdhsa_inst_pref_size 0
		.amdhsa_round_robin_scheduling 0
		.amdhsa_exception_fp_ieee_invalid_op 0
		.amdhsa_exception_fp_denorm_src 0
		.amdhsa_exception_fp_ieee_div_zero 0
		.amdhsa_exception_fp_ieee_overflow 0
		.amdhsa_exception_fp_ieee_underflow 0
		.amdhsa_exception_fp_ieee_inexact 0
		.amdhsa_exception_int_div_zero 0
	.end_amdhsa_kernel
	.section	.text._ZN7rocprim17ROCPRIM_400000_NS6detail17trampoline_kernelINS0_14default_configENS1_35radix_sort_onesweep_config_selectorIjN6thrust23THRUST_200600_302600_NS5tupleIffNS6_9null_typeES8_S8_S8_S8_S8_S8_S8_EEEEZZNS1_29radix_sort_onesweep_iterationIS3_Lb0ENS6_6detail15normal_iteratorINS6_10device_ptrIjEEEESG_NSD_INSE_IS9_EEEESI_jNS0_19identity_decomposerENS1_16block_id_wrapperIjLb1EEEEE10hipError_tT1_PNSt15iterator_traitsISN_E10value_typeET2_T3_PNSO_IST_E10value_typeET4_T5_PSY_SZ_PNS1_23onesweep_lookback_stateEbbT6_jjT7_P12ihipStream_tbENKUlT_T0_SN_SS_E_clIPjSG_PS9_SI_EEDaS16_S17_SN_SS_EUlS16_E_NS1_11comp_targetILNS1_3genE10ELNS1_11target_archE1201ELNS1_3gpuE5ELNS1_3repE0EEENS1_47radix_sort_onesweep_sort_config_static_selectorELNS0_4arch9wavefront6targetE0EEEvSN_,"axG",@progbits,_ZN7rocprim17ROCPRIM_400000_NS6detail17trampoline_kernelINS0_14default_configENS1_35radix_sort_onesweep_config_selectorIjN6thrust23THRUST_200600_302600_NS5tupleIffNS6_9null_typeES8_S8_S8_S8_S8_S8_S8_EEEEZZNS1_29radix_sort_onesweep_iterationIS3_Lb0ENS6_6detail15normal_iteratorINS6_10device_ptrIjEEEESG_NSD_INSE_IS9_EEEESI_jNS0_19identity_decomposerENS1_16block_id_wrapperIjLb1EEEEE10hipError_tT1_PNSt15iterator_traitsISN_E10value_typeET2_T3_PNSO_IST_E10value_typeET4_T5_PSY_SZ_PNS1_23onesweep_lookback_stateEbbT6_jjT7_P12ihipStream_tbENKUlT_T0_SN_SS_E_clIPjSG_PS9_SI_EEDaS16_S17_SN_SS_EUlS16_E_NS1_11comp_targetILNS1_3genE10ELNS1_11target_archE1201ELNS1_3gpuE5ELNS1_3repE0EEENS1_47radix_sort_onesweep_sort_config_static_selectorELNS0_4arch9wavefront6targetE0EEEvSN_,comdat
.Lfunc_end199:
	.size	_ZN7rocprim17ROCPRIM_400000_NS6detail17trampoline_kernelINS0_14default_configENS1_35radix_sort_onesweep_config_selectorIjN6thrust23THRUST_200600_302600_NS5tupleIffNS6_9null_typeES8_S8_S8_S8_S8_S8_S8_EEEEZZNS1_29radix_sort_onesweep_iterationIS3_Lb0ENS6_6detail15normal_iteratorINS6_10device_ptrIjEEEESG_NSD_INSE_IS9_EEEESI_jNS0_19identity_decomposerENS1_16block_id_wrapperIjLb1EEEEE10hipError_tT1_PNSt15iterator_traitsISN_E10value_typeET2_T3_PNSO_IST_E10value_typeET4_T5_PSY_SZ_PNS1_23onesweep_lookback_stateEbbT6_jjT7_P12ihipStream_tbENKUlT_T0_SN_SS_E_clIPjSG_PS9_SI_EEDaS16_S17_SN_SS_EUlS16_E_NS1_11comp_targetILNS1_3genE10ELNS1_11target_archE1201ELNS1_3gpuE5ELNS1_3repE0EEENS1_47radix_sort_onesweep_sort_config_static_selectorELNS0_4arch9wavefront6targetE0EEEvSN_, .Lfunc_end199-_ZN7rocprim17ROCPRIM_400000_NS6detail17trampoline_kernelINS0_14default_configENS1_35radix_sort_onesweep_config_selectorIjN6thrust23THRUST_200600_302600_NS5tupleIffNS6_9null_typeES8_S8_S8_S8_S8_S8_S8_EEEEZZNS1_29radix_sort_onesweep_iterationIS3_Lb0ENS6_6detail15normal_iteratorINS6_10device_ptrIjEEEESG_NSD_INSE_IS9_EEEESI_jNS0_19identity_decomposerENS1_16block_id_wrapperIjLb1EEEEE10hipError_tT1_PNSt15iterator_traitsISN_E10value_typeET2_T3_PNSO_IST_E10value_typeET4_T5_PSY_SZ_PNS1_23onesweep_lookback_stateEbbT6_jjT7_P12ihipStream_tbENKUlT_T0_SN_SS_E_clIPjSG_PS9_SI_EEDaS16_S17_SN_SS_EUlS16_E_NS1_11comp_targetILNS1_3genE10ELNS1_11target_archE1201ELNS1_3gpuE5ELNS1_3repE0EEENS1_47radix_sort_onesweep_sort_config_static_selectorELNS0_4arch9wavefront6targetE0EEEvSN_
                                        ; -- End function
	.set _ZN7rocprim17ROCPRIM_400000_NS6detail17trampoline_kernelINS0_14default_configENS1_35radix_sort_onesweep_config_selectorIjN6thrust23THRUST_200600_302600_NS5tupleIffNS6_9null_typeES8_S8_S8_S8_S8_S8_S8_EEEEZZNS1_29radix_sort_onesweep_iterationIS3_Lb0ENS6_6detail15normal_iteratorINS6_10device_ptrIjEEEESG_NSD_INSE_IS9_EEEESI_jNS0_19identity_decomposerENS1_16block_id_wrapperIjLb1EEEEE10hipError_tT1_PNSt15iterator_traitsISN_E10value_typeET2_T3_PNSO_IST_E10value_typeET4_T5_PSY_SZ_PNS1_23onesweep_lookback_stateEbbT6_jjT7_P12ihipStream_tbENKUlT_T0_SN_SS_E_clIPjSG_PS9_SI_EEDaS16_S17_SN_SS_EUlS16_E_NS1_11comp_targetILNS1_3genE10ELNS1_11target_archE1201ELNS1_3gpuE5ELNS1_3repE0EEENS1_47radix_sort_onesweep_sort_config_static_selectorELNS0_4arch9wavefront6targetE0EEEvSN_.num_vgpr, 0
	.set _ZN7rocprim17ROCPRIM_400000_NS6detail17trampoline_kernelINS0_14default_configENS1_35radix_sort_onesweep_config_selectorIjN6thrust23THRUST_200600_302600_NS5tupleIffNS6_9null_typeES8_S8_S8_S8_S8_S8_S8_EEEEZZNS1_29radix_sort_onesweep_iterationIS3_Lb0ENS6_6detail15normal_iteratorINS6_10device_ptrIjEEEESG_NSD_INSE_IS9_EEEESI_jNS0_19identity_decomposerENS1_16block_id_wrapperIjLb1EEEEE10hipError_tT1_PNSt15iterator_traitsISN_E10value_typeET2_T3_PNSO_IST_E10value_typeET4_T5_PSY_SZ_PNS1_23onesweep_lookback_stateEbbT6_jjT7_P12ihipStream_tbENKUlT_T0_SN_SS_E_clIPjSG_PS9_SI_EEDaS16_S17_SN_SS_EUlS16_E_NS1_11comp_targetILNS1_3genE10ELNS1_11target_archE1201ELNS1_3gpuE5ELNS1_3repE0EEENS1_47radix_sort_onesweep_sort_config_static_selectorELNS0_4arch9wavefront6targetE0EEEvSN_.num_agpr, 0
	.set _ZN7rocprim17ROCPRIM_400000_NS6detail17trampoline_kernelINS0_14default_configENS1_35radix_sort_onesweep_config_selectorIjN6thrust23THRUST_200600_302600_NS5tupleIffNS6_9null_typeES8_S8_S8_S8_S8_S8_S8_EEEEZZNS1_29radix_sort_onesweep_iterationIS3_Lb0ENS6_6detail15normal_iteratorINS6_10device_ptrIjEEEESG_NSD_INSE_IS9_EEEESI_jNS0_19identity_decomposerENS1_16block_id_wrapperIjLb1EEEEE10hipError_tT1_PNSt15iterator_traitsISN_E10value_typeET2_T3_PNSO_IST_E10value_typeET4_T5_PSY_SZ_PNS1_23onesweep_lookback_stateEbbT6_jjT7_P12ihipStream_tbENKUlT_T0_SN_SS_E_clIPjSG_PS9_SI_EEDaS16_S17_SN_SS_EUlS16_E_NS1_11comp_targetILNS1_3genE10ELNS1_11target_archE1201ELNS1_3gpuE5ELNS1_3repE0EEENS1_47radix_sort_onesweep_sort_config_static_selectorELNS0_4arch9wavefront6targetE0EEEvSN_.numbered_sgpr, 0
	.set _ZN7rocprim17ROCPRIM_400000_NS6detail17trampoline_kernelINS0_14default_configENS1_35radix_sort_onesweep_config_selectorIjN6thrust23THRUST_200600_302600_NS5tupleIffNS6_9null_typeES8_S8_S8_S8_S8_S8_S8_EEEEZZNS1_29radix_sort_onesweep_iterationIS3_Lb0ENS6_6detail15normal_iteratorINS6_10device_ptrIjEEEESG_NSD_INSE_IS9_EEEESI_jNS0_19identity_decomposerENS1_16block_id_wrapperIjLb1EEEEE10hipError_tT1_PNSt15iterator_traitsISN_E10value_typeET2_T3_PNSO_IST_E10value_typeET4_T5_PSY_SZ_PNS1_23onesweep_lookback_stateEbbT6_jjT7_P12ihipStream_tbENKUlT_T0_SN_SS_E_clIPjSG_PS9_SI_EEDaS16_S17_SN_SS_EUlS16_E_NS1_11comp_targetILNS1_3genE10ELNS1_11target_archE1201ELNS1_3gpuE5ELNS1_3repE0EEENS1_47radix_sort_onesweep_sort_config_static_selectorELNS0_4arch9wavefront6targetE0EEEvSN_.num_named_barrier, 0
	.set _ZN7rocprim17ROCPRIM_400000_NS6detail17trampoline_kernelINS0_14default_configENS1_35radix_sort_onesweep_config_selectorIjN6thrust23THRUST_200600_302600_NS5tupleIffNS6_9null_typeES8_S8_S8_S8_S8_S8_S8_EEEEZZNS1_29radix_sort_onesweep_iterationIS3_Lb0ENS6_6detail15normal_iteratorINS6_10device_ptrIjEEEESG_NSD_INSE_IS9_EEEESI_jNS0_19identity_decomposerENS1_16block_id_wrapperIjLb1EEEEE10hipError_tT1_PNSt15iterator_traitsISN_E10value_typeET2_T3_PNSO_IST_E10value_typeET4_T5_PSY_SZ_PNS1_23onesweep_lookback_stateEbbT6_jjT7_P12ihipStream_tbENKUlT_T0_SN_SS_E_clIPjSG_PS9_SI_EEDaS16_S17_SN_SS_EUlS16_E_NS1_11comp_targetILNS1_3genE10ELNS1_11target_archE1201ELNS1_3gpuE5ELNS1_3repE0EEENS1_47radix_sort_onesweep_sort_config_static_selectorELNS0_4arch9wavefront6targetE0EEEvSN_.private_seg_size, 0
	.set _ZN7rocprim17ROCPRIM_400000_NS6detail17trampoline_kernelINS0_14default_configENS1_35radix_sort_onesweep_config_selectorIjN6thrust23THRUST_200600_302600_NS5tupleIffNS6_9null_typeES8_S8_S8_S8_S8_S8_S8_EEEEZZNS1_29radix_sort_onesweep_iterationIS3_Lb0ENS6_6detail15normal_iteratorINS6_10device_ptrIjEEEESG_NSD_INSE_IS9_EEEESI_jNS0_19identity_decomposerENS1_16block_id_wrapperIjLb1EEEEE10hipError_tT1_PNSt15iterator_traitsISN_E10value_typeET2_T3_PNSO_IST_E10value_typeET4_T5_PSY_SZ_PNS1_23onesweep_lookback_stateEbbT6_jjT7_P12ihipStream_tbENKUlT_T0_SN_SS_E_clIPjSG_PS9_SI_EEDaS16_S17_SN_SS_EUlS16_E_NS1_11comp_targetILNS1_3genE10ELNS1_11target_archE1201ELNS1_3gpuE5ELNS1_3repE0EEENS1_47radix_sort_onesweep_sort_config_static_selectorELNS0_4arch9wavefront6targetE0EEEvSN_.uses_vcc, 0
	.set _ZN7rocprim17ROCPRIM_400000_NS6detail17trampoline_kernelINS0_14default_configENS1_35radix_sort_onesweep_config_selectorIjN6thrust23THRUST_200600_302600_NS5tupleIffNS6_9null_typeES8_S8_S8_S8_S8_S8_S8_EEEEZZNS1_29radix_sort_onesweep_iterationIS3_Lb0ENS6_6detail15normal_iteratorINS6_10device_ptrIjEEEESG_NSD_INSE_IS9_EEEESI_jNS0_19identity_decomposerENS1_16block_id_wrapperIjLb1EEEEE10hipError_tT1_PNSt15iterator_traitsISN_E10value_typeET2_T3_PNSO_IST_E10value_typeET4_T5_PSY_SZ_PNS1_23onesweep_lookback_stateEbbT6_jjT7_P12ihipStream_tbENKUlT_T0_SN_SS_E_clIPjSG_PS9_SI_EEDaS16_S17_SN_SS_EUlS16_E_NS1_11comp_targetILNS1_3genE10ELNS1_11target_archE1201ELNS1_3gpuE5ELNS1_3repE0EEENS1_47radix_sort_onesweep_sort_config_static_selectorELNS0_4arch9wavefront6targetE0EEEvSN_.uses_flat_scratch, 0
	.set _ZN7rocprim17ROCPRIM_400000_NS6detail17trampoline_kernelINS0_14default_configENS1_35radix_sort_onesweep_config_selectorIjN6thrust23THRUST_200600_302600_NS5tupleIffNS6_9null_typeES8_S8_S8_S8_S8_S8_S8_EEEEZZNS1_29radix_sort_onesweep_iterationIS3_Lb0ENS6_6detail15normal_iteratorINS6_10device_ptrIjEEEESG_NSD_INSE_IS9_EEEESI_jNS0_19identity_decomposerENS1_16block_id_wrapperIjLb1EEEEE10hipError_tT1_PNSt15iterator_traitsISN_E10value_typeET2_T3_PNSO_IST_E10value_typeET4_T5_PSY_SZ_PNS1_23onesweep_lookback_stateEbbT6_jjT7_P12ihipStream_tbENKUlT_T0_SN_SS_E_clIPjSG_PS9_SI_EEDaS16_S17_SN_SS_EUlS16_E_NS1_11comp_targetILNS1_3genE10ELNS1_11target_archE1201ELNS1_3gpuE5ELNS1_3repE0EEENS1_47radix_sort_onesweep_sort_config_static_selectorELNS0_4arch9wavefront6targetE0EEEvSN_.has_dyn_sized_stack, 0
	.set _ZN7rocprim17ROCPRIM_400000_NS6detail17trampoline_kernelINS0_14default_configENS1_35radix_sort_onesweep_config_selectorIjN6thrust23THRUST_200600_302600_NS5tupleIffNS6_9null_typeES8_S8_S8_S8_S8_S8_S8_EEEEZZNS1_29radix_sort_onesweep_iterationIS3_Lb0ENS6_6detail15normal_iteratorINS6_10device_ptrIjEEEESG_NSD_INSE_IS9_EEEESI_jNS0_19identity_decomposerENS1_16block_id_wrapperIjLb1EEEEE10hipError_tT1_PNSt15iterator_traitsISN_E10value_typeET2_T3_PNSO_IST_E10value_typeET4_T5_PSY_SZ_PNS1_23onesweep_lookback_stateEbbT6_jjT7_P12ihipStream_tbENKUlT_T0_SN_SS_E_clIPjSG_PS9_SI_EEDaS16_S17_SN_SS_EUlS16_E_NS1_11comp_targetILNS1_3genE10ELNS1_11target_archE1201ELNS1_3gpuE5ELNS1_3repE0EEENS1_47radix_sort_onesweep_sort_config_static_selectorELNS0_4arch9wavefront6targetE0EEEvSN_.has_recursion, 0
	.set _ZN7rocprim17ROCPRIM_400000_NS6detail17trampoline_kernelINS0_14default_configENS1_35radix_sort_onesweep_config_selectorIjN6thrust23THRUST_200600_302600_NS5tupleIffNS6_9null_typeES8_S8_S8_S8_S8_S8_S8_EEEEZZNS1_29radix_sort_onesweep_iterationIS3_Lb0ENS6_6detail15normal_iteratorINS6_10device_ptrIjEEEESG_NSD_INSE_IS9_EEEESI_jNS0_19identity_decomposerENS1_16block_id_wrapperIjLb1EEEEE10hipError_tT1_PNSt15iterator_traitsISN_E10value_typeET2_T3_PNSO_IST_E10value_typeET4_T5_PSY_SZ_PNS1_23onesweep_lookback_stateEbbT6_jjT7_P12ihipStream_tbENKUlT_T0_SN_SS_E_clIPjSG_PS9_SI_EEDaS16_S17_SN_SS_EUlS16_E_NS1_11comp_targetILNS1_3genE10ELNS1_11target_archE1201ELNS1_3gpuE5ELNS1_3repE0EEENS1_47radix_sort_onesweep_sort_config_static_selectorELNS0_4arch9wavefront6targetE0EEEvSN_.has_indirect_call, 0
	.section	.AMDGPU.csdata,"",@progbits
; Kernel info:
; codeLenInByte = 0
; TotalNumSgprs: 0
; NumVgprs: 0
; ScratchSize: 0
; MemoryBound: 0
; FloatMode: 240
; IeeeMode: 1
; LDSByteSize: 0 bytes/workgroup (compile time only)
; SGPRBlocks: 0
; VGPRBlocks: 0
; NumSGPRsForWavesPerEU: 1
; NumVGPRsForWavesPerEU: 1
; NamedBarCnt: 0
; Occupancy: 16
; WaveLimiterHint : 0
; COMPUTE_PGM_RSRC2:SCRATCH_EN: 0
; COMPUTE_PGM_RSRC2:USER_SGPR: 2
; COMPUTE_PGM_RSRC2:TRAP_HANDLER: 0
; COMPUTE_PGM_RSRC2:TGID_X_EN: 1
; COMPUTE_PGM_RSRC2:TGID_Y_EN: 0
; COMPUTE_PGM_RSRC2:TGID_Z_EN: 0
; COMPUTE_PGM_RSRC2:TIDIG_COMP_CNT: 0
	.section	.text._ZN7rocprim17ROCPRIM_400000_NS6detail17trampoline_kernelINS0_14default_configENS1_35radix_sort_onesweep_config_selectorIjN6thrust23THRUST_200600_302600_NS5tupleIffNS6_9null_typeES8_S8_S8_S8_S8_S8_S8_EEEEZZNS1_29radix_sort_onesweep_iterationIS3_Lb0ENS6_6detail15normal_iteratorINS6_10device_ptrIjEEEESG_NSD_INSE_IS9_EEEESI_jNS0_19identity_decomposerENS1_16block_id_wrapperIjLb1EEEEE10hipError_tT1_PNSt15iterator_traitsISN_E10value_typeET2_T3_PNSO_IST_E10value_typeET4_T5_PSY_SZ_PNS1_23onesweep_lookback_stateEbbT6_jjT7_P12ihipStream_tbENKUlT_T0_SN_SS_E_clIPjSG_PS9_SI_EEDaS16_S17_SN_SS_EUlS16_E_NS1_11comp_targetILNS1_3genE9ELNS1_11target_archE1100ELNS1_3gpuE3ELNS1_3repE0EEENS1_47radix_sort_onesweep_sort_config_static_selectorELNS0_4arch9wavefront6targetE0EEEvSN_,"axG",@progbits,_ZN7rocprim17ROCPRIM_400000_NS6detail17trampoline_kernelINS0_14default_configENS1_35radix_sort_onesweep_config_selectorIjN6thrust23THRUST_200600_302600_NS5tupleIffNS6_9null_typeES8_S8_S8_S8_S8_S8_S8_EEEEZZNS1_29radix_sort_onesweep_iterationIS3_Lb0ENS6_6detail15normal_iteratorINS6_10device_ptrIjEEEESG_NSD_INSE_IS9_EEEESI_jNS0_19identity_decomposerENS1_16block_id_wrapperIjLb1EEEEE10hipError_tT1_PNSt15iterator_traitsISN_E10value_typeET2_T3_PNSO_IST_E10value_typeET4_T5_PSY_SZ_PNS1_23onesweep_lookback_stateEbbT6_jjT7_P12ihipStream_tbENKUlT_T0_SN_SS_E_clIPjSG_PS9_SI_EEDaS16_S17_SN_SS_EUlS16_E_NS1_11comp_targetILNS1_3genE9ELNS1_11target_archE1100ELNS1_3gpuE3ELNS1_3repE0EEENS1_47radix_sort_onesweep_sort_config_static_selectorELNS0_4arch9wavefront6targetE0EEEvSN_,comdat
	.protected	_ZN7rocprim17ROCPRIM_400000_NS6detail17trampoline_kernelINS0_14default_configENS1_35radix_sort_onesweep_config_selectorIjN6thrust23THRUST_200600_302600_NS5tupleIffNS6_9null_typeES8_S8_S8_S8_S8_S8_S8_EEEEZZNS1_29radix_sort_onesweep_iterationIS3_Lb0ENS6_6detail15normal_iteratorINS6_10device_ptrIjEEEESG_NSD_INSE_IS9_EEEESI_jNS0_19identity_decomposerENS1_16block_id_wrapperIjLb1EEEEE10hipError_tT1_PNSt15iterator_traitsISN_E10value_typeET2_T3_PNSO_IST_E10value_typeET4_T5_PSY_SZ_PNS1_23onesweep_lookback_stateEbbT6_jjT7_P12ihipStream_tbENKUlT_T0_SN_SS_E_clIPjSG_PS9_SI_EEDaS16_S17_SN_SS_EUlS16_E_NS1_11comp_targetILNS1_3genE9ELNS1_11target_archE1100ELNS1_3gpuE3ELNS1_3repE0EEENS1_47radix_sort_onesweep_sort_config_static_selectorELNS0_4arch9wavefront6targetE0EEEvSN_ ; -- Begin function _ZN7rocprim17ROCPRIM_400000_NS6detail17trampoline_kernelINS0_14default_configENS1_35radix_sort_onesweep_config_selectorIjN6thrust23THRUST_200600_302600_NS5tupleIffNS6_9null_typeES8_S8_S8_S8_S8_S8_S8_EEEEZZNS1_29radix_sort_onesweep_iterationIS3_Lb0ENS6_6detail15normal_iteratorINS6_10device_ptrIjEEEESG_NSD_INSE_IS9_EEEESI_jNS0_19identity_decomposerENS1_16block_id_wrapperIjLb1EEEEE10hipError_tT1_PNSt15iterator_traitsISN_E10value_typeET2_T3_PNSO_IST_E10value_typeET4_T5_PSY_SZ_PNS1_23onesweep_lookback_stateEbbT6_jjT7_P12ihipStream_tbENKUlT_T0_SN_SS_E_clIPjSG_PS9_SI_EEDaS16_S17_SN_SS_EUlS16_E_NS1_11comp_targetILNS1_3genE9ELNS1_11target_archE1100ELNS1_3gpuE3ELNS1_3repE0EEENS1_47radix_sort_onesweep_sort_config_static_selectorELNS0_4arch9wavefront6targetE0EEEvSN_
	.globl	_ZN7rocprim17ROCPRIM_400000_NS6detail17trampoline_kernelINS0_14default_configENS1_35radix_sort_onesweep_config_selectorIjN6thrust23THRUST_200600_302600_NS5tupleIffNS6_9null_typeES8_S8_S8_S8_S8_S8_S8_EEEEZZNS1_29radix_sort_onesweep_iterationIS3_Lb0ENS6_6detail15normal_iteratorINS6_10device_ptrIjEEEESG_NSD_INSE_IS9_EEEESI_jNS0_19identity_decomposerENS1_16block_id_wrapperIjLb1EEEEE10hipError_tT1_PNSt15iterator_traitsISN_E10value_typeET2_T3_PNSO_IST_E10value_typeET4_T5_PSY_SZ_PNS1_23onesweep_lookback_stateEbbT6_jjT7_P12ihipStream_tbENKUlT_T0_SN_SS_E_clIPjSG_PS9_SI_EEDaS16_S17_SN_SS_EUlS16_E_NS1_11comp_targetILNS1_3genE9ELNS1_11target_archE1100ELNS1_3gpuE3ELNS1_3repE0EEENS1_47radix_sort_onesweep_sort_config_static_selectorELNS0_4arch9wavefront6targetE0EEEvSN_
	.p2align	8
	.type	_ZN7rocprim17ROCPRIM_400000_NS6detail17trampoline_kernelINS0_14default_configENS1_35radix_sort_onesweep_config_selectorIjN6thrust23THRUST_200600_302600_NS5tupleIffNS6_9null_typeES8_S8_S8_S8_S8_S8_S8_EEEEZZNS1_29radix_sort_onesweep_iterationIS3_Lb0ENS6_6detail15normal_iteratorINS6_10device_ptrIjEEEESG_NSD_INSE_IS9_EEEESI_jNS0_19identity_decomposerENS1_16block_id_wrapperIjLb1EEEEE10hipError_tT1_PNSt15iterator_traitsISN_E10value_typeET2_T3_PNSO_IST_E10value_typeET4_T5_PSY_SZ_PNS1_23onesweep_lookback_stateEbbT6_jjT7_P12ihipStream_tbENKUlT_T0_SN_SS_E_clIPjSG_PS9_SI_EEDaS16_S17_SN_SS_EUlS16_E_NS1_11comp_targetILNS1_3genE9ELNS1_11target_archE1100ELNS1_3gpuE3ELNS1_3repE0EEENS1_47radix_sort_onesweep_sort_config_static_selectorELNS0_4arch9wavefront6targetE0EEEvSN_,@function
_ZN7rocprim17ROCPRIM_400000_NS6detail17trampoline_kernelINS0_14default_configENS1_35radix_sort_onesweep_config_selectorIjN6thrust23THRUST_200600_302600_NS5tupleIffNS6_9null_typeES8_S8_S8_S8_S8_S8_S8_EEEEZZNS1_29radix_sort_onesweep_iterationIS3_Lb0ENS6_6detail15normal_iteratorINS6_10device_ptrIjEEEESG_NSD_INSE_IS9_EEEESI_jNS0_19identity_decomposerENS1_16block_id_wrapperIjLb1EEEEE10hipError_tT1_PNSt15iterator_traitsISN_E10value_typeET2_T3_PNSO_IST_E10value_typeET4_T5_PSY_SZ_PNS1_23onesweep_lookback_stateEbbT6_jjT7_P12ihipStream_tbENKUlT_T0_SN_SS_E_clIPjSG_PS9_SI_EEDaS16_S17_SN_SS_EUlS16_E_NS1_11comp_targetILNS1_3genE9ELNS1_11target_archE1100ELNS1_3gpuE3ELNS1_3repE0EEENS1_47radix_sort_onesweep_sort_config_static_selectorELNS0_4arch9wavefront6targetE0EEEvSN_: ; @_ZN7rocprim17ROCPRIM_400000_NS6detail17trampoline_kernelINS0_14default_configENS1_35radix_sort_onesweep_config_selectorIjN6thrust23THRUST_200600_302600_NS5tupleIffNS6_9null_typeES8_S8_S8_S8_S8_S8_S8_EEEEZZNS1_29radix_sort_onesweep_iterationIS3_Lb0ENS6_6detail15normal_iteratorINS6_10device_ptrIjEEEESG_NSD_INSE_IS9_EEEESI_jNS0_19identity_decomposerENS1_16block_id_wrapperIjLb1EEEEE10hipError_tT1_PNSt15iterator_traitsISN_E10value_typeET2_T3_PNSO_IST_E10value_typeET4_T5_PSY_SZ_PNS1_23onesweep_lookback_stateEbbT6_jjT7_P12ihipStream_tbENKUlT_T0_SN_SS_E_clIPjSG_PS9_SI_EEDaS16_S17_SN_SS_EUlS16_E_NS1_11comp_targetILNS1_3genE9ELNS1_11target_archE1100ELNS1_3gpuE3ELNS1_3repE0EEENS1_47radix_sort_onesweep_sort_config_static_selectorELNS0_4arch9wavefront6targetE0EEEvSN_
; %bb.0:
	.section	.rodata,"a",@progbits
	.p2align	6, 0x0
	.amdhsa_kernel _ZN7rocprim17ROCPRIM_400000_NS6detail17trampoline_kernelINS0_14default_configENS1_35radix_sort_onesweep_config_selectorIjN6thrust23THRUST_200600_302600_NS5tupleIffNS6_9null_typeES8_S8_S8_S8_S8_S8_S8_EEEEZZNS1_29radix_sort_onesweep_iterationIS3_Lb0ENS6_6detail15normal_iteratorINS6_10device_ptrIjEEEESG_NSD_INSE_IS9_EEEESI_jNS0_19identity_decomposerENS1_16block_id_wrapperIjLb1EEEEE10hipError_tT1_PNSt15iterator_traitsISN_E10value_typeET2_T3_PNSO_IST_E10value_typeET4_T5_PSY_SZ_PNS1_23onesweep_lookback_stateEbbT6_jjT7_P12ihipStream_tbENKUlT_T0_SN_SS_E_clIPjSG_PS9_SI_EEDaS16_S17_SN_SS_EUlS16_E_NS1_11comp_targetILNS1_3genE9ELNS1_11target_archE1100ELNS1_3gpuE3ELNS1_3repE0EEENS1_47radix_sort_onesweep_sort_config_static_selectorELNS0_4arch9wavefront6targetE0EEEvSN_
		.amdhsa_group_segment_fixed_size 0
		.amdhsa_private_segment_fixed_size 0
		.amdhsa_kernarg_size 88
		.amdhsa_user_sgpr_count 2
		.amdhsa_user_sgpr_dispatch_ptr 0
		.amdhsa_user_sgpr_queue_ptr 0
		.amdhsa_user_sgpr_kernarg_segment_ptr 1
		.amdhsa_user_sgpr_dispatch_id 0
		.amdhsa_user_sgpr_kernarg_preload_length 0
		.amdhsa_user_sgpr_kernarg_preload_offset 0
		.amdhsa_user_sgpr_private_segment_size 0
		.amdhsa_wavefront_size32 1
		.amdhsa_uses_dynamic_stack 0
		.amdhsa_enable_private_segment 0
		.amdhsa_system_sgpr_workgroup_id_x 1
		.amdhsa_system_sgpr_workgroup_id_y 0
		.amdhsa_system_sgpr_workgroup_id_z 0
		.amdhsa_system_sgpr_workgroup_info 0
		.amdhsa_system_vgpr_workitem_id 0
		.amdhsa_next_free_vgpr 1
		.amdhsa_next_free_sgpr 1
		.amdhsa_named_barrier_count 0
		.amdhsa_reserve_vcc 0
		.amdhsa_float_round_mode_32 0
		.amdhsa_float_round_mode_16_64 0
		.amdhsa_float_denorm_mode_32 3
		.amdhsa_float_denorm_mode_16_64 3
		.amdhsa_fp16_overflow 0
		.amdhsa_memory_ordered 1
		.amdhsa_forward_progress 1
		.amdhsa_inst_pref_size 0
		.amdhsa_round_robin_scheduling 0
		.amdhsa_exception_fp_ieee_invalid_op 0
		.amdhsa_exception_fp_denorm_src 0
		.amdhsa_exception_fp_ieee_div_zero 0
		.amdhsa_exception_fp_ieee_overflow 0
		.amdhsa_exception_fp_ieee_underflow 0
		.amdhsa_exception_fp_ieee_inexact 0
		.amdhsa_exception_int_div_zero 0
	.end_amdhsa_kernel
	.section	.text._ZN7rocprim17ROCPRIM_400000_NS6detail17trampoline_kernelINS0_14default_configENS1_35radix_sort_onesweep_config_selectorIjN6thrust23THRUST_200600_302600_NS5tupleIffNS6_9null_typeES8_S8_S8_S8_S8_S8_S8_EEEEZZNS1_29radix_sort_onesweep_iterationIS3_Lb0ENS6_6detail15normal_iteratorINS6_10device_ptrIjEEEESG_NSD_INSE_IS9_EEEESI_jNS0_19identity_decomposerENS1_16block_id_wrapperIjLb1EEEEE10hipError_tT1_PNSt15iterator_traitsISN_E10value_typeET2_T3_PNSO_IST_E10value_typeET4_T5_PSY_SZ_PNS1_23onesweep_lookback_stateEbbT6_jjT7_P12ihipStream_tbENKUlT_T0_SN_SS_E_clIPjSG_PS9_SI_EEDaS16_S17_SN_SS_EUlS16_E_NS1_11comp_targetILNS1_3genE9ELNS1_11target_archE1100ELNS1_3gpuE3ELNS1_3repE0EEENS1_47radix_sort_onesweep_sort_config_static_selectorELNS0_4arch9wavefront6targetE0EEEvSN_,"axG",@progbits,_ZN7rocprim17ROCPRIM_400000_NS6detail17trampoline_kernelINS0_14default_configENS1_35radix_sort_onesweep_config_selectorIjN6thrust23THRUST_200600_302600_NS5tupleIffNS6_9null_typeES8_S8_S8_S8_S8_S8_S8_EEEEZZNS1_29radix_sort_onesweep_iterationIS3_Lb0ENS6_6detail15normal_iteratorINS6_10device_ptrIjEEEESG_NSD_INSE_IS9_EEEESI_jNS0_19identity_decomposerENS1_16block_id_wrapperIjLb1EEEEE10hipError_tT1_PNSt15iterator_traitsISN_E10value_typeET2_T3_PNSO_IST_E10value_typeET4_T5_PSY_SZ_PNS1_23onesweep_lookback_stateEbbT6_jjT7_P12ihipStream_tbENKUlT_T0_SN_SS_E_clIPjSG_PS9_SI_EEDaS16_S17_SN_SS_EUlS16_E_NS1_11comp_targetILNS1_3genE9ELNS1_11target_archE1100ELNS1_3gpuE3ELNS1_3repE0EEENS1_47radix_sort_onesweep_sort_config_static_selectorELNS0_4arch9wavefront6targetE0EEEvSN_,comdat
.Lfunc_end200:
	.size	_ZN7rocprim17ROCPRIM_400000_NS6detail17trampoline_kernelINS0_14default_configENS1_35radix_sort_onesweep_config_selectorIjN6thrust23THRUST_200600_302600_NS5tupleIffNS6_9null_typeES8_S8_S8_S8_S8_S8_S8_EEEEZZNS1_29radix_sort_onesweep_iterationIS3_Lb0ENS6_6detail15normal_iteratorINS6_10device_ptrIjEEEESG_NSD_INSE_IS9_EEEESI_jNS0_19identity_decomposerENS1_16block_id_wrapperIjLb1EEEEE10hipError_tT1_PNSt15iterator_traitsISN_E10value_typeET2_T3_PNSO_IST_E10value_typeET4_T5_PSY_SZ_PNS1_23onesweep_lookback_stateEbbT6_jjT7_P12ihipStream_tbENKUlT_T0_SN_SS_E_clIPjSG_PS9_SI_EEDaS16_S17_SN_SS_EUlS16_E_NS1_11comp_targetILNS1_3genE9ELNS1_11target_archE1100ELNS1_3gpuE3ELNS1_3repE0EEENS1_47radix_sort_onesweep_sort_config_static_selectorELNS0_4arch9wavefront6targetE0EEEvSN_, .Lfunc_end200-_ZN7rocprim17ROCPRIM_400000_NS6detail17trampoline_kernelINS0_14default_configENS1_35radix_sort_onesweep_config_selectorIjN6thrust23THRUST_200600_302600_NS5tupleIffNS6_9null_typeES8_S8_S8_S8_S8_S8_S8_EEEEZZNS1_29radix_sort_onesweep_iterationIS3_Lb0ENS6_6detail15normal_iteratorINS6_10device_ptrIjEEEESG_NSD_INSE_IS9_EEEESI_jNS0_19identity_decomposerENS1_16block_id_wrapperIjLb1EEEEE10hipError_tT1_PNSt15iterator_traitsISN_E10value_typeET2_T3_PNSO_IST_E10value_typeET4_T5_PSY_SZ_PNS1_23onesweep_lookback_stateEbbT6_jjT7_P12ihipStream_tbENKUlT_T0_SN_SS_E_clIPjSG_PS9_SI_EEDaS16_S17_SN_SS_EUlS16_E_NS1_11comp_targetILNS1_3genE9ELNS1_11target_archE1100ELNS1_3gpuE3ELNS1_3repE0EEENS1_47radix_sort_onesweep_sort_config_static_selectorELNS0_4arch9wavefront6targetE0EEEvSN_
                                        ; -- End function
	.set _ZN7rocprim17ROCPRIM_400000_NS6detail17trampoline_kernelINS0_14default_configENS1_35radix_sort_onesweep_config_selectorIjN6thrust23THRUST_200600_302600_NS5tupleIffNS6_9null_typeES8_S8_S8_S8_S8_S8_S8_EEEEZZNS1_29radix_sort_onesweep_iterationIS3_Lb0ENS6_6detail15normal_iteratorINS6_10device_ptrIjEEEESG_NSD_INSE_IS9_EEEESI_jNS0_19identity_decomposerENS1_16block_id_wrapperIjLb1EEEEE10hipError_tT1_PNSt15iterator_traitsISN_E10value_typeET2_T3_PNSO_IST_E10value_typeET4_T5_PSY_SZ_PNS1_23onesweep_lookback_stateEbbT6_jjT7_P12ihipStream_tbENKUlT_T0_SN_SS_E_clIPjSG_PS9_SI_EEDaS16_S17_SN_SS_EUlS16_E_NS1_11comp_targetILNS1_3genE9ELNS1_11target_archE1100ELNS1_3gpuE3ELNS1_3repE0EEENS1_47radix_sort_onesweep_sort_config_static_selectorELNS0_4arch9wavefront6targetE0EEEvSN_.num_vgpr, 0
	.set _ZN7rocprim17ROCPRIM_400000_NS6detail17trampoline_kernelINS0_14default_configENS1_35radix_sort_onesweep_config_selectorIjN6thrust23THRUST_200600_302600_NS5tupleIffNS6_9null_typeES8_S8_S8_S8_S8_S8_S8_EEEEZZNS1_29radix_sort_onesweep_iterationIS3_Lb0ENS6_6detail15normal_iteratorINS6_10device_ptrIjEEEESG_NSD_INSE_IS9_EEEESI_jNS0_19identity_decomposerENS1_16block_id_wrapperIjLb1EEEEE10hipError_tT1_PNSt15iterator_traitsISN_E10value_typeET2_T3_PNSO_IST_E10value_typeET4_T5_PSY_SZ_PNS1_23onesweep_lookback_stateEbbT6_jjT7_P12ihipStream_tbENKUlT_T0_SN_SS_E_clIPjSG_PS9_SI_EEDaS16_S17_SN_SS_EUlS16_E_NS1_11comp_targetILNS1_3genE9ELNS1_11target_archE1100ELNS1_3gpuE3ELNS1_3repE0EEENS1_47radix_sort_onesweep_sort_config_static_selectorELNS0_4arch9wavefront6targetE0EEEvSN_.num_agpr, 0
	.set _ZN7rocprim17ROCPRIM_400000_NS6detail17trampoline_kernelINS0_14default_configENS1_35radix_sort_onesweep_config_selectorIjN6thrust23THRUST_200600_302600_NS5tupleIffNS6_9null_typeES8_S8_S8_S8_S8_S8_S8_EEEEZZNS1_29radix_sort_onesweep_iterationIS3_Lb0ENS6_6detail15normal_iteratorINS6_10device_ptrIjEEEESG_NSD_INSE_IS9_EEEESI_jNS0_19identity_decomposerENS1_16block_id_wrapperIjLb1EEEEE10hipError_tT1_PNSt15iterator_traitsISN_E10value_typeET2_T3_PNSO_IST_E10value_typeET4_T5_PSY_SZ_PNS1_23onesweep_lookback_stateEbbT6_jjT7_P12ihipStream_tbENKUlT_T0_SN_SS_E_clIPjSG_PS9_SI_EEDaS16_S17_SN_SS_EUlS16_E_NS1_11comp_targetILNS1_3genE9ELNS1_11target_archE1100ELNS1_3gpuE3ELNS1_3repE0EEENS1_47radix_sort_onesweep_sort_config_static_selectorELNS0_4arch9wavefront6targetE0EEEvSN_.numbered_sgpr, 0
	.set _ZN7rocprim17ROCPRIM_400000_NS6detail17trampoline_kernelINS0_14default_configENS1_35radix_sort_onesweep_config_selectorIjN6thrust23THRUST_200600_302600_NS5tupleIffNS6_9null_typeES8_S8_S8_S8_S8_S8_S8_EEEEZZNS1_29radix_sort_onesweep_iterationIS3_Lb0ENS6_6detail15normal_iteratorINS6_10device_ptrIjEEEESG_NSD_INSE_IS9_EEEESI_jNS0_19identity_decomposerENS1_16block_id_wrapperIjLb1EEEEE10hipError_tT1_PNSt15iterator_traitsISN_E10value_typeET2_T3_PNSO_IST_E10value_typeET4_T5_PSY_SZ_PNS1_23onesweep_lookback_stateEbbT6_jjT7_P12ihipStream_tbENKUlT_T0_SN_SS_E_clIPjSG_PS9_SI_EEDaS16_S17_SN_SS_EUlS16_E_NS1_11comp_targetILNS1_3genE9ELNS1_11target_archE1100ELNS1_3gpuE3ELNS1_3repE0EEENS1_47radix_sort_onesweep_sort_config_static_selectorELNS0_4arch9wavefront6targetE0EEEvSN_.num_named_barrier, 0
	.set _ZN7rocprim17ROCPRIM_400000_NS6detail17trampoline_kernelINS0_14default_configENS1_35radix_sort_onesweep_config_selectorIjN6thrust23THRUST_200600_302600_NS5tupleIffNS6_9null_typeES8_S8_S8_S8_S8_S8_S8_EEEEZZNS1_29radix_sort_onesweep_iterationIS3_Lb0ENS6_6detail15normal_iteratorINS6_10device_ptrIjEEEESG_NSD_INSE_IS9_EEEESI_jNS0_19identity_decomposerENS1_16block_id_wrapperIjLb1EEEEE10hipError_tT1_PNSt15iterator_traitsISN_E10value_typeET2_T3_PNSO_IST_E10value_typeET4_T5_PSY_SZ_PNS1_23onesweep_lookback_stateEbbT6_jjT7_P12ihipStream_tbENKUlT_T0_SN_SS_E_clIPjSG_PS9_SI_EEDaS16_S17_SN_SS_EUlS16_E_NS1_11comp_targetILNS1_3genE9ELNS1_11target_archE1100ELNS1_3gpuE3ELNS1_3repE0EEENS1_47radix_sort_onesweep_sort_config_static_selectorELNS0_4arch9wavefront6targetE0EEEvSN_.private_seg_size, 0
	.set _ZN7rocprim17ROCPRIM_400000_NS6detail17trampoline_kernelINS0_14default_configENS1_35radix_sort_onesweep_config_selectorIjN6thrust23THRUST_200600_302600_NS5tupleIffNS6_9null_typeES8_S8_S8_S8_S8_S8_S8_EEEEZZNS1_29radix_sort_onesweep_iterationIS3_Lb0ENS6_6detail15normal_iteratorINS6_10device_ptrIjEEEESG_NSD_INSE_IS9_EEEESI_jNS0_19identity_decomposerENS1_16block_id_wrapperIjLb1EEEEE10hipError_tT1_PNSt15iterator_traitsISN_E10value_typeET2_T3_PNSO_IST_E10value_typeET4_T5_PSY_SZ_PNS1_23onesweep_lookback_stateEbbT6_jjT7_P12ihipStream_tbENKUlT_T0_SN_SS_E_clIPjSG_PS9_SI_EEDaS16_S17_SN_SS_EUlS16_E_NS1_11comp_targetILNS1_3genE9ELNS1_11target_archE1100ELNS1_3gpuE3ELNS1_3repE0EEENS1_47radix_sort_onesweep_sort_config_static_selectorELNS0_4arch9wavefront6targetE0EEEvSN_.uses_vcc, 0
	.set _ZN7rocprim17ROCPRIM_400000_NS6detail17trampoline_kernelINS0_14default_configENS1_35radix_sort_onesweep_config_selectorIjN6thrust23THRUST_200600_302600_NS5tupleIffNS6_9null_typeES8_S8_S8_S8_S8_S8_S8_EEEEZZNS1_29radix_sort_onesweep_iterationIS3_Lb0ENS6_6detail15normal_iteratorINS6_10device_ptrIjEEEESG_NSD_INSE_IS9_EEEESI_jNS0_19identity_decomposerENS1_16block_id_wrapperIjLb1EEEEE10hipError_tT1_PNSt15iterator_traitsISN_E10value_typeET2_T3_PNSO_IST_E10value_typeET4_T5_PSY_SZ_PNS1_23onesweep_lookback_stateEbbT6_jjT7_P12ihipStream_tbENKUlT_T0_SN_SS_E_clIPjSG_PS9_SI_EEDaS16_S17_SN_SS_EUlS16_E_NS1_11comp_targetILNS1_3genE9ELNS1_11target_archE1100ELNS1_3gpuE3ELNS1_3repE0EEENS1_47radix_sort_onesweep_sort_config_static_selectorELNS0_4arch9wavefront6targetE0EEEvSN_.uses_flat_scratch, 0
	.set _ZN7rocprim17ROCPRIM_400000_NS6detail17trampoline_kernelINS0_14default_configENS1_35radix_sort_onesweep_config_selectorIjN6thrust23THRUST_200600_302600_NS5tupleIffNS6_9null_typeES8_S8_S8_S8_S8_S8_S8_EEEEZZNS1_29radix_sort_onesweep_iterationIS3_Lb0ENS6_6detail15normal_iteratorINS6_10device_ptrIjEEEESG_NSD_INSE_IS9_EEEESI_jNS0_19identity_decomposerENS1_16block_id_wrapperIjLb1EEEEE10hipError_tT1_PNSt15iterator_traitsISN_E10value_typeET2_T3_PNSO_IST_E10value_typeET4_T5_PSY_SZ_PNS1_23onesweep_lookback_stateEbbT6_jjT7_P12ihipStream_tbENKUlT_T0_SN_SS_E_clIPjSG_PS9_SI_EEDaS16_S17_SN_SS_EUlS16_E_NS1_11comp_targetILNS1_3genE9ELNS1_11target_archE1100ELNS1_3gpuE3ELNS1_3repE0EEENS1_47radix_sort_onesweep_sort_config_static_selectorELNS0_4arch9wavefront6targetE0EEEvSN_.has_dyn_sized_stack, 0
	.set _ZN7rocprim17ROCPRIM_400000_NS6detail17trampoline_kernelINS0_14default_configENS1_35radix_sort_onesweep_config_selectorIjN6thrust23THRUST_200600_302600_NS5tupleIffNS6_9null_typeES8_S8_S8_S8_S8_S8_S8_EEEEZZNS1_29radix_sort_onesweep_iterationIS3_Lb0ENS6_6detail15normal_iteratorINS6_10device_ptrIjEEEESG_NSD_INSE_IS9_EEEESI_jNS0_19identity_decomposerENS1_16block_id_wrapperIjLb1EEEEE10hipError_tT1_PNSt15iterator_traitsISN_E10value_typeET2_T3_PNSO_IST_E10value_typeET4_T5_PSY_SZ_PNS1_23onesweep_lookback_stateEbbT6_jjT7_P12ihipStream_tbENKUlT_T0_SN_SS_E_clIPjSG_PS9_SI_EEDaS16_S17_SN_SS_EUlS16_E_NS1_11comp_targetILNS1_3genE9ELNS1_11target_archE1100ELNS1_3gpuE3ELNS1_3repE0EEENS1_47radix_sort_onesweep_sort_config_static_selectorELNS0_4arch9wavefront6targetE0EEEvSN_.has_recursion, 0
	.set _ZN7rocprim17ROCPRIM_400000_NS6detail17trampoline_kernelINS0_14default_configENS1_35radix_sort_onesweep_config_selectorIjN6thrust23THRUST_200600_302600_NS5tupleIffNS6_9null_typeES8_S8_S8_S8_S8_S8_S8_EEEEZZNS1_29radix_sort_onesweep_iterationIS3_Lb0ENS6_6detail15normal_iteratorINS6_10device_ptrIjEEEESG_NSD_INSE_IS9_EEEESI_jNS0_19identity_decomposerENS1_16block_id_wrapperIjLb1EEEEE10hipError_tT1_PNSt15iterator_traitsISN_E10value_typeET2_T3_PNSO_IST_E10value_typeET4_T5_PSY_SZ_PNS1_23onesweep_lookback_stateEbbT6_jjT7_P12ihipStream_tbENKUlT_T0_SN_SS_E_clIPjSG_PS9_SI_EEDaS16_S17_SN_SS_EUlS16_E_NS1_11comp_targetILNS1_3genE9ELNS1_11target_archE1100ELNS1_3gpuE3ELNS1_3repE0EEENS1_47radix_sort_onesweep_sort_config_static_selectorELNS0_4arch9wavefront6targetE0EEEvSN_.has_indirect_call, 0
	.section	.AMDGPU.csdata,"",@progbits
; Kernel info:
; codeLenInByte = 0
; TotalNumSgprs: 0
; NumVgprs: 0
; ScratchSize: 0
; MemoryBound: 0
; FloatMode: 240
; IeeeMode: 1
; LDSByteSize: 0 bytes/workgroup (compile time only)
; SGPRBlocks: 0
; VGPRBlocks: 0
; NumSGPRsForWavesPerEU: 1
; NumVGPRsForWavesPerEU: 1
; NamedBarCnt: 0
; Occupancy: 16
; WaveLimiterHint : 0
; COMPUTE_PGM_RSRC2:SCRATCH_EN: 0
; COMPUTE_PGM_RSRC2:USER_SGPR: 2
; COMPUTE_PGM_RSRC2:TRAP_HANDLER: 0
; COMPUTE_PGM_RSRC2:TGID_X_EN: 1
; COMPUTE_PGM_RSRC2:TGID_Y_EN: 0
; COMPUTE_PGM_RSRC2:TGID_Z_EN: 0
; COMPUTE_PGM_RSRC2:TIDIG_COMP_CNT: 0
	.section	.text._ZN7rocprim17ROCPRIM_400000_NS6detail17trampoline_kernelINS0_14default_configENS1_35radix_sort_onesweep_config_selectorIjN6thrust23THRUST_200600_302600_NS5tupleIffNS6_9null_typeES8_S8_S8_S8_S8_S8_S8_EEEEZZNS1_29radix_sort_onesweep_iterationIS3_Lb0ENS6_6detail15normal_iteratorINS6_10device_ptrIjEEEESG_NSD_INSE_IS9_EEEESI_jNS0_19identity_decomposerENS1_16block_id_wrapperIjLb1EEEEE10hipError_tT1_PNSt15iterator_traitsISN_E10value_typeET2_T3_PNSO_IST_E10value_typeET4_T5_PSY_SZ_PNS1_23onesweep_lookback_stateEbbT6_jjT7_P12ihipStream_tbENKUlT_T0_SN_SS_E_clIPjSG_PS9_SI_EEDaS16_S17_SN_SS_EUlS16_E_NS1_11comp_targetILNS1_3genE8ELNS1_11target_archE1030ELNS1_3gpuE2ELNS1_3repE0EEENS1_47radix_sort_onesweep_sort_config_static_selectorELNS0_4arch9wavefront6targetE0EEEvSN_,"axG",@progbits,_ZN7rocprim17ROCPRIM_400000_NS6detail17trampoline_kernelINS0_14default_configENS1_35radix_sort_onesweep_config_selectorIjN6thrust23THRUST_200600_302600_NS5tupleIffNS6_9null_typeES8_S8_S8_S8_S8_S8_S8_EEEEZZNS1_29radix_sort_onesweep_iterationIS3_Lb0ENS6_6detail15normal_iteratorINS6_10device_ptrIjEEEESG_NSD_INSE_IS9_EEEESI_jNS0_19identity_decomposerENS1_16block_id_wrapperIjLb1EEEEE10hipError_tT1_PNSt15iterator_traitsISN_E10value_typeET2_T3_PNSO_IST_E10value_typeET4_T5_PSY_SZ_PNS1_23onesweep_lookback_stateEbbT6_jjT7_P12ihipStream_tbENKUlT_T0_SN_SS_E_clIPjSG_PS9_SI_EEDaS16_S17_SN_SS_EUlS16_E_NS1_11comp_targetILNS1_3genE8ELNS1_11target_archE1030ELNS1_3gpuE2ELNS1_3repE0EEENS1_47radix_sort_onesweep_sort_config_static_selectorELNS0_4arch9wavefront6targetE0EEEvSN_,comdat
	.protected	_ZN7rocprim17ROCPRIM_400000_NS6detail17trampoline_kernelINS0_14default_configENS1_35radix_sort_onesweep_config_selectorIjN6thrust23THRUST_200600_302600_NS5tupleIffNS6_9null_typeES8_S8_S8_S8_S8_S8_S8_EEEEZZNS1_29radix_sort_onesweep_iterationIS3_Lb0ENS6_6detail15normal_iteratorINS6_10device_ptrIjEEEESG_NSD_INSE_IS9_EEEESI_jNS0_19identity_decomposerENS1_16block_id_wrapperIjLb1EEEEE10hipError_tT1_PNSt15iterator_traitsISN_E10value_typeET2_T3_PNSO_IST_E10value_typeET4_T5_PSY_SZ_PNS1_23onesweep_lookback_stateEbbT6_jjT7_P12ihipStream_tbENKUlT_T0_SN_SS_E_clIPjSG_PS9_SI_EEDaS16_S17_SN_SS_EUlS16_E_NS1_11comp_targetILNS1_3genE8ELNS1_11target_archE1030ELNS1_3gpuE2ELNS1_3repE0EEENS1_47radix_sort_onesweep_sort_config_static_selectorELNS0_4arch9wavefront6targetE0EEEvSN_ ; -- Begin function _ZN7rocprim17ROCPRIM_400000_NS6detail17trampoline_kernelINS0_14default_configENS1_35radix_sort_onesweep_config_selectorIjN6thrust23THRUST_200600_302600_NS5tupleIffNS6_9null_typeES8_S8_S8_S8_S8_S8_S8_EEEEZZNS1_29radix_sort_onesweep_iterationIS3_Lb0ENS6_6detail15normal_iteratorINS6_10device_ptrIjEEEESG_NSD_INSE_IS9_EEEESI_jNS0_19identity_decomposerENS1_16block_id_wrapperIjLb1EEEEE10hipError_tT1_PNSt15iterator_traitsISN_E10value_typeET2_T3_PNSO_IST_E10value_typeET4_T5_PSY_SZ_PNS1_23onesweep_lookback_stateEbbT6_jjT7_P12ihipStream_tbENKUlT_T0_SN_SS_E_clIPjSG_PS9_SI_EEDaS16_S17_SN_SS_EUlS16_E_NS1_11comp_targetILNS1_3genE8ELNS1_11target_archE1030ELNS1_3gpuE2ELNS1_3repE0EEENS1_47radix_sort_onesweep_sort_config_static_selectorELNS0_4arch9wavefront6targetE0EEEvSN_
	.globl	_ZN7rocprim17ROCPRIM_400000_NS6detail17trampoline_kernelINS0_14default_configENS1_35radix_sort_onesweep_config_selectorIjN6thrust23THRUST_200600_302600_NS5tupleIffNS6_9null_typeES8_S8_S8_S8_S8_S8_S8_EEEEZZNS1_29radix_sort_onesweep_iterationIS3_Lb0ENS6_6detail15normal_iteratorINS6_10device_ptrIjEEEESG_NSD_INSE_IS9_EEEESI_jNS0_19identity_decomposerENS1_16block_id_wrapperIjLb1EEEEE10hipError_tT1_PNSt15iterator_traitsISN_E10value_typeET2_T3_PNSO_IST_E10value_typeET4_T5_PSY_SZ_PNS1_23onesweep_lookback_stateEbbT6_jjT7_P12ihipStream_tbENKUlT_T0_SN_SS_E_clIPjSG_PS9_SI_EEDaS16_S17_SN_SS_EUlS16_E_NS1_11comp_targetILNS1_3genE8ELNS1_11target_archE1030ELNS1_3gpuE2ELNS1_3repE0EEENS1_47radix_sort_onesweep_sort_config_static_selectorELNS0_4arch9wavefront6targetE0EEEvSN_
	.p2align	8
	.type	_ZN7rocprim17ROCPRIM_400000_NS6detail17trampoline_kernelINS0_14default_configENS1_35radix_sort_onesweep_config_selectorIjN6thrust23THRUST_200600_302600_NS5tupleIffNS6_9null_typeES8_S8_S8_S8_S8_S8_S8_EEEEZZNS1_29radix_sort_onesweep_iterationIS3_Lb0ENS6_6detail15normal_iteratorINS6_10device_ptrIjEEEESG_NSD_INSE_IS9_EEEESI_jNS0_19identity_decomposerENS1_16block_id_wrapperIjLb1EEEEE10hipError_tT1_PNSt15iterator_traitsISN_E10value_typeET2_T3_PNSO_IST_E10value_typeET4_T5_PSY_SZ_PNS1_23onesweep_lookback_stateEbbT6_jjT7_P12ihipStream_tbENKUlT_T0_SN_SS_E_clIPjSG_PS9_SI_EEDaS16_S17_SN_SS_EUlS16_E_NS1_11comp_targetILNS1_3genE8ELNS1_11target_archE1030ELNS1_3gpuE2ELNS1_3repE0EEENS1_47radix_sort_onesweep_sort_config_static_selectorELNS0_4arch9wavefront6targetE0EEEvSN_,@function
_ZN7rocprim17ROCPRIM_400000_NS6detail17trampoline_kernelINS0_14default_configENS1_35radix_sort_onesweep_config_selectorIjN6thrust23THRUST_200600_302600_NS5tupleIffNS6_9null_typeES8_S8_S8_S8_S8_S8_S8_EEEEZZNS1_29radix_sort_onesweep_iterationIS3_Lb0ENS6_6detail15normal_iteratorINS6_10device_ptrIjEEEESG_NSD_INSE_IS9_EEEESI_jNS0_19identity_decomposerENS1_16block_id_wrapperIjLb1EEEEE10hipError_tT1_PNSt15iterator_traitsISN_E10value_typeET2_T3_PNSO_IST_E10value_typeET4_T5_PSY_SZ_PNS1_23onesweep_lookback_stateEbbT6_jjT7_P12ihipStream_tbENKUlT_T0_SN_SS_E_clIPjSG_PS9_SI_EEDaS16_S17_SN_SS_EUlS16_E_NS1_11comp_targetILNS1_3genE8ELNS1_11target_archE1030ELNS1_3gpuE2ELNS1_3repE0EEENS1_47radix_sort_onesweep_sort_config_static_selectorELNS0_4arch9wavefront6targetE0EEEvSN_: ; @_ZN7rocprim17ROCPRIM_400000_NS6detail17trampoline_kernelINS0_14default_configENS1_35radix_sort_onesweep_config_selectorIjN6thrust23THRUST_200600_302600_NS5tupleIffNS6_9null_typeES8_S8_S8_S8_S8_S8_S8_EEEEZZNS1_29radix_sort_onesweep_iterationIS3_Lb0ENS6_6detail15normal_iteratorINS6_10device_ptrIjEEEESG_NSD_INSE_IS9_EEEESI_jNS0_19identity_decomposerENS1_16block_id_wrapperIjLb1EEEEE10hipError_tT1_PNSt15iterator_traitsISN_E10value_typeET2_T3_PNSO_IST_E10value_typeET4_T5_PSY_SZ_PNS1_23onesweep_lookback_stateEbbT6_jjT7_P12ihipStream_tbENKUlT_T0_SN_SS_E_clIPjSG_PS9_SI_EEDaS16_S17_SN_SS_EUlS16_E_NS1_11comp_targetILNS1_3genE8ELNS1_11target_archE1030ELNS1_3gpuE2ELNS1_3repE0EEENS1_47radix_sort_onesweep_sort_config_static_selectorELNS0_4arch9wavefront6targetE0EEEvSN_
; %bb.0:
	.section	.rodata,"a",@progbits
	.p2align	6, 0x0
	.amdhsa_kernel _ZN7rocprim17ROCPRIM_400000_NS6detail17trampoline_kernelINS0_14default_configENS1_35radix_sort_onesweep_config_selectorIjN6thrust23THRUST_200600_302600_NS5tupleIffNS6_9null_typeES8_S8_S8_S8_S8_S8_S8_EEEEZZNS1_29radix_sort_onesweep_iterationIS3_Lb0ENS6_6detail15normal_iteratorINS6_10device_ptrIjEEEESG_NSD_INSE_IS9_EEEESI_jNS0_19identity_decomposerENS1_16block_id_wrapperIjLb1EEEEE10hipError_tT1_PNSt15iterator_traitsISN_E10value_typeET2_T3_PNSO_IST_E10value_typeET4_T5_PSY_SZ_PNS1_23onesweep_lookback_stateEbbT6_jjT7_P12ihipStream_tbENKUlT_T0_SN_SS_E_clIPjSG_PS9_SI_EEDaS16_S17_SN_SS_EUlS16_E_NS1_11comp_targetILNS1_3genE8ELNS1_11target_archE1030ELNS1_3gpuE2ELNS1_3repE0EEENS1_47radix_sort_onesweep_sort_config_static_selectorELNS0_4arch9wavefront6targetE0EEEvSN_
		.amdhsa_group_segment_fixed_size 0
		.amdhsa_private_segment_fixed_size 0
		.amdhsa_kernarg_size 88
		.amdhsa_user_sgpr_count 2
		.amdhsa_user_sgpr_dispatch_ptr 0
		.amdhsa_user_sgpr_queue_ptr 0
		.amdhsa_user_sgpr_kernarg_segment_ptr 1
		.amdhsa_user_sgpr_dispatch_id 0
		.amdhsa_user_sgpr_kernarg_preload_length 0
		.amdhsa_user_sgpr_kernarg_preload_offset 0
		.amdhsa_user_sgpr_private_segment_size 0
		.amdhsa_wavefront_size32 1
		.amdhsa_uses_dynamic_stack 0
		.amdhsa_enable_private_segment 0
		.amdhsa_system_sgpr_workgroup_id_x 1
		.amdhsa_system_sgpr_workgroup_id_y 0
		.amdhsa_system_sgpr_workgroup_id_z 0
		.amdhsa_system_sgpr_workgroup_info 0
		.amdhsa_system_vgpr_workitem_id 0
		.amdhsa_next_free_vgpr 1
		.amdhsa_next_free_sgpr 1
		.amdhsa_named_barrier_count 0
		.amdhsa_reserve_vcc 0
		.amdhsa_float_round_mode_32 0
		.amdhsa_float_round_mode_16_64 0
		.amdhsa_float_denorm_mode_32 3
		.amdhsa_float_denorm_mode_16_64 3
		.amdhsa_fp16_overflow 0
		.amdhsa_memory_ordered 1
		.amdhsa_forward_progress 1
		.amdhsa_inst_pref_size 0
		.amdhsa_round_robin_scheduling 0
		.amdhsa_exception_fp_ieee_invalid_op 0
		.amdhsa_exception_fp_denorm_src 0
		.amdhsa_exception_fp_ieee_div_zero 0
		.amdhsa_exception_fp_ieee_overflow 0
		.amdhsa_exception_fp_ieee_underflow 0
		.amdhsa_exception_fp_ieee_inexact 0
		.amdhsa_exception_int_div_zero 0
	.end_amdhsa_kernel
	.section	.text._ZN7rocprim17ROCPRIM_400000_NS6detail17trampoline_kernelINS0_14default_configENS1_35radix_sort_onesweep_config_selectorIjN6thrust23THRUST_200600_302600_NS5tupleIffNS6_9null_typeES8_S8_S8_S8_S8_S8_S8_EEEEZZNS1_29radix_sort_onesweep_iterationIS3_Lb0ENS6_6detail15normal_iteratorINS6_10device_ptrIjEEEESG_NSD_INSE_IS9_EEEESI_jNS0_19identity_decomposerENS1_16block_id_wrapperIjLb1EEEEE10hipError_tT1_PNSt15iterator_traitsISN_E10value_typeET2_T3_PNSO_IST_E10value_typeET4_T5_PSY_SZ_PNS1_23onesweep_lookback_stateEbbT6_jjT7_P12ihipStream_tbENKUlT_T0_SN_SS_E_clIPjSG_PS9_SI_EEDaS16_S17_SN_SS_EUlS16_E_NS1_11comp_targetILNS1_3genE8ELNS1_11target_archE1030ELNS1_3gpuE2ELNS1_3repE0EEENS1_47radix_sort_onesweep_sort_config_static_selectorELNS0_4arch9wavefront6targetE0EEEvSN_,"axG",@progbits,_ZN7rocprim17ROCPRIM_400000_NS6detail17trampoline_kernelINS0_14default_configENS1_35radix_sort_onesweep_config_selectorIjN6thrust23THRUST_200600_302600_NS5tupleIffNS6_9null_typeES8_S8_S8_S8_S8_S8_S8_EEEEZZNS1_29radix_sort_onesweep_iterationIS3_Lb0ENS6_6detail15normal_iteratorINS6_10device_ptrIjEEEESG_NSD_INSE_IS9_EEEESI_jNS0_19identity_decomposerENS1_16block_id_wrapperIjLb1EEEEE10hipError_tT1_PNSt15iterator_traitsISN_E10value_typeET2_T3_PNSO_IST_E10value_typeET4_T5_PSY_SZ_PNS1_23onesweep_lookback_stateEbbT6_jjT7_P12ihipStream_tbENKUlT_T0_SN_SS_E_clIPjSG_PS9_SI_EEDaS16_S17_SN_SS_EUlS16_E_NS1_11comp_targetILNS1_3genE8ELNS1_11target_archE1030ELNS1_3gpuE2ELNS1_3repE0EEENS1_47radix_sort_onesweep_sort_config_static_selectorELNS0_4arch9wavefront6targetE0EEEvSN_,comdat
.Lfunc_end201:
	.size	_ZN7rocprim17ROCPRIM_400000_NS6detail17trampoline_kernelINS0_14default_configENS1_35radix_sort_onesweep_config_selectorIjN6thrust23THRUST_200600_302600_NS5tupleIffNS6_9null_typeES8_S8_S8_S8_S8_S8_S8_EEEEZZNS1_29radix_sort_onesweep_iterationIS3_Lb0ENS6_6detail15normal_iteratorINS6_10device_ptrIjEEEESG_NSD_INSE_IS9_EEEESI_jNS0_19identity_decomposerENS1_16block_id_wrapperIjLb1EEEEE10hipError_tT1_PNSt15iterator_traitsISN_E10value_typeET2_T3_PNSO_IST_E10value_typeET4_T5_PSY_SZ_PNS1_23onesweep_lookback_stateEbbT6_jjT7_P12ihipStream_tbENKUlT_T0_SN_SS_E_clIPjSG_PS9_SI_EEDaS16_S17_SN_SS_EUlS16_E_NS1_11comp_targetILNS1_3genE8ELNS1_11target_archE1030ELNS1_3gpuE2ELNS1_3repE0EEENS1_47radix_sort_onesweep_sort_config_static_selectorELNS0_4arch9wavefront6targetE0EEEvSN_, .Lfunc_end201-_ZN7rocprim17ROCPRIM_400000_NS6detail17trampoline_kernelINS0_14default_configENS1_35radix_sort_onesweep_config_selectorIjN6thrust23THRUST_200600_302600_NS5tupleIffNS6_9null_typeES8_S8_S8_S8_S8_S8_S8_EEEEZZNS1_29radix_sort_onesweep_iterationIS3_Lb0ENS6_6detail15normal_iteratorINS6_10device_ptrIjEEEESG_NSD_INSE_IS9_EEEESI_jNS0_19identity_decomposerENS1_16block_id_wrapperIjLb1EEEEE10hipError_tT1_PNSt15iterator_traitsISN_E10value_typeET2_T3_PNSO_IST_E10value_typeET4_T5_PSY_SZ_PNS1_23onesweep_lookback_stateEbbT6_jjT7_P12ihipStream_tbENKUlT_T0_SN_SS_E_clIPjSG_PS9_SI_EEDaS16_S17_SN_SS_EUlS16_E_NS1_11comp_targetILNS1_3genE8ELNS1_11target_archE1030ELNS1_3gpuE2ELNS1_3repE0EEENS1_47radix_sort_onesweep_sort_config_static_selectorELNS0_4arch9wavefront6targetE0EEEvSN_
                                        ; -- End function
	.set _ZN7rocprim17ROCPRIM_400000_NS6detail17trampoline_kernelINS0_14default_configENS1_35radix_sort_onesweep_config_selectorIjN6thrust23THRUST_200600_302600_NS5tupleIffNS6_9null_typeES8_S8_S8_S8_S8_S8_S8_EEEEZZNS1_29radix_sort_onesweep_iterationIS3_Lb0ENS6_6detail15normal_iteratorINS6_10device_ptrIjEEEESG_NSD_INSE_IS9_EEEESI_jNS0_19identity_decomposerENS1_16block_id_wrapperIjLb1EEEEE10hipError_tT1_PNSt15iterator_traitsISN_E10value_typeET2_T3_PNSO_IST_E10value_typeET4_T5_PSY_SZ_PNS1_23onesweep_lookback_stateEbbT6_jjT7_P12ihipStream_tbENKUlT_T0_SN_SS_E_clIPjSG_PS9_SI_EEDaS16_S17_SN_SS_EUlS16_E_NS1_11comp_targetILNS1_3genE8ELNS1_11target_archE1030ELNS1_3gpuE2ELNS1_3repE0EEENS1_47radix_sort_onesweep_sort_config_static_selectorELNS0_4arch9wavefront6targetE0EEEvSN_.num_vgpr, 0
	.set _ZN7rocprim17ROCPRIM_400000_NS6detail17trampoline_kernelINS0_14default_configENS1_35radix_sort_onesweep_config_selectorIjN6thrust23THRUST_200600_302600_NS5tupleIffNS6_9null_typeES8_S8_S8_S8_S8_S8_S8_EEEEZZNS1_29radix_sort_onesweep_iterationIS3_Lb0ENS6_6detail15normal_iteratorINS6_10device_ptrIjEEEESG_NSD_INSE_IS9_EEEESI_jNS0_19identity_decomposerENS1_16block_id_wrapperIjLb1EEEEE10hipError_tT1_PNSt15iterator_traitsISN_E10value_typeET2_T3_PNSO_IST_E10value_typeET4_T5_PSY_SZ_PNS1_23onesweep_lookback_stateEbbT6_jjT7_P12ihipStream_tbENKUlT_T0_SN_SS_E_clIPjSG_PS9_SI_EEDaS16_S17_SN_SS_EUlS16_E_NS1_11comp_targetILNS1_3genE8ELNS1_11target_archE1030ELNS1_3gpuE2ELNS1_3repE0EEENS1_47radix_sort_onesweep_sort_config_static_selectorELNS0_4arch9wavefront6targetE0EEEvSN_.num_agpr, 0
	.set _ZN7rocprim17ROCPRIM_400000_NS6detail17trampoline_kernelINS0_14default_configENS1_35radix_sort_onesweep_config_selectorIjN6thrust23THRUST_200600_302600_NS5tupleIffNS6_9null_typeES8_S8_S8_S8_S8_S8_S8_EEEEZZNS1_29radix_sort_onesweep_iterationIS3_Lb0ENS6_6detail15normal_iteratorINS6_10device_ptrIjEEEESG_NSD_INSE_IS9_EEEESI_jNS0_19identity_decomposerENS1_16block_id_wrapperIjLb1EEEEE10hipError_tT1_PNSt15iterator_traitsISN_E10value_typeET2_T3_PNSO_IST_E10value_typeET4_T5_PSY_SZ_PNS1_23onesweep_lookback_stateEbbT6_jjT7_P12ihipStream_tbENKUlT_T0_SN_SS_E_clIPjSG_PS9_SI_EEDaS16_S17_SN_SS_EUlS16_E_NS1_11comp_targetILNS1_3genE8ELNS1_11target_archE1030ELNS1_3gpuE2ELNS1_3repE0EEENS1_47radix_sort_onesweep_sort_config_static_selectorELNS0_4arch9wavefront6targetE0EEEvSN_.numbered_sgpr, 0
	.set _ZN7rocprim17ROCPRIM_400000_NS6detail17trampoline_kernelINS0_14default_configENS1_35radix_sort_onesweep_config_selectorIjN6thrust23THRUST_200600_302600_NS5tupleIffNS6_9null_typeES8_S8_S8_S8_S8_S8_S8_EEEEZZNS1_29radix_sort_onesweep_iterationIS3_Lb0ENS6_6detail15normal_iteratorINS6_10device_ptrIjEEEESG_NSD_INSE_IS9_EEEESI_jNS0_19identity_decomposerENS1_16block_id_wrapperIjLb1EEEEE10hipError_tT1_PNSt15iterator_traitsISN_E10value_typeET2_T3_PNSO_IST_E10value_typeET4_T5_PSY_SZ_PNS1_23onesweep_lookback_stateEbbT6_jjT7_P12ihipStream_tbENKUlT_T0_SN_SS_E_clIPjSG_PS9_SI_EEDaS16_S17_SN_SS_EUlS16_E_NS1_11comp_targetILNS1_3genE8ELNS1_11target_archE1030ELNS1_3gpuE2ELNS1_3repE0EEENS1_47radix_sort_onesweep_sort_config_static_selectorELNS0_4arch9wavefront6targetE0EEEvSN_.num_named_barrier, 0
	.set _ZN7rocprim17ROCPRIM_400000_NS6detail17trampoline_kernelINS0_14default_configENS1_35radix_sort_onesweep_config_selectorIjN6thrust23THRUST_200600_302600_NS5tupleIffNS6_9null_typeES8_S8_S8_S8_S8_S8_S8_EEEEZZNS1_29radix_sort_onesweep_iterationIS3_Lb0ENS6_6detail15normal_iteratorINS6_10device_ptrIjEEEESG_NSD_INSE_IS9_EEEESI_jNS0_19identity_decomposerENS1_16block_id_wrapperIjLb1EEEEE10hipError_tT1_PNSt15iterator_traitsISN_E10value_typeET2_T3_PNSO_IST_E10value_typeET4_T5_PSY_SZ_PNS1_23onesweep_lookback_stateEbbT6_jjT7_P12ihipStream_tbENKUlT_T0_SN_SS_E_clIPjSG_PS9_SI_EEDaS16_S17_SN_SS_EUlS16_E_NS1_11comp_targetILNS1_3genE8ELNS1_11target_archE1030ELNS1_3gpuE2ELNS1_3repE0EEENS1_47radix_sort_onesweep_sort_config_static_selectorELNS0_4arch9wavefront6targetE0EEEvSN_.private_seg_size, 0
	.set _ZN7rocprim17ROCPRIM_400000_NS6detail17trampoline_kernelINS0_14default_configENS1_35radix_sort_onesweep_config_selectorIjN6thrust23THRUST_200600_302600_NS5tupleIffNS6_9null_typeES8_S8_S8_S8_S8_S8_S8_EEEEZZNS1_29radix_sort_onesweep_iterationIS3_Lb0ENS6_6detail15normal_iteratorINS6_10device_ptrIjEEEESG_NSD_INSE_IS9_EEEESI_jNS0_19identity_decomposerENS1_16block_id_wrapperIjLb1EEEEE10hipError_tT1_PNSt15iterator_traitsISN_E10value_typeET2_T3_PNSO_IST_E10value_typeET4_T5_PSY_SZ_PNS1_23onesweep_lookback_stateEbbT6_jjT7_P12ihipStream_tbENKUlT_T0_SN_SS_E_clIPjSG_PS9_SI_EEDaS16_S17_SN_SS_EUlS16_E_NS1_11comp_targetILNS1_3genE8ELNS1_11target_archE1030ELNS1_3gpuE2ELNS1_3repE0EEENS1_47radix_sort_onesweep_sort_config_static_selectorELNS0_4arch9wavefront6targetE0EEEvSN_.uses_vcc, 0
	.set _ZN7rocprim17ROCPRIM_400000_NS6detail17trampoline_kernelINS0_14default_configENS1_35radix_sort_onesweep_config_selectorIjN6thrust23THRUST_200600_302600_NS5tupleIffNS6_9null_typeES8_S8_S8_S8_S8_S8_S8_EEEEZZNS1_29radix_sort_onesweep_iterationIS3_Lb0ENS6_6detail15normal_iteratorINS6_10device_ptrIjEEEESG_NSD_INSE_IS9_EEEESI_jNS0_19identity_decomposerENS1_16block_id_wrapperIjLb1EEEEE10hipError_tT1_PNSt15iterator_traitsISN_E10value_typeET2_T3_PNSO_IST_E10value_typeET4_T5_PSY_SZ_PNS1_23onesweep_lookback_stateEbbT6_jjT7_P12ihipStream_tbENKUlT_T0_SN_SS_E_clIPjSG_PS9_SI_EEDaS16_S17_SN_SS_EUlS16_E_NS1_11comp_targetILNS1_3genE8ELNS1_11target_archE1030ELNS1_3gpuE2ELNS1_3repE0EEENS1_47radix_sort_onesweep_sort_config_static_selectorELNS0_4arch9wavefront6targetE0EEEvSN_.uses_flat_scratch, 0
	.set _ZN7rocprim17ROCPRIM_400000_NS6detail17trampoline_kernelINS0_14default_configENS1_35radix_sort_onesweep_config_selectorIjN6thrust23THRUST_200600_302600_NS5tupleIffNS6_9null_typeES8_S8_S8_S8_S8_S8_S8_EEEEZZNS1_29radix_sort_onesweep_iterationIS3_Lb0ENS6_6detail15normal_iteratorINS6_10device_ptrIjEEEESG_NSD_INSE_IS9_EEEESI_jNS0_19identity_decomposerENS1_16block_id_wrapperIjLb1EEEEE10hipError_tT1_PNSt15iterator_traitsISN_E10value_typeET2_T3_PNSO_IST_E10value_typeET4_T5_PSY_SZ_PNS1_23onesweep_lookback_stateEbbT6_jjT7_P12ihipStream_tbENKUlT_T0_SN_SS_E_clIPjSG_PS9_SI_EEDaS16_S17_SN_SS_EUlS16_E_NS1_11comp_targetILNS1_3genE8ELNS1_11target_archE1030ELNS1_3gpuE2ELNS1_3repE0EEENS1_47radix_sort_onesweep_sort_config_static_selectorELNS0_4arch9wavefront6targetE0EEEvSN_.has_dyn_sized_stack, 0
	.set _ZN7rocprim17ROCPRIM_400000_NS6detail17trampoline_kernelINS0_14default_configENS1_35radix_sort_onesweep_config_selectorIjN6thrust23THRUST_200600_302600_NS5tupleIffNS6_9null_typeES8_S8_S8_S8_S8_S8_S8_EEEEZZNS1_29radix_sort_onesweep_iterationIS3_Lb0ENS6_6detail15normal_iteratorINS6_10device_ptrIjEEEESG_NSD_INSE_IS9_EEEESI_jNS0_19identity_decomposerENS1_16block_id_wrapperIjLb1EEEEE10hipError_tT1_PNSt15iterator_traitsISN_E10value_typeET2_T3_PNSO_IST_E10value_typeET4_T5_PSY_SZ_PNS1_23onesweep_lookback_stateEbbT6_jjT7_P12ihipStream_tbENKUlT_T0_SN_SS_E_clIPjSG_PS9_SI_EEDaS16_S17_SN_SS_EUlS16_E_NS1_11comp_targetILNS1_3genE8ELNS1_11target_archE1030ELNS1_3gpuE2ELNS1_3repE0EEENS1_47radix_sort_onesweep_sort_config_static_selectorELNS0_4arch9wavefront6targetE0EEEvSN_.has_recursion, 0
	.set _ZN7rocprim17ROCPRIM_400000_NS6detail17trampoline_kernelINS0_14default_configENS1_35radix_sort_onesweep_config_selectorIjN6thrust23THRUST_200600_302600_NS5tupleIffNS6_9null_typeES8_S8_S8_S8_S8_S8_S8_EEEEZZNS1_29radix_sort_onesweep_iterationIS3_Lb0ENS6_6detail15normal_iteratorINS6_10device_ptrIjEEEESG_NSD_INSE_IS9_EEEESI_jNS0_19identity_decomposerENS1_16block_id_wrapperIjLb1EEEEE10hipError_tT1_PNSt15iterator_traitsISN_E10value_typeET2_T3_PNSO_IST_E10value_typeET4_T5_PSY_SZ_PNS1_23onesweep_lookback_stateEbbT6_jjT7_P12ihipStream_tbENKUlT_T0_SN_SS_E_clIPjSG_PS9_SI_EEDaS16_S17_SN_SS_EUlS16_E_NS1_11comp_targetILNS1_3genE8ELNS1_11target_archE1030ELNS1_3gpuE2ELNS1_3repE0EEENS1_47radix_sort_onesweep_sort_config_static_selectorELNS0_4arch9wavefront6targetE0EEEvSN_.has_indirect_call, 0
	.section	.AMDGPU.csdata,"",@progbits
; Kernel info:
; codeLenInByte = 0
; TotalNumSgprs: 0
; NumVgprs: 0
; ScratchSize: 0
; MemoryBound: 0
; FloatMode: 240
; IeeeMode: 1
; LDSByteSize: 0 bytes/workgroup (compile time only)
; SGPRBlocks: 0
; VGPRBlocks: 0
; NumSGPRsForWavesPerEU: 1
; NumVGPRsForWavesPerEU: 1
; NamedBarCnt: 0
; Occupancy: 16
; WaveLimiterHint : 0
; COMPUTE_PGM_RSRC2:SCRATCH_EN: 0
; COMPUTE_PGM_RSRC2:USER_SGPR: 2
; COMPUTE_PGM_RSRC2:TRAP_HANDLER: 0
; COMPUTE_PGM_RSRC2:TGID_X_EN: 1
; COMPUTE_PGM_RSRC2:TGID_Y_EN: 0
; COMPUTE_PGM_RSRC2:TGID_Z_EN: 0
; COMPUTE_PGM_RSRC2:TIDIG_COMP_CNT: 0
	.section	.text._ZN7rocprim17ROCPRIM_400000_NS6detail17trampoline_kernelINS0_14default_configENS1_35radix_sort_onesweep_config_selectorIjN6thrust23THRUST_200600_302600_NS5tupleIffNS6_9null_typeES8_S8_S8_S8_S8_S8_S8_EEEEZZNS1_29radix_sort_onesweep_iterationIS3_Lb0ENS6_6detail15normal_iteratorINS6_10device_ptrIjEEEESG_NSD_INSE_IS9_EEEESI_jNS0_19identity_decomposerENS1_16block_id_wrapperIjLb0EEEEE10hipError_tT1_PNSt15iterator_traitsISN_E10value_typeET2_T3_PNSO_IST_E10value_typeET4_T5_PSY_SZ_PNS1_23onesweep_lookback_stateEbbT6_jjT7_P12ihipStream_tbENKUlT_T0_SN_SS_E_clISG_SG_SI_SI_EEDaS16_S17_SN_SS_EUlS16_E_NS1_11comp_targetILNS1_3genE0ELNS1_11target_archE4294967295ELNS1_3gpuE0ELNS1_3repE0EEENS1_47radix_sort_onesweep_sort_config_static_selectorELNS0_4arch9wavefront6targetE0EEEvSN_,"axG",@progbits,_ZN7rocprim17ROCPRIM_400000_NS6detail17trampoline_kernelINS0_14default_configENS1_35radix_sort_onesweep_config_selectorIjN6thrust23THRUST_200600_302600_NS5tupleIffNS6_9null_typeES8_S8_S8_S8_S8_S8_S8_EEEEZZNS1_29radix_sort_onesweep_iterationIS3_Lb0ENS6_6detail15normal_iteratorINS6_10device_ptrIjEEEESG_NSD_INSE_IS9_EEEESI_jNS0_19identity_decomposerENS1_16block_id_wrapperIjLb0EEEEE10hipError_tT1_PNSt15iterator_traitsISN_E10value_typeET2_T3_PNSO_IST_E10value_typeET4_T5_PSY_SZ_PNS1_23onesweep_lookback_stateEbbT6_jjT7_P12ihipStream_tbENKUlT_T0_SN_SS_E_clISG_SG_SI_SI_EEDaS16_S17_SN_SS_EUlS16_E_NS1_11comp_targetILNS1_3genE0ELNS1_11target_archE4294967295ELNS1_3gpuE0ELNS1_3repE0EEENS1_47radix_sort_onesweep_sort_config_static_selectorELNS0_4arch9wavefront6targetE0EEEvSN_,comdat
	.protected	_ZN7rocprim17ROCPRIM_400000_NS6detail17trampoline_kernelINS0_14default_configENS1_35radix_sort_onesweep_config_selectorIjN6thrust23THRUST_200600_302600_NS5tupleIffNS6_9null_typeES8_S8_S8_S8_S8_S8_S8_EEEEZZNS1_29radix_sort_onesweep_iterationIS3_Lb0ENS6_6detail15normal_iteratorINS6_10device_ptrIjEEEESG_NSD_INSE_IS9_EEEESI_jNS0_19identity_decomposerENS1_16block_id_wrapperIjLb0EEEEE10hipError_tT1_PNSt15iterator_traitsISN_E10value_typeET2_T3_PNSO_IST_E10value_typeET4_T5_PSY_SZ_PNS1_23onesweep_lookback_stateEbbT6_jjT7_P12ihipStream_tbENKUlT_T0_SN_SS_E_clISG_SG_SI_SI_EEDaS16_S17_SN_SS_EUlS16_E_NS1_11comp_targetILNS1_3genE0ELNS1_11target_archE4294967295ELNS1_3gpuE0ELNS1_3repE0EEENS1_47radix_sort_onesweep_sort_config_static_selectorELNS0_4arch9wavefront6targetE0EEEvSN_ ; -- Begin function _ZN7rocprim17ROCPRIM_400000_NS6detail17trampoline_kernelINS0_14default_configENS1_35radix_sort_onesweep_config_selectorIjN6thrust23THRUST_200600_302600_NS5tupleIffNS6_9null_typeES8_S8_S8_S8_S8_S8_S8_EEEEZZNS1_29radix_sort_onesweep_iterationIS3_Lb0ENS6_6detail15normal_iteratorINS6_10device_ptrIjEEEESG_NSD_INSE_IS9_EEEESI_jNS0_19identity_decomposerENS1_16block_id_wrapperIjLb0EEEEE10hipError_tT1_PNSt15iterator_traitsISN_E10value_typeET2_T3_PNSO_IST_E10value_typeET4_T5_PSY_SZ_PNS1_23onesweep_lookback_stateEbbT6_jjT7_P12ihipStream_tbENKUlT_T0_SN_SS_E_clISG_SG_SI_SI_EEDaS16_S17_SN_SS_EUlS16_E_NS1_11comp_targetILNS1_3genE0ELNS1_11target_archE4294967295ELNS1_3gpuE0ELNS1_3repE0EEENS1_47radix_sort_onesweep_sort_config_static_selectorELNS0_4arch9wavefront6targetE0EEEvSN_
	.globl	_ZN7rocprim17ROCPRIM_400000_NS6detail17trampoline_kernelINS0_14default_configENS1_35radix_sort_onesweep_config_selectorIjN6thrust23THRUST_200600_302600_NS5tupleIffNS6_9null_typeES8_S8_S8_S8_S8_S8_S8_EEEEZZNS1_29radix_sort_onesweep_iterationIS3_Lb0ENS6_6detail15normal_iteratorINS6_10device_ptrIjEEEESG_NSD_INSE_IS9_EEEESI_jNS0_19identity_decomposerENS1_16block_id_wrapperIjLb0EEEEE10hipError_tT1_PNSt15iterator_traitsISN_E10value_typeET2_T3_PNSO_IST_E10value_typeET4_T5_PSY_SZ_PNS1_23onesweep_lookback_stateEbbT6_jjT7_P12ihipStream_tbENKUlT_T0_SN_SS_E_clISG_SG_SI_SI_EEDaS16_S17_SN_SS_EUlS16_E_NS1_11comp_targetILNS1_3genE0ELNS1_11target_archE4294967295ELNS1_3gpuE0ELNS1_3repE0EEENS1_47radix_sort_onesweep_sort_config_static_selectorELNS0_4arch9wavefront6targetE0EEEvSN_
	.p2align	8
	.type	_ZN7rocprim17ROCPRIM_400000_NS6detail17trampoline_kernelINS0_14default_configENS1_35radix_sort_onesweep_config_selectorIjN6thrust23THRUST_200600_302600_NS5tupleIffNS6_9null_typeES8_S8_S8_S8_S8_S8_S8_EEEEZZNS1_29radix_sort_onesweep_iterationIS3_Lb0ENS6_6detail15normal_iteratorINS6_10device_ptrIjEEEESG_NSD_INSE_IS9_EEEESI_jNS0_19identity_decomposerENS1_16block_id_wrapperIjLb0EEEEE10hipError_tT1_PNSt15iterator_traitsISN_E10value_typeET2_T3_PNSO_IST_E10value_typeET4_T5_PSY_SZ_PNS1_23onesweep_lookback_stateEbbT6_jjT7_P12ihipStream_tbENKUlT_T0_SN_SS_E_clISG_SG_SI_SI_EEDaS16_S17_SN_SS_EUlS16_E_NS1_11comp_targetILNS1_3genE0ELNS1_11target_archE4294967295ELNS1_3gpuE0ELNS1_3repE0EEENS1_47radix_sort_onesweep_sort_config_static_selectorELNS0_4arch9wavefront6targetE0EEEvSN_,@function
_ZN7rocprim17ROCPRIM_400000_NS6detail17trampoline_kernelINS0_14default_configENS1_35radix_sort_onesweep_config_selectorIjN6thrust23THRUST_200600_302600_NS5tupleIffNS6_9null_typeES8_S8_S8_S8_S8_S8_S8_EEEEZZNS1_29radix_sort_onesweep_iterationIS3_Lb0ENS6_6detail15normal_iteratorINS6_10device_ptrIjEEEESG_NSD_INSE_IS9_EEEESI_jNS0_19identity_decomposerENS1_16block_id_wrapperIjLb0EEEEE10hipError_tT1_PNSt15iterator_traitsISN_E10value_typeET2_T3_PNSO_IST_E10value_typeET4_T5_PSY_SZ_PNS1_23onesweep_lookback_stateEbbT6_jjT7_P12ihipStream_tbENKUlT_T0_SN_SS_E_clISG_SG_SI_SI_EEDaS16_S17_SN_SS_EUlS16_E_NS1_11comp_targetILNS1_3genE0ELNS1_11target_archE4294967295ELNS1_3gpuE0ELNS1_3repE0EEENS1_47radix_sort_onesweep_sort_config_static_selectorELNS0_4arch9wavefront6targetE0EEEvSN_: ; @_ZN7rocprim17ROCPRIM_400000_NS6detail17trampoline_kernelINS0_14default_configENS1_35radix_sort_onesweep_config_selectorIjN6thrust23THRUST_200600_302600_NS5tupleIffNS6_9null_typeES8_S8_S8_S8_S8_S8_S8_EEEEZZNS1_29radix_sort_onesweep_iterationIS3_Lb0ENS6_6detail15normal_iteratorINS6_10device_ptrIjEEEESG_NSD_INSE_IS9_EEEESI_jNS0_19identity_decomposerENS1_16block_id_wrapperIjLb0EEEEE10hipError_tT1_PNSt15iterator_traitsISN_E10value_typeET2_T3_PNSO_IST_E10value_typeET4_T5_PSY_SZ_PNS1_23onesweep_lookback_stateEbbT6_jjT7_P12ihipStream_tbENKUlT_T0_SN_SS_E_clISG_SG_SI_SI_EEDaS16_S17_SN_SS_EUlS16_E_NS1_11comp_targetILNS1_3genE0ELNS1_11target_archE4294967295ELNS1_3gpuE0ELNS1_3repE0EEENS1_47radix_sort_onesweep_sort_config_static_selectorELNS0_4arch9wavefront6targetE0EEEvSN_
; %bb.0:
	s_load_b64 s[4:5], s[0:1], 0x4
	s_clause 0x1
	s_load_b256 s[20:27], s[2:3], 0x0
	s_load_b96 s[36:38], s[2:3], 0x44
	v_and_b32_e32 v18, 0x3ff, v0
	s_clause 0x1
	s_load_b128 s[28:31], s[2:3], 0x28
	s_load_b64 s[18:19], s[2:3], 0x38
	v_bfe_u32 v21, v0, 10, 10
	s_wait_xcnt 0x0
	s_bfe_u32 s1, ttmp6, 0x4000c
	v_bfe_u32 v22, v0, 20, 10
	s_add_co_i32 s1, s1, 1
	s_and_b32 s0, ttmp6, 15
	s_mul_i32 s1, ttmp9, s1
	v_mbcnt_lo_u32_b32 v20, -1, 0
	s_add_co_i32 s0, s0, s1
	v_lshlrev_b32_e32 v23, 3, v18
	s_mov_b32 s41, 0
	s_add_nc_u64 s[34:35], s[2:3], 0x58
	s_wait_kmcnt 0x0
	s_lshr_b32 s4, s4, 16
	v_mul_u32_u24_e32 v0, s5, v21
	s_mul_i32 s4, s4, s5
	s_delay_alu instid0(SALU_CYCLE_1) | instskip(SKIP_1) | instid1(SALU_CYCLE_1)
	v_mul_lo_u32 v1, s4, v18
	s_getreg_b32 s4, hwreg(HW_REG_IB_STS2, 6, 4)
	s_cmp_eq_u32 s4, 0
	s_cselect_b32 s17, ttmp9, s0
	s_mov_b32 s0, -1
	s_cmp_ge_u32 s17, s38
	s_delay_alu instid0(VALU_DEP_1)
	v_add3_u32 v19, v1, v0, v22
	s_cbranch_scc0 .LBB202_98
; %bb.1:
	s_load_b32 s4, s[2:3], 0x20
	s_lshl_b32 s40, s17, 12
	v_dual_mov_b32 v1, 0 :: v_dual_lshlrev_b32 v0, 2, v20
	s_lshl_b64 s[0:1], s[40:41], 2
	v_and_b32_e32 v8, 0x1f00, v23
	s_add_nc_u64 s[0:1], s[20:21], s[0:1]
	v_dual_mov_b32 v9, -1 :: v_dual_mov_b32 v10, -1
	v_add_nc_u64_e32 v[4:5], s[0:1], v[0:1]
	s_delay_alu instid0(VALU_DEP_3) | instskip(SKIP_1) | instid1(VALU_DEP_1)
	v_dual_lshlrev_b32 v0, 2, v8 :: v_dual_bitop2_b32 v2, v20, v8 bitop3:0x54
	s_lshl_b32 s0, s38, 12
	v_add_nc_u64_e32 v[0:1], v[4:5], v[0:1]
	s_wait_kmcnt 0x0
	s_sub_co_i32 s33, s4, s0
	s_delay_alu instid0(SALU_CYCLE_1)
	v_cmp_gt_u32_e64 s8, s33, v2
	s_and_saveexec_b32 s0, s8
	s_cbranch_execz .LBB202_3
; %bb.2:
	global_load_b32 v10, v[0:1], off
.LBB202_3:
	s_wait_xcnt 0x0
	s_or_b32 exec_lo, exec_lo, s0
	v_or_b32_e32 v3, 32, v2
	s_delay_alu instid0(VALU_DEP_1)
	v_cmp_gt_u32_e64 s7, s33, v3
	s_and_saveexec_b32 s0, s7
	s_cbranch_execz .LBB202_5
; %bb.4:
	global_load_b32 v9, v[0:1], off offset:128
.LBB202_5:
	s_wait_xcnt 0x0
	s_or_b32 exec_lo, exec_lo, s0
	v_dual_mov_b32 v11, -1 :: v_dual_bitop2_b32 v3, 64, v2 bitop3:0x54
	v_mov_b32_e32 v12, -1
	s_delay_alu instid0(VALU_DEP_2)
	v_cmp_gt_u32_e64 s6, s33, v3
	s_and_saveexec_b32 s0, s6
	s_cbranch_execz .LBB202_7
; %bb.6:
	global_load_b32 v12, v[0:1], off offset:256
.LBB202_7:
	s_wait_xcnt 0x0
	s_or_b32 exec_lo, exec_lo, s0
	v_or_b32_e32 v3, 0x60, v2
	s_delay_alu instid0(VALU_DEP_1)
	v_cmp_gt_u32_e64 s5, s33, v3
	s_and_saveexec_b32 s0, s5
	s_cbranch_execz .LBB202_9
; %bb.8:
	global_load_b32 v11, v[0:1], off offset:384
.LBB202_9:
	s_wait_xcnt 0x0
	s_or_b32 exec_lo, exec_lo, s0
	v_or_b32_e32 v3, 0x80, v2
	v_dual_mov_b32 v13, -1 :: v_dual_mov_b32 v14, -1
	s_delay_alu instid0(VALU_DEP_2)
	v_cmp_gt_u32_e64 s4, s33, v3
	s_and_saveexec_b32 s0, s4
	s_cbranch_execz .LBB202_11
; %bb.10:
	global_load_b32 v14, v[0:1], off offset:512
.LBB202_11:
	s_wait_xcnt 0x0
	s_or_b32 exec_lo, exec_lo, s0
	v_or_b32_e32 v3, 0xa0, v2
	s_delay_alu instid0(VALU_DEP_1)
	v_cmp_gt_u32_e64 s1, s33, v3
	s_and_saveexec_b32 s0, s1
	s_cbranch_execz .LBB202_13
; %bb.12:
	global_load_b32 v13, v[0:1], off offset:640
.LBB202_13:
	s_wait_xcnt 0x0
	s_or_b32 exec_lo, exec_lo, s0
	v_or_b32_e32 v3, 0xc0, v2
	v_dual_mov_b32 v15, -1 :: v_dual_mov_b32 v16, -1
	s_delay_alu instid0(VALU_DEP_2)
	v_cmp_gt_u32_e64 s0, s33, v3
	s_and_saveexec_b32 s9, s0
	s_cbranch_execz .LBB202_15
; %bb.14:
	global_load_b32 v16, v[0:1], off offset:768
.LBB202_15:
	s_wait_xcnt 0x0
	s_or_b32 exec_lo, exec_lo, s9
	v_or_b32_e32 v2, 0xe0, v2
	s_delay_alu instid0(VALU_DEP_1)
	v_cmp_gt_u32_e32 vcc_lo, s33, v2
	s_and_saveexec_b32 s9, vcc_lo
	s_cbranch_execz .LBB202_17
; %bb.16:
	global_load_b32 v15, v[0:1], off offset:896
.LBB202_17:
	s_wait_xcnt 0x0
	s_or_b32 exec_lo, exec_lo, s9
	s_clause 0x1
	s_load_b32 s38, s[2:3], 0x58
	s_load_u16 s9, s[2:3], 0x66
	s_wait_loadcnt 0x0
	v_lshrrev_b32_e32 v0, s36, v10
	s_mov_b32 s11, 0
	s_wait_kmcnt 0x0
	s_cmp_lt_u32 s17, s38
	v_mad_u32_u24 v1, v22, s9, v21
	s_cselect_b32 s10, 12, 18
	s_lshl_b32 s39, -1, s37
	s_add_nc_u64 s[10:11], s[34:35], s[10:11]
	v_bitop3_b32 v2, v0, 1, s39 bitop3:0x40
	v_bitop3_b32 v0, v0, s39, v0 bitop3:0x30
	s_load_u16 s42, s[10:11], 0x0
	s_delay_alu instid0(VALU_DEP_2) | instskip(NEXT) | instid1(VALU_DEP_1)
	v_add_co_u32 v2, s9, v2, -1
	v_cndmask_b32_e64 v3, 0, 1, s9
	s_delay_alu instid0(VALU_DEP_3) | instskip(SKIP_1) | instid1(VALU_DEP_3)
	v_dual_lshlrev_b32 v4, 30, v0 :: v_dual_lshlrev_b32 v5, 29, v0
	v_dual_lshlrev_b32 v6, 28, v0 :: v_dual_lshlrev_b32 v7, 27, v0
	v_cmp_ne_u32_e64 s9, 0, v3
	s_delay_alu instid0(VALU_DEP_3) | instskip(SKIP_1) | instid1(VALU_DEP_3)
	v_not_b32_e32 v3, v4
	v_dual_lshlrev_b32 v17, 26, v0 :: v_dual_lshlrev_b32 v24, 25, v0
	v_dual_lshlrev_b32 v25, 24, v0 :: v_dual_bitop2_b32 v2, s9, v2 bitop3:0x14
	s_wait_xcnt 0x0
	v_cmp_gt_i32_e64 s10, 0, v4
	v_cmp_gt_i32_e64 s11, 0, v5
	v_not_b32_e32 v4, v5
	v_not_b32_e32 v5, v6
	v_ashrrev_i32_e32 v3, 31, v3
	v_cmp_gt_i32_e64 s12, 0, v6
	v_cmp_gt_i32_e64 s13, 0, v7
	v_not_b32_e32 v6, v7
	v_cmp_gt_i32_e64 s14, 0, v17
	v_not_b32_e32 v7, v17
	;; [unrolled: 2-line block ×3, first 2 shown]
	v_not_b32_e32 v24, v25
	v_dual_ashrrev_i32 v4, 31, v4 :: v_dual_ashrrev_i32 v5, 31, v5
	v_dual_ashrrev_i32 v6, 31, v6 :: v_dual_bitop2_b32 v3, s10, v3 bitop3:0x14
	v_cmp_gt_i32_e64 s16, 0, v25
	s_delay_alu instid0(VALU_DEP_3) | instskip(NEXT) | instid1(VALU_DEP_4)
	v_dual_ashrrev_i32 v7, 31, v7 :: v_dual_bitop2_b32 v4, s11, v4 bitop3:0x14
	v_xor_b32_e32 v5, s12, v5
	s_delay_alu instid0(VALU_DEP_4) | instskip(SKIP_1) | instid1(VALU_DEP_4)
	v_bitop3_b32 v2, v2, v3, exec_lo bitop3:0x80
	v_dual_ashrrev_i32 v3, 31, v17 :: v_dual_bitop2_b32 v6, s13, v6 bitop3:0x14
	v_dual_ashrrev_i32 v17, 31, v24 :: v_dual_bitop2_b32 v7, s14, v7 bitop3:0x14
	s_delay_alu instid0(VALU_DEP_3) | instskip(SKIP_2) | instid1(VALU_DEP_4)
	v_bitop3_b32 v2, v2, v5, v4 bitop3:0x80
	v_mov_b32_e32 v4, 0
	v_mul_u32_u24_e32 v24, 36, v18
	v_xor_b32_e32 v5, s16, v17
	s_wait_kmcnt 0x0
	v_mad_u32 v17, v1, s42, v18
	v_bitop3_b32 v1, v2, v7, v6 bitop3:0x80
	v_mul_lo_u32 v2, 0x44, v0
	v_xor_b32_e32 v3, s15, v3
	s_not_b32 s14, s39
	ds_store_2addr_b32 v24, v4, v4 offset0:16 offset1:17
	ds_store_2addr_b32 v24, v4, v4 offset0:18 offset1:19
	;; [unrolled: 1-line block ×4, first 2 shown]
	ds_store_b32 v24, v4 offset:96
	s_wait_dscnt 0x0
	s_barrier_signal -1
	s_barrier_wait -1
	v_lshrrev_b32_e32 v0, 3, v17
	; wave barrier
	s_delay_alu instid0(VALU_DEP_1) | instskip(NEXT) | instid1(VALU_DEP_1)
	v_and_b32_e32 v0, 0x1ffffffc, v0
	v_add_nc_u32_e32 v25, v0, v2
	v_bitop3_b32 v1, v1, v5, v3 bitop3:0x80
	s_delay_alu instid0(VALU_DEP_1) | instskip(SKIP_1) | instid1(VALU_DEP_2)
	v_mbcnt_lo_u32_b32 v17, v1, 0
	v_cmp_ne_u32_e64 s10, 0, v1
	v_cmp_eq_u32_e64 s9, 0, v17
	s_and_b32 s10, s10, s9
	s_delay_alu instid0(SALU_CYCLE_1)
	s_and_saveexec_b32 s9, s10
; %bb.18:
	v_bcnt_u32_b32 v1, v1, 0
	ds_store_b32 v25, v1 offset:64
; %bb.19:
	s_or_b32 exec_lo, exec_lo, s9
	v_lshrrev_b32_e32 v1, s36, v9
	; wave barrier
	s_delay_alu instid0(VALU_DEP_1) | instskip(NEXT) | instid1(VALU_DEP_1)
	v_and_b32_e32 v2, s14, v1
	v_lshlrev_b32_e32 v5, 30, v2
	v_bitop3_b32 v1, v1, 1, s14 bitop3:0x80
	s_delay_alu instid0(VALU_DEP_2) | instskip(NEXT) | instid1(VALU_DEP_2)
	v_cmp_gt_i32_e64 s10, 0, v5
	v_add_co_u32 v1, s9, v1, -1
	s_delay_alu instid0(VALU_DEP_1) | instskip(NEXT) | instid1(VALU_DEP_1)
	v_cndmask_b32_e64 v4, 0, 1, s9
	v_cmp_ne_u32_e64 s9, 0, v4
	v_not_b32_e32 v4, v5
	s_delay_alu instid0(VALU_DEP_1) | instskip(SKIP_3) | instid1(VALU_DEP_4)
	v_dual_ashrrev_i32 v4, 31, v4 :: v_dual_lshlrev_b32 v6, 29, v2
	v_dual_lshlrev_b32 v7, 28, v2 :: v_dual_lshlrev_b32 v26, 27, v2
	v_lshlrev_b32_e32 v27, 26, v2
	v_mul_lo_u32 v3, 0x44, v2
	v_cmp_gt_i32_e64 s11, 0, v6
	v_not_b32_e32 v5, v6
	v_not_b32_e32 v6, v7
	v_cmp_gt_i32_e64 s12, 0, v7
	v_xor_b32_e32 v1, s9, v1
	s_delay_alu instid0(VALU_DEP_4) | instskip(NEXT) | instid1(VALU_DEP_4)
	v_dual_ashrrev_i32 v5, 31, v5 :: v_dual_bitop2_b32 v4, s10, v4 bitop3:0x14
	v_ashrrev_i32_e32 v6, 31, v6
	v_dual_lshlrev_b32 v28, 25, v2 :: v_dual_lshlrev_b32 v2, 24, v2
	v_not_b32_e32 v7, v26
	v_not_b32_e32 v29, v27
	v_xor_b32_e32 v5, s11, v5
	v_xor_b32_e32 v6, s12, v6
	v_bitop3_b32 v1, v1, v4, exec_lo bitop3:0x80
	v_cmp_gt_i32_e64 s9, 0, v26
	v_ashrrev_i32_e32 v4, 31, v7
	v_cmp_gt_i32_e64 s10, 0, v27
	v_ashrrev_i32_e32 v7, 31, v29
	v_bitop3_b32 v1, v1, v6, v5 bitop3:0x80
	v_not_b32_e32 v5, v28
	v_not_b32_e32 v6, v2
	v_xor_b32_e32 v4, s9, v4
	v_xor_b32_e32 v7, s10, v7
	v_cmp_gt_i32_e64 s9, 0, v28
	v_ashrrev_i32_e32 v5, 31, v5
	v_cmp_gt_i32_e64 s10, 0, v2
	v_dual_ashrrev_i32 v2, 31, v6 :: v_dual_add_nc_u32 v28, v0, v3
	v_bitop3_b32 v1, v1, v7, v4 bitop3:0x80
	s_delay_alu instid0(VALU_DEP_4) | instskip(NEXT) | instid1(VALU_DEP_3)
	v_xor_b32_e32 v3, s9, v5
	v_xor_b32_e32 v2, s10, v2
	ds_load_b32 v26, v28 offset:64
	; wave barrier
	v_bitop3_b32 v1, v1, v2, v3 bitop3:0x80
	s_delay_alu instid0(VALU_DEP_1) | instskip(SKIP_1) | instid1(VALU_DEP_2)
	v_mbcnt_lo_u32_b32 v27, v1, 0
	v_cmp_ne_u32_e64 s10, 0, v1
	v_cmp_eq_u32_e64 s9, 0, v27
	s_and_b32 s10, s10, s9
	s_delay_alu instid0(SALU_CYCLE_1)
	s_and_saveexec_b32 s9, s10
	s_cbranch_execz .LBB202_21
; %bb.20:
	s_wait_dscnt 0x0
	v_bcnt_u32_b32 v1, v1, v26
	ds_store_b32 v28, v1 offset:64
.LBB202_21:
	s_or_b32 exec_lo, exec_lo, s9
	v_lshrrev_b32_e32 v1, s36, v12
	; wave barrier
	s_delay_alu instid0(VALU_DEP_1) | instskip(NEXT) | instid1(VALU_DEP_1)
	v_and_b32_e32 v2, s14, v1
	v_lshlrev_b32_e32 v5, 30, v2
	v_bitop3_b32 v1, v1, 1, s14 bitop3:0x80
	s_delay_alu instid0(VALU_DEP_2) | instskip(NEXT) | instid1(VALU_DEP_2)
	v_cmp_gt_i32_e64 s10, 0, v5
	v_add_co_u32 v1, s9, v1, -1
	s_delay_alu instid0(VALU_DEP_1) | instskip(NEXT) | instid1(VALU_DEP_1)
	v_cndmask_b32_e64 v4, 0, 1, s9
	v_cmp_ne_u32_e64 s9, 0, v4
	v_not_b32_e32 v4, v5
	s_delay_alu instid0(VALU_DEP_1) | instskip(SKIP_3) | instid1(VALU_DEP_4)
	v_dual_ashrrev_i32 v4, 31, v4 :: v_dual_lshlrev_b32 v6, 29, v2
	v_dual_lshlrev_b32 v7, 28, v2 :: v_dual_lshlrev_b32 v29, 27, v2
	v_lshlrev_b32_e32 v30, 26, v2
	v_mul_lo_u32 v3, 0x44, v2
	v_cmp_gt_i32_e64 s11, 0, v6
	v_not_b32_e32 v5, v6
	v_not_b32_e32 v6, v7
	v_cmp_gt_i32_e64 s12, 0, v7
	v_xor_b32_e32 v1, s9, v1
	s_delay_alu instid0(VALU_DEP_4) | instskip(NEXT) | instid1(VALU_DEP_4)
	v_dual_ashrrev_i32 v5, 31, v5 :: v_dual_bitop2_b32 v4, s10, v4 bitop3:0x14
	v_ashrrev_i32_e32 v6, 31, v6
	v_dual_lshlrev_b32 v31, 25, v2 :: v_dual_lshlrev_b32 v2, 24, v2
	v_not_b32_e32 v7, v29
	v_not_b32_e32 v32, v30
	v_xor_b32_e32 v5, s11, v5
	v_xor_b32_e32 v6, s12, v6
	v_bitop3_b32 v1, v1, v4, exec_lo bitop3:0x80
	v_cmp_gt_i32_e64 s9, 0, v29
	v_ashrrev_i32_e32 v4, 31, v7
	v_cmp_gt_i32_e64 s10, 0, v30
	v_ashrrev_i32_e32 v7, 31, v32
	v_bitop3_b32 v1, v1, v6, v5 bitop3:0x80
	v_not_b32_e32 v5, v31
	v_not_b32_e32 v6, v2
	v_xor_b32_e32 v4, s9, v4
	v_xor_b32_e32 v7, s10, v7
	v_cmp_gt_i32_e64 s9, 0, v31
	v_ashrrev_i32_e32 v5, 31, v5
	v_cmp_gt_i32_e64 s10, 0, v2
	v_dual_ashrrev_i32 v2, 31, v6 :: v_dual_add_nc_u32 v31, v0, v3
	v_bitop3_b32 v1, v1, v7, v4 bitop3:0x80
	s_delay_alu instid0(VALU_DEP_4) | instskip(NEXT) | instid1(VALU_DEP_3)
	v_xor_b32_e32 v3, s9, v5
	v_xor_b32_e32 v2, s10, v2
	ds_load_b32 v29, v31 offset:64
	; wave barrier
	v_bitop3_b32 v1, v1, v2, v3 bitop3:0x80
	s_delay_alu instid0(VALU_DEP_1) | instskip(SKIP_1) | instid1(VALU_DEP_2)
	v_mbcnt_lo_u32_b32 v30, v1, 0
	v_cmp_ne_u32_e64 s10, 0, v1
	v_cmp_eq_u32_e64 s9, 0, v30
	s_and_b32 s10, s10, s9
	s_delay_alu instid0(SALU_CYCLE_1)
	s_and_saveexec_b32 s9, s10
	s_cbranch_execz .LBB202_23
; %bb.22:
	s_wait_dscnt 0x0
	v_bcnt_u32_b32 v1, v1, v29
	ds_store_b32 v31, v1 offset:64
.LBB202_23:
	s_or_b32 exec_lo, exec_lo, s9
	v_lshrrev_b32_e32 v1, s36, v11
	; wave barrier
	s_delay_alu instid0(VALU_DEP_1) | instskip(NEXT) | instid1(VALU_DEP_1)
	v_and_b32_e32 v2, s14, v1
	v_lshlrev_b32_e32 v5, 30, v2
	v_bitop3_b32 v1, v1, 1, s14 bitop3:0x80
	s_delay_alu instid0(VALU_DEP_2) | instskip(NEXT) | instid1(VALU_DEP_2)
	v_cmp_gt_i32_e64 s10, 0, v5
	v_add_co_u32 v1, s9, v1, -1
	s_delay_alu instid0(VALU_DEP_1) | instskip(NEXT) | instid1(VALU_DEP_1)
	v_cndmask_b32_e64 v4, 0, 1, s9
	v_cmp_ne_u32_e64 s9, 0, v4
	v_not_b32_e32 v4, v5
	s_delay_alu instid0(VALU_DEP_1) | instskip(SKIP_3) | instid1(VALU_DEP_4)
	v_dual_ashrrev_i32 v4, 31, v4 :: v_dual_lshlrev_b32 v6, 29, v2
	v_dual_lshlrev_b32 v7, 28, v2 :: v_dual_lshlrev_b32 v32, 27, v2
	v_lshlrev_b32_e32 v33, 26, v2
	v_mul_lo_u32 v3, 0x44, v2
	v_cmp_gt_i32_e64 s11, 0, v6
	v_not_b32_e32 v5, v6
	v_not_b32_e32 v6, v7
	v_cmp_gt_i32_e64 s12, 0, v7
	v_xor_b32_e32 v1, s9, v1
	s_delay_alu instid0(VALU_DEP_4) | instskip(NEXT) | instid1(VALU_DEP_4)
	v_dual_ashrrev_i32 v5, 31, v5 :: v_dual_bitop2_b32 v4, s10, v4 bitop3:0x14
	v_ashrrev_i32_e32 v6, 31, v6
	v_dual_lshlrev_b32 v34, 25, v2 :: v_dual_lshlrev_b32 v2, 24, v2
	v_not_b32_e32 v7, v32
	v_not_b32_e32 v35, v33
	v_xor_b32_e32 v5, s11, v5
	v_xor_b32_e32 v6, s12, v6
	v_bitop3_b32 v1, v1, v4, exec_lo bitop3:0x80
	v_cmp_gt_i32_e64 s9, 0, v32
	v_ashrrev_i32_e32 v4, 31, v7
	v_cmp_gt_i32_e64 s10, 0, v33
	v_ashrrev_i32_e32 v7, 31, v35
	v_bitop3_b32 v1, v1, v6, v5 bitop3:0x80
	v_not_b32_e32 v5, v34
	v_not_b32_e32 v6, v2
	v_xor_b32_e32 v4, s9, v4
	v_xor_b32_e32 v7, s10, v7
	v_cmp_gt_i32_e64 s9, 0, v34
	v_ashrrev_i32_e32 v5, 31, v5
	v_cmp_gt_i32_e64 s10, 0, v2
	v_dual_ashrrev_i32 v2, 31, v6 :: v_dual_add_nc_u32 v34, v0, v3
	v_bitop3_b32 v1, v1, v7, v4 bitop3:0x80
	s_delay_alu instid0(VALU_DEP_4) | instskip(NEXT) | instid1(VALU_DEP_3)
	v_xor_b32_e32 v3, s9, v5
	v_xor_b32_e32 v2, s10, v2
	ds_load_b32 v32, v34 offset:64
	; wave barrier
	v_bitop3_b32 v1, v1, v2, v3 bitop3:0x80
	s_delay_alu instid0(VALU_DEP_1) | instskip(SKIP_1) | instid1(VALU_DEP_2)
	v_mbcnt_lo_u32_b32 v33, v1, 0
	v_cmp_ne_u32_e64 s10, 0, v1
	v_cmp_eq_u32_e64 s9, 0, v33
	s_and_b32 s10, s10, s9
	s_delay_alu instid0(SALU_CYCLE_1)
	s_and_saveexec_b32 s9, s10
	s_cbranch_execz .LBB202_25
; %bb.24:
	s_wait_dscnt 0x0
	v_bcnt_u32_b32 v1, v1, v32
	ds_store_b32 v34, v1 offset:64
.LBB202_25:
	s_or_b32 exec_lo, exec_lo, s9
	v_lshrrev_b32_e32 v1, s36, v14
	; wave barrier
	s_delay_alu instid0(VALU_DEP_1) | instskip(SKIP_1) | instid1(VALU_DEP_2)
	v_and_b32_e32 v2, s14, v1
	v_bitop3_b32 v1, v1, 1, s14 bitop3:0x80
	v_dual_lshlrev_b32 v5, 30, v2 :: v_dual_lshlrev_b32 v6, 29, v2
	s_delay_alu instid0(VALU_DEP_2) | instskip(NEXT) | instid1(VALU_DEP_1)
	v_add_co_u32 v1, s9, v1, -1
	v_cndmask_b32_e64 v4, 0, 1, s9
	v_lshlrev_b32_e32 v7, 28, v2
	s_delay_alu instid0(VALU_DEP_4) | instskip(SKIP_1) | instid1(VALU_DEP_4)
	v_cmp_gt_i32_e64 s10, 0, v5
	v_cmp_gt_i32_e64 s11, 0, v6
	v_cmp_ne_u32_e64 s9, 0, v4
	v_not_b32_e32 v4, v5
	v_not_b32_e32 v5, v6
	;; [unrolled: 1-line block ×3, first 2 shown]
	s_delay_alu instid0(VALU_DEP_3) | instskip(NEXT) | instid1(VALU_DEP_2)
	v_dual_ashrrev_i32 v4, 31, v4 :: v_dual_bitop2_b32 v1, s9, v1 bitop3:0x14
	v_dual_ashrrev_i32 v5, 31, v5 :: v_dual_ashrrev_i32 v6, 31, v6
	v_mul_lo_u32 v3, 0x44, v2
	v_dual_lshlrev_b32 v35, 27, v2 :: v_dual_lshlrev_b32 v36, 26, v2
	v_dual_lshlrev_b32 v37, 25, v2 :: v_dual_lshlrev_b32 v2, 24, v2
	v_cmp_gt_i32_e64 s12, 0, v7
	v_xor_b32_e32 v4, s10, v4
	s_delay_alu instid0(VALU_DEP_4)
	v_not_b32_e32 v7, v35
	v_not_b32_e32 v38, v36
	v_xor_b32_e32 v5, s11, v5
	v_xor_b32_e32 v6, s12, v6
	v_bitop3_b32 v1, v1, v4, exec_lo bitop3:0x80
	v_cmp_gt_i32_e64 s9, 0, v35
	v_ashrrev_i32_e32 v4, 31, v7
	v_cmp_gt_i32_e64 s10, 0, v36
	v_ashrrev_i32_e32 v7, 31, v38
	v_bitop3_b32 v1, v1, v6, v5 bitop3:0x80
	v_not_b32_e32 v5, v37
	v_not_b32_e32 v6, v2
	v_xor_b32_e32 v4, s9, v4
	v_xor_b32_e32 v7, s10, v7
	v_cmp_gt_i32_e64 s9, 0, v37
	v_ashrrev_i32_e32 v5, 31, v5
	v_cmp_gt_i32_e64 s10, 0, v2
	v_dual_ashrrev_i32 v2, 31, v6 :: v_dual_add_nc_u32 v37, v0, v3
	v_bitop3_b32 v1, v1, v7, v4 bitop3:0x80
	s_delay_alu instid0(VALU_DEP_4) | instskip(NEXT) | instid1(VALU_DEP_3)
	v_xor_b32_e32 v3, s9, v5
	v_xor_b32_e32 v2, s10, v2
	ds_load_b32 v35, v37 offset:64
	; wave barrier
	v_bitop3_b32 v1, v1, v2, v3 bitop3:0x80
	s_delay_alu instid0(VALU_DEP_1) | instskip(SKIP_1) | instid1(VALU_DEP_2)
	v_mbcnt_lo_u32_b32 v36, v1, 0
	v_cmp_ne_u32_e64 s10, 0, v1
	v_cmp_eq_u32_e64 s9, 0, v36
	s_and_b32 s10, s10, s9
	s_delay_alu instid0(SALU_CYCLE_1)
	s_and_saveexec_b32 s9, s10
	s_cbranch_execz .LBB202_27
; %bb.26:
	s_wait_dscnt 0x0
	v_bcnt_u32_b32 v1, v1, v35
	ds_store_b32 v37, v1 offset:64
.LBB202_27:
	s_or_b32 exec_lo, exec_lo, s9
	v_lshrrev_b32_e32 v1, s36, v13
	; wave barrier
	s_delay_alu instid0(VALU_DEP_1) | instskip(NEXT) | instid1(VALU_DEP_1)
	v_and_b32_e32 v2, s14, v1
	v_lshlrev_b32_e32 v5, 30, v2
	v_bitop3_b32 v1, v1, 1, s14 bitop3:0x80
	s_delay_alu instid0(VALU_DEP_2) | instskip(NEXT) | instid1(VALU_DEP_2)
	v_cmp_gt_i32_e64 s10, 0, v5
	v_add_co_u32 v1, s9, v1, -1
	s_delay_alu instid0(VALU_DEP_1) | instskip(NEXT) | instid1(VALU_DEP_1)
	v_cndmask_b32_e64 v4, 0, 1, s9
	v_cmp_ne_u32_e64 s9, 0, v4
	v_not_b32_e32 v4, v5
	s_delay_alu instid0(VALU_DEP_1) | instskip(SKIP_3) | instid1(VALU_DEP_4)
	v_dual_ashrrev_i32 v4, 31, v4 :: v_dual_lshlrev_b32 v6, 29, v2
	v_dual_lshlrev_b32 v7, 28, v2 :: v_dual_lshlrev_b32 v38, 27, v2
	v_lshlrev_b32_e32 v39, 26, v2
	v_mul_lo_u32 v3, 0x44, v2
	v_cmp_gt_i32_e64 s11, 0, v6
	v_not_b32_e32 v5, v6
	v_not_b32_e32 v6, v7
	v_cmp_gt_i32_e64 s12, 0, v7
	v_xor_b32_e32 v1, s9, v1
	s_delay_alu instid0(VALU_DEP_4) | instskip(NEXT) | instid1(VALU_DEP_4)
	v_dual_ashrrev_i32 v5, 31, v5 :: v_dual_bitop2_b32 v4, s10, v4 bitop3:0x14
	v_ashrrev_i32_e32 v6, 31, v6
	v_dual_lshlrev_b32 v40, 25, v2 :: v_dual_lshlrev_b32 v2, 24, v2
	v_not_b32_e32 v7, v38
	v_not_b32_e32 v41, v39
	v_xor_b32_e32 v5, s11, v5
	v_xor_b32_e32 v6, s12, v6
	v_bitop3_b32 v1, v1, v4, exec_lo bitop3:0x80
	v_cmp_gt_i32_e64 s9, 0, v38
	v_ashrrev_i32_e32 v4, 31, v7
	v_cmp_gt_i32_e64 s10, 0, v39
	v_ashrrev_i32_e32 v7, 31, v41
	v_bitop3_b32 v1, v1, v6, v5 bitop3:0x80
	v_not_b32_e32 v5, v40
	v_not_b32_e32 v6, v2
	v_xor_b32_e32 v4, s9, v4
	v_xor_b32_e32 v7, s10, v7
	v_cmp_gt_i32_e64 s9, 0, v40
	v_ashrrev_i32_e32 v5, 31, v5
	v_cmp_gt_i32_e64 s10, 0, v2
	v_dual_ashrrev_i32 v2, 31, v6 :: v_dual_add_nc_u32 v40, v0, v3
	v_bitop3_b32 v1, v1, v7, v4 bitop3:0x80
	s_delay_alu instid0(VALU_DEP_4) | instskip(NEXT) | instid1(VALU_DEP_3)
	v_xor_b32_e32 v3, s9, v5
	v_xor_b32_e32 v2, s10, v2
	ds_load_b32 v38, v40 offset:64
	; wave barrier
	v_bitop3_b32 v1, v1, v2, v3 bitop3:0x80
	s_delay_alu instid0(VALU_DEP_1) | instskip(SKIP_1) | instid1(VALU_DEP_2)
	v_mbcnt_lo_u32_b32 v39, v1, 0
	v_cmp_ne_u32_e64 s10, 0, v1
	v_cmp_eq_u32_e64 s9, 0, v39
	s_and_b32 s10, s10, s9
	s_delay_alu instid0(SALU_CYCLE_1)
	s_and_saveexec_b32 s9, s10
	s_cbranch_execz .LBB202_29
; %bb.28:
	s_wait_dscnt 0x0
	v_bcnt_u32_b32 v1, v1, v38
	ds_store_b32 v40, v1 offset:64
.LBB202_29:
	s_or_b32 exec_lo, exec_lo, s9
	v_lshrrev_b32_e32 v1, s36, v16
	; wave barrier
	s_delay_alu instid0(VALU_DEP_1) | instskip(NEXT) | instid1(VALU_DEP_1)
	v_and_b32_e32 v2, s14, v1
	v_lshlrev_b32_e32 v5, 30, v2
	v_bitop3_b32 v1, v1, 1, s14 bitop3:0x80
	s_delay_alu instid0(VALU_DEP_2) | instskip(NEXT) | instid1(VALU_DEP_2)
	v_cmp_gt_i32_e64 s10, 0, v5
	v_add_co_u32 v1, s9, v1, -1
	s_delay_alu instid0(VALU_DEP_1) | instskip(NEXT) | instid1(VALU_DEP_1)
	v_cndmask_b32_e64 v4, 0, 1, s9
	v_cmp_ne_u32_e64 s9, 0, v4
	v_not_b32_e32 v4, v5
	s_delay_alu instid0(VALU_DEP_1) | instskip(SKIP_3) | instid1(VALU_DEP_4)
	v_dual_ashrrev_i32 v4, 31, v4 :: v_dual_lshlrev_b32 v6, 29, v2
	v_dual_lshlrev_b32 v7, 28, v2 :: v_dual_lshlrev_b32 v41, 27, v2
	v_lshlrev_b32_e32 v42, 26, v2
	v_mul_lo_u32 v3, 0x44, v2
	v_cmp_gt_i32_e64 s11, 0, v6
	v_not_b32_e32 v5, v6
	v_not_b32_e32 v6, v7
	v_cmp_gt_i32_e64 s12, 0, v7
	v_xor_b32_e32 v1, s9, v1
	s_delay_alu instid0(VALU_DEP_4) | instskip(NEXT) | instid1(VALU_DEP_4)
	v_dual_ashrrev_i32 v5, 31, v5 :: v_dual_bitop2_b32 v4, s10, v4 bitop3:0x14
	v_ashrrev_i32_e32 v6, 31, v6
	v_dual_lshlrev_b32 v43, 25, v2 :: v_dual_lshlrev_b32 v2, 24, v2
	v_not_b32_e32 v7, v41
	v_not_b32_e32 v44, v42
	v_xor_b32_e32 v5, s11, v5
	v_xor_b32_e32 v6, s12, v6
	v_bitop3_b32 v1, v1, v4, exec_lo bitop3:0x80
	v_cmp_gt_i32_e64 s9, 0, v41
	v_ashrrev_i32_e32 v4, 31, v7
	v_cmp_gt_i32_e64 s10, 0, v42
	v_ashrrev_i32_e32 v7, 31, v44
	v_bitop3_b32 v1, v1, v6, v5 bitop3:0x80
	v_not_b32_e32 v5, v43
	v_not_b32_e32 v6, v2
	v_xor_b32_e32 v4, s9, v4
	v_xor_b32_e32 v7, s10, v7
	v_cmp_gt_i32_e64 s9, 0, v43
	v_ashrrev_i32_e32 v5, 31, v5
	v_cmp_gt_i32_e64 s10, 0, v2
	v_dual_ashrrev_i32 v2, 31, v6 :: v_dual_add_nc_u32 v43, v0, v3
	v_bitop3_b32 v1, v1, v7, v4 bitop3:0x80
	s_delay_alu instid0(VALU_DEP_4) | instskip(NEXT) | instid1(VALU_DEP_3)
	v_xor_b32_e32 v3, s9, v5
	v_xor_b32_e32 v2, s10, v2
	ds_load_b32 v41, v43 offset:64
	; wave barrier
	v_bitop3_b32 v1, v1, v2, v3 bitop3:0x80
	s_delay_alu instid0(VALU_DEP_1) | instskip(SKIP_1) | instid1(VALU_DEP_2)
	v_mbcnt_lo_u32_b32 v42, v1, 0
	v_cmp_ne_u32_e64 s10, 0, v1
	v_cmp_eq_u32_e64 s9, 0, v42
	s_and_b32 s10, s10, s9
	s_delay_alu instid0(SALU_CYCLE_1)
	s_and_saveexec_b32 s9, s10
	s_cbranch_execz .LBB202_31
; %bb.30:
	s_wait_dscnt 0x0
	v_bcnt_u32_b32 v1, v1, v41
	ds_store_b32 v43, v1 offset:64
.LBB202_31:
	s_or_b32 exec_lo, exec_lo, s9
	v_lshrrev_b32_e32 v1, s36, v15
	; wave barrier
	s_delay_alu instid0(VALU_DEP_1) | instskip(NEXT) | instid1(VALU_DEP_1)
	v_and_b32_e32 v2, s14, v1
	v_lshlrev_b32_e32 v5, 30, v2
	v_bitop3_b32 v1, v1, 1, s14 bitop3:0x80
	s_delay_alu instid0(VALU_DEP_2) | instskip(NEXT) | instid1(VALU_DEP_2)
	v_cmp_gt_i32_e64 s10, 0, v5
	v_add_co_u32 v1, s9, v1, -1
	s_delay_alu instid0(VALU_DEP_1) | instskip(NEXT) | instid1(VALU_DEP_1)
	v_cndmask_b32_e64 v4, 0, 1, s9
	v_cmp_ne_u32_e64 s9, 0, v4
	v_not_b32_e32 v4, v5
	s_delay_alu instid0(VALU_DEP_1) | instskip(SKIP_3) | instid1(VALU_DEP_4)
	v_dual_ashrrev_i32 v4, 31, v4 :: v_dual_lshlrev_b32 v6, 29, v2
	v_dual_lshlrev_b32 v7, 28, v2 :: v_dual_lshlrev_b32 v44, 27, v2
	v_lshlrev_b32_e32 v45, 26, v2
	v_mul_lo_u32 v3, 0x44, v2
	v_cmp_gt_i32_e64 s11, 0, v6
	v_not_b32_e32 v5, v6
	v_not_b32_e32 v6, v7
	v_cmp_gt_i32_e64 s12, 0, v7
	v_xor_b32_e32 v1, s9, v1
	s_delay_alu instid0(VALU_DEP_4) | instskip(NEXT) | instid1(VALU_DEP_4)
	v_dual_ashrrev_i32 v5, 31, v5 :: v_dual_bitop2_b32 v4, s10, v4 bitop3:0x14
	v_ashrrev_i32_e32 v6, 31, v6
	v_dual_lshlrev_b32 v46, 25, v2 :: v_dual_lshlrev_b32 v2, 24, v2
	v_not_b32_e32 v7, v44
	v_not_b32_e32 v47, v45
	v_xor_b32_e32 v5, s11, v5
	v_xor_b32_e32 v6, s12, v6
	v_bitop3_b32 v1, v1, v4, exec_lo bitop3:0x80
	v_cmp_gt_i32_e64 s9, 0, v44
	v_ashrrev_i32_e32 v4, 31, v7
	v_cmp_gt_i32_e64 s10, 0, v45
	v_ashrrev_i32_e32 v7, 31, v47
	v_bitop3_b32 v1, v1, v6, v5 bitop3:0x80
	v_not_b32_e32 v5, v46
	v_not_b32_e32 v6, v2
	v_xor_b32_e32 v4, s9, v4
	v_xor_b32_e32 v7, s10, v7
	v_cmp_gt_i32_e64 s9, 0, v46
	v_ashrrev_i32_e32 v5, 31, v5
	v_cmp_gt_i32_e64 s10, 0, v2
	v_dual_ashrrev_i32 v2, 31, v6 :: v_dual_add_nc_u32 v46, v0, v3
	v_bitop3_b32 v0, v1, v7, v4 bitop3:0x80
	s_delay_alu instid0(VALU_DEP_4) | instskip(NEXT) | instid1(VALU_DEP_3)
	v_xor_b32_e32 v1, s9, v5
	v_xor_b32_e32 v2, s10, v2
	ds_load_b32 v44, v46 offset:64
	; wave barrier
	v_bitop3_b32 v0, v0, v2, v1 bitop3:0x80
	s_delay_alu instid0(VALU_DEP_1) | instskip(SKIP_1) | instid1(VALU_DEP_2)
	v_mbcnt_lo_u32_b32 v45, v0, 0
	v_cmp_ne_u32_e64 s10, 0, v0
	v_cmp_eq_u32_e64 s9, 0, v45
	s_and_b32 s10, s10, s9
	s_delay_alu instid0(SALU_CYCLE_1)
	s_and_saveexec_b32 s9, s10
	s_cbranch_execz .LBB202_33
; %bb.32:
	s_wait_dscnt 0x0
	v_bcnt_u32_b32 v0, v0, v44
	ds_store_b32 v46, v0 offset:64
.LBB202_33:
	s_or_b32 exec_lo, exec_lo, s9
	; wave barrier
	s_wait_dscnt 0x0
	s_barrier_signal -1
	s_barrier_wait -1
	ds_load_2addr_b32 v[6:7], v24 offset0:16 offset1:17
	ds_load_2addr_b32 v[4:5], v24 offset0:18 offset1:19
	;; [unrolled: 1-line block ×4, first 2 shown]
	ds_load_b32 v47, v24 offset:96
	v_bfe_i32 v50, v20, 4, 1
	s_mov_b32 s15, exec_lo
	s_wait_dscnt 0x3
	v_add3_u32 v48, v7, v6, v4
	s_wait_dscnt 0x2
	s_delay_alu instid0(VALU_DEP_1) | instskip(SKIP_1) | instid1(VALU_DEP_1)
	v_add3_u32 v48, v48, v5, v2
	s_wait_dscnt 0x1
	v_add3_u32 v48, v48, v3, v0
	s_wait_dscnt 0x0
	s_delay_alu instid0(VALU_DEP_1) | instskip(SKIP_1) | instid1(VALU_DEP_2)
	v_add3_u32 v47, v48, v1, v47
	v_and_b32_e32 v48, 15, v20
	v_mov_b32_dpp v49, v47 row_shr:1 row_mask:0xf bank_mask:0xf
	s_delay_alu instid0(VALU_DEP_2) | instskip(NEXT) | instid1(VALU_DEP_1)
	v_cmp_eq_u32_e64 s9, 0, v48
	v_cndmask_b32_e64 v49, v49, 0, s9
	s_delay_alu instid0(VALU_DEP_1) | instskip(SKIP_3) | instid1(VALU_DEP_4)
	v_add_nc_u32_e32 v47, v49, v47
	v_cmp_lt_u32_e64 s10, 1, v48
	v_cmp_lt_u32_e64 s11, 3, v48
	;; [unrolled: 1-line block ×3, first 2 shown]
	v_mov_b32_dpp v49, v47 row_shr:2 row_mask:0xf bank_mask:0xf
	s_delay_alu instid0(VALU_DEP_1) | instskip(NEXT) | instid1(VALU_DEP_1)
	v_cndmask_b32_e64 v49, 0, v49, s10
	v_add_nc_u32_e32 v47, v47, v49
	s_delay_alu instid0(VALU_DEP_1) | instskip(NEXT) | instid1(VALU_DEP_1)
	v_mov_b32_dpp v49, v47 row_shr:4 row_mask:0xf bank_mask:0xf
	v_cndmask_b32_e64 v49, 0, v49, s11
	s_delay_alu instid0(VALU_DEP_1) | instskip(NEXT) | instid1(VALU_DEP_1)
	v_add_nc_u32_e32 v47, v47, v49
	v_mov_b32_dpp v49, v47 row_shr:8 row_mask:0xf bank_mask:0xf
	s_delay_alu instid0(VALU_DEP_1) | instskip(SKIP_1) | instid1(VALU_DEP_2)
	v_cndmask_b32_e64 v48, 0, v49, s12
	v_and_b32_e32 v49, 0x3e0, v18
	v_add_nc_u32_e32 v47, v47, v48
	s_delay_alu instid0(VALU_DEP_2) | instskip(SKIP_3) | instid1(VALU_DEP_1)
	v_min_u32_e32 v49, 0x1e0, v49
	ds_swizzle_b32 v48, v47 offset:swizzle(BROADCAST,32,15)
	s_wait_dscnt 0x0
	v_dual_lshrrev_b32 v48, 5, v18 :: v_dual_bitop2_b32 v50, v50, v48 bitop3:0x40
	v_dual_add_nc_u32 v47, v47, v50 :: v_dual_bitop2_b32 v49, 31, v49 bitop3:0x54
	s_delay_alu instid0(VALU_DEP_1)
	v_cmpx_eq_u32_e64 v18, v49
; %bb.34:
	s_delay_alu instid0(VALU_DEP_3)
	v_lshlrev_b32_e32 v49, 2, v48
	ds_store_b32 v49, v47
; %bb.35:
	s_or_b32 exec_lo, exec_lo, s15
	s_delay_alu instid0(SALU_CYCLE_1)
	s_mov_b32 s15, exec_lo
	s_wait_dscnt 0x0
	s_barrier_signal -1
	s_barrier_wait -1
	v_cmpx_gt_u32_e32 16, v18
	s_cbranch_execz .LBB202_37
; %bb.36:
	v_lshlrev_b32_e32 v49, 2, v18
	ds_load_b32 v50, v49
	s_wait_dscnt 0x0
	v_mov_b32_dpp v51, v50 row_shr:1 row_mask:0xf bank_mask:0xf
	s_delay_alu instid0(VALU_DEP_1) | instskip(NEXT) | instid1(VALU_DEP_1)
	v_cndmask_b32_e64 v51, v51, 0, s9
	v_add_nc_u32_e32 v50, v51, v50
	s_delay_alu instid0(VALU_DEP_1) | instskip(NEXT) | instid1(VALU_DEP_1)
	v_mov_b32_dpp v51, v50 row_shr:2 row_mask:0xf bank_mask:0xf
	v_cndmask_b32_e64 v51, 0, v51, s10
	s_delay_alu instid0(VALU_DEP_1) | instskip(NEXT) | instid1(VALU_DEP_1)
	v_add_nc_u32_e32 v50, v50, v51
	v_mov_b32_dpp v51, v50 row_shr:4 row_mask:0xf bank_mask:0xf
	s_delay_alu instid0(VALU_DEP_1) | instskip(NEXT) | instid1(VALU_DEP_1)
	v_cndmask_b32_e64 v51, 0, v51, s11
	v_add_nc_u32_e32 v50, v50, v51
	s_delay_alu instid0(VALU_DEP_1) | instskip(NEXT) | instid1(VALU_DEP_1)
	v_mov_b32_dpp v51, v50 row_shr:8 row_mask:0xf bank_mask:0xf
	v_cndmask_b32_e64 v51, 0, v51, s12
	s_delay_alu instid0(VALU_DEP_1)
	v_add_nc_u32_e32 v50, v50, v51
	ds_store_b32 v49, v50
.LBB202_37:
	s_or_b32 exec_lo, exec_lo, s15
	v_mov_b32_e32 v49, 0
	s_mov_b32 s10, exec_lo
	s_wait_dscnt 0x0
	s_barrier_signal -1
	s_barrier_wait -1
	v_cmpx_lt_u32_e32 31, v18
; %bb.38:
	v_lshl_add_u32 v48, v48, 2, -4
	ds_load_b32 v49, v48
; %bb.39:
	s_or_b32 exec_lo, exec_lo, s10
	v_sub_co_u32 v48, s9, v20, 1
	s_wait_dscnt 0x0
	v_add_nc_u32_e32 v47, v49, v47
	s_delay_alu instid0(VALU_DEP_2) | instskip(NEXT) | instid1(VALU_DEP_1)
	v_cmp_gt_i32_e64 s10, 0, v48
	v_cndmask_b32_e64 v48, v48, v20, s10
	v_cmp_gt_u32_e64 s10, 0x100, v18
	s_delay_alu instid0(VALU_DEP_2) | instskip(SKIP_4) | instid1(VALU_DEP_1)
	v_lshlrev_b32_e32 v48, 2, v48
	ds_bpermute_b32 v47, v48, v47
	s_wait_dscnt 0x0
	v_cndmask_b32_e64 v47, v47, v49, s9
	v_cmp_ne_u32_e64 s9, 0, v18
	v_cndmask_b32_e64 v47, 0, v47, s9
	v_cmp_lt_u32_e64 s9, 0xff, v18
	s_delay_alu instid0(VALU_DEP_2) | instskip(NEXT) | instid1(VALU_DEP_1)
	v_add_nc_u32_e32 v6, v47, v6
	v_add_nc_u32_e32 v7, v6, v7
	s_delay_alu instid0(VALU_DEP_1) | instskip(NEXT) | instid1(VALU_DEP_1)
	v_add_nc_u32_e32 v4, v7, v4
	v_add_nc_u32_e32 v5, v4, v5
	s_delay_alu instid0(VALU_DEP_1) | instskip(NEXT) | instid1(VALU_DEP_1)
	;; [unrolled: 3-line block ×3, first 2 shown]
	v_add_nc_u32_e32 v0, v3, v0
	v_add_nc_u32_e32 v1, v0, v1
	ds_store_2addr_b32 v24, v47, v6 offset0:16 offset1:17
	ds_store_2addr_b32 v24, v7, v4 offset0:18 offset1:19
	;; [unrolled: 1-line block ×4, first 2 shown]
	ds_store_b32 v24, v1 offset:96
	s_wait_dscnt 0x0
	s_barrier_signal -1
	s_barrier_wait -1
	ds_load_b32 v0, v25 offset:64
	ds_load_b32 v1, v28 offset:64
	;; [unrolled: 1-line block ×8, first 2 shown]
                                        ; implicit-def: $vgpr24
                                        ; implicit-def: $vgpr25
	s_and_saveexec_b32 s12, s10
	s_cbranch_execz .LBB202_43
; %bb.40:
	v_mul_u32_u24_e32 v24, 0x44, v18
	v_dual_mov_b32 v25, 0x1000 :: v_dual_add_nc_u32 v28, 1, v18
	s_mov_b32 s13, exec_lo
	ds_load_b32 v24, v24 offset:64
	v_cmpx_ne_u32_e32 0x100, v28
; %bb.41:
	v_mul_u32_u24_e32 v25, 0x44, v28
	ds_load_b32 v25, v25 offset:64
; %bb.42:
	s_or_b32 exec_lo, exec_lo, s13
	s_wait_dscnt 0x0
	v_sub_nc_u32_e32 v25, v25, v24
.LBB202_43:
	s_or_b32 exec_lo, exec_lo, s12
	s_wait_dscnt 0x6
	v_add3_u32 v26, v27, v26, v1
	v_add_nc_u32_e32 v28, v0, v17
	s_wait_dscnt 0x5
	v_add3_u32 v27, v30, v29, v2
	s_wait_dscnt 0x4
	v_add3_u32 v29, v33, v32, v3
	;; [unrolled: 2-line block ×4, first 2 shown]
	v_dual_lshlrev_b32 v1, 2, v26 :: v_dual_lshlrev_b32 v0, 2, v28
	v_lshlrev_b32_e32 v2, 2, v27
	v_add3_u32 v31, v39, v38, v5
	v_add3_u32 v32, v42, v41, v6
	v_lshlrev_b32_e32 v3, 2, v29
	s_barrier_signal -1
	s_barrier_wait -1
	ds_store_b32 v0, v10 offset:1024
	ds_store_b32 v1, v9 offset:1024
	;; [unrolled: 1-line block ×4, first 2 shown]
	v_dual_lshlrev_b32 v0, 2, v30 :: v_dual_lshlrev_b32 v4, 2, v33
	v_dual_mov_b32 v1, 0 :: v_dual_lshlrev_b32 v34, 2, v18
	v_dual_lshlrev_b32 v2, 2, v31 :: v_dual_lshlrev_b32 v3, 2, v32
	ds_store_b32 v0, v14 offset:1024
	ds_store_b32 v2, v13 offset:1024
	;; [unrolled: 1-line block ×4, first 2 shown]
	s_and_saveexec_b32 s11, s10
	s_cbranch_execz .LBB202_53
; %bb.44:
	v_lshl_add_u32 v0, s17, 8, v18
	v_dual_mov_b32 v6, 0 :: v_dual_bitop2_b32 v4, 2.0, v25 bitop3:0x54
	s_mov_b32 s12, 0
	s_mov_b32 s13, s17
	s_delay_alu instid0(VALU_DEP_2)
	v_lshl_add_u64 v[2:3], v[0:1], 2, s[18:19]
	global_store_b32 v0, v4, s[18:19] scale_offset scope:SCOPE_DEV
                                        ; implicit-def: $sgpr10
	s_branch .LBB202_47
.LBB202_45:                             ;   in Loop: Header=BB202_47 Depth=1
	s_or_b32 exec_lo, exec_lo, s16
.LBB202_46:                             ;   in Loop: Header=BB202_47 Depth=1
	s_delay_alu instid0(SALU_CYCLE_1) | instskip(SKIP_2) | instid1(VALU_DEP_2)
	s_or_b32 exec_lo, exec_lo, s15
	v_and_b32_e32 v0, 0x3fffffff, v7
	v_cmp_gt_i32_e64 s10, -2.0, v7
	v_add_nc_u32_e32 v6, v0, v6
	s_and_b32 s15, exec_lo, s10
	s_delay_alu instid0(SALU_CYCLE_1) | instskip(NEXT) | instid1(SALU_CYCLE_1)
	s_or_b32 s12, s15, s12
	s_and_not1_b32 exec_lo, exec_lo, s12
	s_cbranch_execz .LBB202_52
.LBB202_47:                             ; =>This Loop Header: Depth=1
                                        ;     Child Loop BB202_50 Depth 2
	s_or_b32 s10, s10, exec_lo
	s_cmp_eq_u32 s13, 0
	s_cbranch_scc1 .LBB202_51
; %bb.48:                               ;   in Loop: Header=BB202_47 Depth=1
	s_add_co_i32 s13, s13, -1
	s_mov_b32 s15, exec_lo
	s_wait_xcnt 0x0
	v_lshl_or_b32 v0, s13, 8, v18
	global_load_b32 v7, v0, s[18:19] scale_offset scope:SCOPE_DEV
	s_wait_loadcnt 0x0
	v_cmpx_gt_u32_e32 2.0, v7
	s_cbranch_execz .LBB202_46
; %bb.49:                               ;   in Loop: Header=BB202_47 Depth=1
	v_lshl_add_u64 v[4:5], v[0:1], 2, s[18:19]
	s_mov_b32 s16, 0
.LBB202_50:                             ;   Parent Loop BB202_47 Depth=1
                                        ; =>  This Inner Loop Header: Depth=2
	global_load_b32 v7, v[4:5], off scope:SCOPE_DEV
	s_wait_loadcnt 0x0
	v_cmp_lt_u32_e64 s10, 0x3fffffff, v7
	s_or_b32 s16, s10, s16
	s_wait_xcnt 0x0
	s_and_not1_b32 exec_lo, exec_lo, s16
	s_cbranch_execnz .LBB202_50
	s_branch .LBB202_45
.LBB202_51:                             ;   in Loop: Header=BB202_47 Depth=1
                                        ; implicit-def: $sgpr13
	s_and_b32 s15, exec_lo, s10
	s_delay_alu instid0(SALU_CYCLE_1)
	s_or_b32 s12, s15, s12
	s_wait_xcnt 0x0
	s_and_not1_b32 exec_lo, exec_lo, s12
	s_cbranch_execnz .LBB202_47
.LBB202_52:
	s_or_b32 exec_lo, exec_lo, s12
	v_dual_add_nc_u32 v0, v6, v25 :: v_dual_sub_nc_u32 v1, v6, v24
	s_delay_alu instid0(VALU_DEP_1)
	v_or_b32_e32 v0, 0x80000000, v0
	global_store_b32 v[2:3], v0, off scope:SCOPE_DEV
	global_load_b32 v0, v18, s[28:29] scale_offset
	s_wait_loadcnt 0x0
	v_add_nc_u32_e32 v0, v1, v0
	ds_store_b32 v34, v0
.LBB202_53:
	s_wait_xcnt 0x0
	s_or_b32 exec_lo, exec_lo, s11
	v_lshl_add_u32 v35, v19, 5, 0x4850
	s_mov_b32 s11, exec_lo
	s_wait_storecnt_dscnt 0x0
	s_barrier_signal -1
	s_barrier_wait -1
	v_cmpx_gt_u32_e64 s33, v18
	s_cbranch_execz .LBB202_55
; %bb.54:
	ds_load_b32 v0, v34 offset:1024
	s_wait_dscnt 0x0
	v_lshrrev_b32_e32 v1, s36, v0
	s_delay_alu instid0(VALU_DEP_1) | instskip(NEXT) | instid1(VALU_DEP_1)
	v_and_b32_e32 v1, s14, v1
	v_lshlrev_b32_e32 v2, 2, v1
	ds_store_b32 v35, v1
	ds_load_b32 v2, v2
	s_wait_dscnt 0x0
	v_add_nc_u32_e32 v2, v2, v18
	global_store_b32 v2, v0, s[22:23] scale_offset
.LBB202_55:
	s_wait_xcnt 0x0
	s_or_b32 exec_lo, exec_lo, s11
	v_add_nc_u32_e32 v0, 0x200, v18
	s_mov_b32 s11, exec_lo
	s_delay_alu instid0(VALU_DEP_1)
	v_cmpx_gt_u32_e64 s33, v0
	s_cbranch_execz .LBB202_57
; %bb.56:
	ds_load_b32 v1, v34 offset:3072
	s_wait_dscnt 0x0
	v_lshrrev_b32_e32 v2, s36, v1
	s_delay_alu instid0(VALU_DEP_1) | instskip(NEXT) | instid1(VALU_DEP_1)
	v_and_b32_e32 v2, s14, v2
	v_lshlrev_b32_e32 v3, 2, v2
	ds_store_b32 v35, v2 offset:4
	ds_load_b32 v3, v3
	s_wait_dscnt 0x0
	v_add_nc_u32_e32 v0, v3, v0
	global_store_b32 v0, v1, s[22:23] scale_offset
.LBB202_57:
	s_wait_xcnt 0x0
	s_or_b32 exec_lo, exec_lo, s11
	v_or_b32_e32 v0, 0x400, v18
	s_mov_b32 s11, exec_lo
	s_delay_alu instid0(VALU_DEP_1)
	v_cmpx_gt_u32_e64 s33, v0
	s_cbranch_execz .LBB202_59
; %bb.58:
	ds_load_b32 v1, v34 offset:5120
	s_wait_dscnt 0x0
	v_lshrrev_b32_e32 v2, s36, v1
	s_delay_alu instid0(VALU_DEP_1) | instskip(NEXT) | instid1(VALU_DEP_1)
	v_and_b32_e32 v2, s14, v2
	v_lshlrev_b32_e32 v3, 2, v2
	ds_store_b32 v35, v2 offset:8
	ds_load_b32 v3, v3
	s_wait_dscnt 0x0
	v_add_nc_u32_e32 v0, v3, v0
	global_store_b32 v0, v1, s[22:23] scale_offset
.LBB202_59:
	s_wait_xcnt 0x0
	s_or_b32 exec_lo, exec_lo, s11
	v_add_nc_u32_e32 v0, 0x600, v18
	s_mov_b32 s11, exec_lo
	s_delay_alu instid0(VALU_DEP_1)
	v_cmpx_gt_u32_e64 s33, v0
	s_cbranch_execz .LBB202_61
; %bb.60:
	ds_load_b32 v1, v34 offset:7168
	s_wait_dscnt 0x0
	v_lshrrev_b32_e32 v2, s36, v1
	s_delay_alu instid0(VALU_DEP_1) | instskip(NEXT) | instid1(VALU_DEP_1)
	v_and_b32_e32 v2, s14, v2
	v_lshlrev_b32_e32 v3, 2, v2
	ds_store_b32 v35, v2 offset:12
	ds_load_b32 v3, v3
	s_wait_dscnt 0x0
	v_add_nc_u32_e32 v0, v3, v0
	global_store_b32 v0, v1, s[22:23] scale_offset
.LBB202_61:
	s_wait_xcnt 0x0
	s_or_b32 exec_lo, exec_lo, s11
	v_or_b32_e32 v0, 0x800, v18
	v_add_nc_u32_e32 v36, 16, v35
	s_mov_b32 s11, exec_lo
	s_delay_alu instid0(VALU_DEP_2)
	v_cmpx_gt_u32_e64 s33, v0
	s_cbranch_execz .LBB202_63
; %bb.62:
	ds_load_b32 v1, v34 offset:9216
	s_wait_dscnt 0x0
	v_lshrrev_b32_e32 v2, s36, v1
	s_delay_alu instid0(VALU_DEP_1) | instskip(NEXT) | instid1(VALU_DEP_1)
	v_and_b32_e32 v2, s14, v2
	v_lshlrev_b32_e32 v3, 2, v2
	ds_store_b32 v36, v2
	ds_load_b32 v3, v3
	s_wait_dscnt 0x0
	v_add_nc_u32_e32 v0, v3, v0
	global_store_b32 v0, v1, s[22:23] scale_offset
.LBB202_63:
	s_wait_xcnt 0x0
	s_or_b32 exec_lo, exec_lo, s11
	v_add_nc_u32_e32 v0, 0xa00, v18
	s_mov_b32 s11, exec_lo
	s_delay_alu instid0(VALU_DEP_1)
	v_cmpx_gt_u32_e64 s33, v0
	s_cbranch_execz .LBB202_65
; %bb.64:
	ds_load_b32 v1, v34 offset:11264
	s_wait_dscnt 0x0
	v_lshrrev_b32_e32 v2, s36, v1
	s_delay_alu instid0(VALU_DEP_1) | instskip(NEXT) | instid1(VALU_DEP_1)
	v_and_b32_e32 v2, s14, v2
	v_lshlrev_b32_e32 v3, 2, v2
	ds_store_b32 v35, v2 offset:20
	ds_load_b32 v3, v3
	s_wait_dscnt 0x0
	v_add_nc_u32_e32 v0, v3, v0
	global_store_b32 v0, v1, s[22:23] scale_offset
.LBB202_65:
	s_wait_xcnt 0x0
	s_or_b32 exec_lo, exec_lo, s11
	v_or_b32_e32 v0, 0xc00, v18
	s_mov_b32 s11, exec_lo
	s_delay_alu instid0(VALU_DEP_1)
	v_cmpx_gt_u32_e64 s33, v0
	s_cbranch_execz .LBB202_67
; %bb.66:
	ds_load_b32 v1, v34 offset:13312
	s_wait_dscnt 0x0
	v_lshrrev_b32_e32 v2, s36, v1
	s_delay_alu instid0(VALU_DEP_1) | instskip(NEXT) | instid1(VALU_DEP_1)
	v_and_b32_e32 v2, s14, v2
	v_lshlrev_b32_e32 v3, 2, v2
	ds_store_b32 v35, v2 offset:24
	ds_load_b32 v3, v3
	s_wait_dscnt 0x0
	v_add_nc_u32_e32 v0, v3, v0
	global_store_b32 v0, v1, s[22:23] scale_offset
.LBB202_67:
	s_wait_xcnt 0x0
	s_or_b32 exec_lo, exec_lo, s11
	v_add_nc_u32_e32 v0, 0xe00, v18
	s_mov_b32 s11, exec_lo
	s_delay_alu instid0(VALU_DEP_1)
	v_cmpx_gt_u32_e64 s33, v0
	s_cbranch_execz .LBB202_69
; %bb.68:
	ds_load_b32 v1, v34 offset:15360
	s_wait_dscnt 0x0
	v_lshrrev_b32_e32 v2, s36, v1
	s_delay_alu instid0(VALU_DEP_1) | instskip(NEXT) | instid1(VALU_DEP_1)
	v_and_b32_e32 v2, s14, v2
	v_lshlrev_b32_e32 v3, 2, v2
	ds_store_b32 v35, v2 offset:28
	ds_load_b32 v3, v3
	s_wait_dscnt 0x0
	v_add_nc_u32_e32 v0, v3, v0
	global_store_b32 v0, v1, s[22:23] scale_offset
.LBB202_69:
	s_wait_xcnt 0x0
	s_or_b32 exec_lo, exec_lo, s11
	v_dual_mov_b32 v0, 0 :: v_dual_lshlrev_b32 v2, 3, v20
	s_lshl_b64 s[10:11], s[40:41], 3
	v_lshlrev_b32_e32 v4, 3, v8
	s_add_nc_u64 s[10:11], s[24:25], s[10:11]
	s_delay_alu instid0(VALU_DEP_2) | instskip(NEXT) | instid1(VALU_DEP_1)
	v_dual_mov_b32 v3, v0 :: v_dual_mov_b32 v5, v0
	v_add_nc_u64_e32 v[2:3], s[10:11], v[2:3]
	s_delay_alu instid0(VALU_DEP_1)
	v_add_nc_u64_e32 v[16:17], v[2:3], v[4:5]
	v_dual_mov_b32 v2, 0 :: v_dual_mov_b32 v3, 0
	s_and_saveexec_b32 s10, s8
	s_cbranch_execz .LBB202_71
; %bb.70:
	global_load_b64 v[2:3], v[16:17], off
.LBB202_71:
	s_wait_xcnt 0x0
	s_or_b32 exec_lo, exec_lo, s10
	v_mov_b32_e32 v1, 0
	s_and_saveexec_b32 s8, s7
	s_cbranch_execz .LBB202_73
; %bb.72:
	global_load_b64 v[0:1], v[16:17], off offset:256
.LBB202_73:
	s_wait_xcnt 0x0
	s_or_b32 exec_lo, exec_lo, s8
	v_dual_mov_b32 v4, 0 :: v_dual_mov_b32 v6, 0
	v_mov_b32_e32 v7, 0
	s_and_saveexec_b32 s7, s6
	s_cbranch_execz .LBB202_75
; %bb.74:
	global_load_b64 v[6:7], v[16:17], off offset:512
.LBB202_75:
	s_wait_xcnt 0x0
	s_or_b32 exec_lo, exec_lo, s7
	v_mov_b32_e32 v5, 0
	s_and_saveexec_b32 s6, s5
	s_cbranch_execz .LBB202_77
; %bb.76:
	global_load_b64 v[4:5], v[16:17], off offset:768
.LBB202_77:
	s_wait_xcnt 0x0
	s_or_b32 exec_lo, exec_lo, s6
	v_dual_mov_b32 v8, 0 :: v_dual_mov_b32 v10, 0
	v_mov_b32_e32 v11, 0
	s_and_saveexec_b32 s5, s4
	s_cbranch_execz .LBB202_79
; %bb.78:
	global_load_b64 v[10:11], v[16:17], off offset:1024
.LBB202_79:
	;; [unrolled: 17-line block ×3, first 2 shown]
	s_wait_xcnt 0x0
	s_or_b32 exec_lo, exec_lo, s1
	v_mov_b32_e32 v13, 0
	s_and_saveexec_b32 s0, vcc_lo
	s_cbranch_execz .LBB202_85
; %bb.84:
	global_load_b64 v[12:13], v[16:17], off offset:1792
.LBB202_85:
	s_wait_xcnt 0x0
	s_or_b32 exec_lo, exec_lo, s0
	v_mov_b32_e32 v16, v18
	s_mov_b32 s0, -1
	s_wait_loadcnt 0x0
	s_wait_storecnt 0x0
	s_barrier_signal -1
	s_barrier_wait -1
	s_branch .LBB202_87
.LBB202_86:                             ;   in Loop: Header=BB202_87 Depth=1
	s_wait_xcnt 0x0
	s_or_b32 exec_lo, exec_lo, s1
	v_dual_mov_b32 v35, v36 :: v_dual_add_nc_u32 v16, 0x800, v16
	v_add_nc_u32_e32 v33, 0xfffff800, v33
	v_add_nc_u32_e32 v32, 0xfffff800, v32
	;; [unrolled: 1-line block ×8, first 2 shown]
	s_xor_b32 s0, s0, -1
	s_wait_storecnt 0x0
	s_and_b32 vcc_lo, exec_lo, s0
	s_mov_b32 s0, 0
	s_barrier_signal -1
	s_barrier_wait -1
	s_cbranch_vccnz .LBB202_95
.LBB202_87:                             ; =>This Inner Loop Header: Depth=1
	v_min_u32_e32 v17, 0x800, v28
	v_min_u32_e32 v37, 0x800, v26
	;; [unrolled: 1-line block ×5, first 2 shown]
	v_lshlrev_b32_e32 v17, 3, v17
	s_delay_alu instid0(VALU_DEP_4) | instskip(NEXT) | instid1(VALU_DEP_4)
	v_dual_lshlrev_b32 v37, 3, v37 :: v_dual_lshlrev_b32 v38, 3, v38
	v_lshlrev_b32_e32 v39, 3, v39
	s_mov_b32 s1, exec_lo
	ds_store_b64 v17, v[2:3] offset:1024
	ds_store_b64 v37, v[0:1] offset:1024
	;; [unrolled: 1-line block ×3, first 2 shown]
	v_min_u32_e32 v17, 0x800, v31
	v_min_u32_e32 v37, 0x800, v32
	;; [unrolled: 1-line block ×3, first 2 shown]
	s_delay_alu instid0(VALU_DEP_3) | instskip(NEXT) | instid1(VALU_DEP_2)
	v_dual_lshlrev_b32 v40, 3, v40 :: v_dual_lshlrev_b32 v17, 3, v17
	v_dual_lshlrev_b32 v37, 3, v37 :: v_dual_lshlrev_b32 v38, 3, v38
	ds_store_b64 v39, v[4:5] offset:1024
	ds_store_b64 v40, v[10:11] offset:1024
	;; [unrolled: 1-line block ×5, first 2 shown]
	s_wait_dscnt 0x0
	s_barrier_signal -1
	s_barrier_wait -1
	v_cmpx_gt_u32_e64 s33, v16
	s_cbranch_execz .LBB202_89
; %bb.88:                               ;   in Loop: Header=BB202_87 Depth=1
	ds_load_b32 v17, v35
	s_wait_dscnt 0x0
	v_lshlrev_b32_e32 v17, 2, v17
	ds_load_b32 v17, v17
	ds_load_b64 v[38:39], v23 offset:1024
	s_wait_dscnt 0x1
	v_add_nc_u32_e32 v17, v16, v17
	s_wait_dscnt 0x0
	global_store_b64 v17, v[38:39], s[26:27] scale_offset
.LBB202_89:                             ;   in Loop: Header=BB202_87 Depth=1
	s_wait_xcnt 0x0
	s_or_b32 exec_lo, exec_lo, s1
	v_add_nc_u32_e32 v17, 0x200, v16
	s_mov_b32 s1, exec_lo
	s_delay_alu instid0(VALU_DEP_1)
	v_cmpx_gt_u32_e64 s33, v17
	s_cbranch_execz .LBB202_91
; %bb.90:                               ;   in Loop: Header=BB202_87 Depth=1
	ds_load_b32 v17, v35 offset:4
	s_wait_dscnt 0x0
	v_lshlrev_b32_e32 v17, 2, v17
	ds_load_b32 v17, v17
	ds_load_b64 v[38:39], v23 offset:5120
	s_wait_dscnt 0x1
	v_add3_u32 v17, v16, v17, 0x200
	s_wait_dscnt 0x0
	global_store_b64 v17, v[38:39], s[26:27] scale_offset
.LBB202_91:                             ;   in Loop: Header=BB202_87 Depth=1
	s_wait_xcnt 0x0
	s_or_b32 exec_lo, exec_lo, s1
	v_add_nc_u32_e32 v17, 0x400, v16
	s_mov_b32 s1, exec_lo
	s_delay_alu instid0(VALU_DEP_1)
	v_cmpx_gt_u32_e64 s33, v17
	s_cbranch_execz .LBB202_93
; %bb.92:                               ;   in Loop: Header=BB202_87 Depth=1
	ds_load_b32 v17, v35 offset:8
	s_wait_dscnt 0x0
	v_lshlrev_b32_e32 v17, 2, v17
	ds_load_b32 v17, v17
	ds_load_b64 v[38:39], v23 offset:9216
	s_wait_dscnt 0x1
	v_add3_u32 v17, v16, v17, 0x400
	s_wait_dscnt 0x0
	global_store_b64 v17, v[38:39], s[26:27] scale_offset
.LBB202_93:                             ;   in Loop: Header=BB202_87 Depth=1
	s_wait_xcnt 0x0
	s_or_b32 exec_lo, exec_lo, s1
	v_add_nc_u32_e32 v17, 0x600, v16
	s_mov_b32 s1, exec_lo
	s_delay_alu instid0(VALU_DEP_1)
	v_cmpx_gt_u32_e64 s33, v17
	s_cbranch_execz .LBB202_86
; %bb.94:                               ;   in Loop: Header=BB202_87 Depth=1
	ds_load_b32 v17, v35 offset:12
	s_wait_dscnt 0x0
	v_lshlrev_b32_e32 v17, 2, v17
	ds_load_b32 v17, v17
	ds_load_b64 v[38:39], v23 offset:13312
	s_wait_dscnt 0x1
	v_add3_u32 v17, v16, v17, 0x600
	s_wait_dscnt 0x0
	global_store_b64 v17, v[38:39], s[26:27] scale_offset
	s_branch .LBB202_86
.LBB202_95:
	s_add_co_i32 s38, s38, -1
	s_delay_alu instid0(SALU_CYCLE_1) | instskip(SKIP_2) | instid1(SALU_CYCLE_1)
	s_cmp_eq_u32 s17, s38
	s_cselect_b32 s0, -1, 0
	s_xor_b32 s1, s9, -1
	s_and_b32 s1, s1, s0
	s_delay_alu instid0(SALU_CYCLE_1)
	s_and_saveexec_b32 s0, s1
	s_cbranch_execz .LBB202_97
; %bb.96:
	ds_load_b32 v0, v34
	s_wait_dscnt 0x0
	v_add3_u32 v0, v24, v25, v0
	global_store_b32 v18, v0, s[30:31] scale_offset
.LBB202_97:
	s_wait_xcnt 0x0
	s_or_b32 exec_lo, exec_lo, s0
	s_mov_b32 s0, 0
.LBB202_98:
	s_delay_alu instid0(SALU_CYCLE_1)
	s_and_b32 vcc_lo, exec_lo, s0
	s_cbranch_vccz .LBB202_139
; %bb.99:
	s_lshl_b32 s8, s17, 12
	s_mov_b32 s9, 0
	v_dual_mov_b32 v3, 0 :: v_dual_lshlrev_b32 v2, 2, v20
	s_lshl_b64 s[0:1], s[8:9], 2
	v_and_b32_e32 v8, 0x1f00, v23
	s_add_nc_u64 s[0:1], s[20:21], s[0:1]
	v_mul_u32_u24_e32 v27, 36, v18
	v_add_nc_u64_e32 v[0:1], s[0:1], v[2:3]
	s_mov_b32 s1, s9
	v_lshlrev_b32_e32 v2, 2, v8
	s_delay_alu instid0(VALU_DEP_1)
	v_add_nc_u64_e32 v[0:1], v[0:1], v[2:3]
	s_clause 0x7
	global_load_b32 v13, v[0:1], off
	global_load_b32 v14, v[0:1], off offset:128
	global_load_b32 v15, v[0:1], off offset:256
	;; [unrolled: 1-line block ×7, first 2 shown]
	s_clause 0x1
	s_load_b32 s7, s[2:3], 0x58
	s_load_u16 s4, s[2:3], 0x66
	s_wait_kmcnt 0x0
	s_cmp_lt_u32 s17, s7
	v_mad_u32_u24 v1, v22, s4, v21
	s_cselect_b32 s0, 12, 18
	s_lshl_b32 s10, -1, s37
	s_add_nc_u64 s[0:1], s[34:35], s[0:1]
	s_load_u16 s11, s[0:1], 0x0
	ds_store_2addr_b32 v27, v3, v3 offset0:16 offset1:17
	ds_store_2addr_b32 v27, v3, v3 offset0:18 offset1:19
	;; [unrolled: 1-line block ×4, first 2 shown]
	ds_store_b32 v27, v3 offset:96
	s_wait_storecnt 0x0
	s_wait_loadcnt_dscnt 0x0
	s_barrier_signal -1
	s_barrier_wait -1
	; wave barrier
	v_lshrrev_b32_e32 v0, s36, v13
	s_delay_alu instid0(VALU_DEP_1) | instskip(SKIP_2) | instid1(VALU_DEP_2)
	v_bitop3_b32 v2, v0, 1, s10 bitop3:0x40
	v_bitop3_b32 v0, v0, s10, v0 bitop3:0x30
	s_wait_xcnt 0x0
	v_add_co_u32 v2, s0, v2, -1
	s_delay_alu instid0(VALU_DEP_1) | instskip(NEXT) | instid1(VALU_DEP_3)
	v_cndmask_b32_e64 v4, 0, 1, s0
	v_dual_lshlrev_b32 v5, 30, v0 :: v_dual_lshlrev_b32 v6, 29, v0
	v_dual_lshlrev_b32 v7, 28, v0 :: v_dual_lshlrev_b32 v16, 27, v0
	s_delay_alu instid0(VALU_DEP_3) | instskip(NEXT) | instid1(VALU_DEP_3)
	v_cmp_ne_u32_e32 vcc_lo, 0, v4
	v_not_b32_e32 v4, v5
	v_dual_lshlrev_b32 v17, 26, v0 :: v_dual_lshlrev_b32 v21, 25, v0
	v_cmp_gt_i32_e64 s0, 0, v5
	v_cmp_gt_i32_e64 s1, 0, v6
	v_not_b32_e32 v5, v6
	v_not_b32_e32 v6, v7
	v_ashrrev_i32_e32 v4, 31, v4
	v_dual_lshlrev_b32 v22, 24, v0 :: v_dual_bitop2_b32 v2, vcc_lo, v2 bitop3:0x14
	v_cmp_gt_i32_e64 s2, 0, v7
	v_cmp_gt_i32_e64 s3, 0, v16
	v_not_b32_e32 v7, v16
	v_not_b32_e32 v16, v17
	v_dual_ashrrev_i32 v5, 31, v5 :: v_dual_ashrrev_i32 v6, 31, v6
	v_xor_b32_e32 v4, s0, v4
	v_cmp_gt_i32_e64 s4, 0, v17
	v_cmp_gt_i32_e64 s5, 0, v21
	v_not_b32_e32 v17, v21
	v_not_b32_e32 v21, v22
	v_dual_ashrrev_i32 v7, 31, v7 :: v_dual_ashrrev_i32 v16, 31, v16
	v_xor_b32_e32 v5, s1, v5
	v_xor_b32_e32 v6, s2, v6
	v_bitop3_b32 v2, v2, v4, exec_lo bitop3:0x80
	v_cmp_gt_i32_e64 s6, 0, v22
	v_ashrrev_i32_e32 v4, 31, v17
	v_dual_ashrrev_i32 v17, 31, v21 :: v_dual_bitop2_b32 v7, s3, v7 bitop3:0x14
	s_delay_alu instid0(VALU_DEP_4)
	v_bitop3_b32 v2, v2, v6, v5 bitop3:0x80
	s_wait_kmcnt 0x0
	v_mad_u32 v5, v1, s11, v18
	v_xor_b32_e32 v16, s4, v16
	v_xor_b32_e32 v1, s5, v4
	;; [unrolled: 1-line block ×3, first 2 shown]
	s_not_b32 s4, s10
	s_delay_alu instid0(VALU_DEP_3) | instskip(NEXT) | instid1(VALU_DEP_1)
	v_bitop3_b32 v2, v2, v16, v7 bitop3:0x80
	v_bitop3_b32 v1, v2, v4, v1 bitop3:0x80
	v_mul_lo_u32 v2, 0x44, v0
	v_lshrrev_b32_e32 v0, 3, v5
	s_delay_alu instid0(VALU_DEP_3) | instskip(SKIP_1) | instid1(VALU_DEP_3)
	v_mbcnt_lo_u32_b32 v24, v1, 0
	v_cmp_ne_u32_e64 s0, 0, v1
	v_and_b32_e32 v0, 0x1ffffffc, v0
	s_delay_alu instid0(VALU_DEP_3) | instskip(NEXT) | instid1(VALU_DEP_2)
	v_cmp_eq_u32_e32 vcc_lo, 0, v24
	v_add_nc_u32_e32 v28, v0, v2
	s_and_b32 s1, s0, vcc_lo
	s_delay_alu instid0(SALU_CYCLE_1)
	s_and_saveexec_b32 s0, s1
; %bb.100:
	v_bcnt_u32_b32 v1, v1, 0
	ds_store_b32 v28, v1 offset:64
; %bb.101:
	s_or_b32 exec_lo, exec_lo, s0
	v_lshrrev_b32_e32 v1, s36, v14
	; wave barrier
	s_delay_alu instid0(VALU_DEP_1) | instskip(SKIP_1) | instid1(VALU_DEP_2)
	v_and_b32_e32 v2, s4, v1
	v_bitop3_b32 v1, v1, 1, s4 bitop3:0x80
	v_dual_lshlrev_b32 v5, 30, v2 :: v_dual_lshlrev_b32 v6, 29, v2
	s_delay_alu instid0(VALU_DEP_2) | instskip(NEXT) | instid1(VALU_DEP_1)
	v_add_co_u32 v1, s0, v1, -1
	v_cndmask_b32_e64 v4, 0, 1, s0
	v_lshlrev_b32_e32 v7, 28, v2
	s_delay_alu instid0(VALU_DEP_4) | instskip(SKIP_1) | instid1(VALU_DEP_4)
	v_cmp_gt_i32_e64 s0, 0, v5
	v_cmp_gt_i32_e64 s1, 0, v6
	v_cmp_ne_u32_e32 vcc_lo, 0, v4
	v_not_b32_e32 v4, v5
	v_not_b32_e32 v5, v6
	v_not_b32_e32 v6, v7
	s_delay_alu instid0(VALU_DEP_3) | instskip(NEXT) | instid1(VALU_DEP_2)
	v_dual_ashrrev_i32 v4, 31, v4 :: v_dual_bitop2_b32 v1, vcc_lo, v1 bitop3:0x14
	v_dual_ashrrev_i32 v5, 31, v5 :: v_dual_ashrrev_i32 v6, 31, v6
	v_mul_lo_u32 v3, 0x44, v2
	v_dual_lshlrev_b32 v16, 27, v2 :: v_dual_lshlrev_b32 v17, 26, v2
	v_dual_lshlrev_b32 v21, 25, v2 :: v_dual_lshlrev_b32 v2, 24, v2
	v_cmp_gt_i32_e64 s2, 0, v7
	v_xor_b32_e32 v4, s0, v4
	s_delay_alu instid0(VALU_DEP_4)
	v_not_b32_e32 v7, v16
	v_not_b32_e32 v22, v17
	v_xor_b32_e32 v5, s1, v5
	v_xor_b32_e32 v6, s2, v6
	v_bitop3_b32 v1, v1, v4, exec_lo bitop3:0x80
	v_cmp_gt_i32_e32 vcc_lo, 0, v16
	v_ashrrev_i32_e32 v4, 31, v7
	v_cmp_gt_i32_e64 s0, 0, v17
	v_ashrrev_i32_e32 v7, 31, v22
	v_bitop3_b32 v1, v1, v6, v5 bitop3:0x80
	v_not_b32_e32 v5, v21
	v_not_b32_e32 v6, v2
	v_xor_b32_e32 v4, vcc_lo, v4
	v_xor_b32_e32 v7, s0, v7
	v_cmp_gt_i32_e32 vcc_lo, 0, v21
	v_ashrrev_i32_e32 v5, 31, v5
	v_cmp_gt_i32_e64 s0, 0, v2
	v_dual_ashrrev_i32 v2, 31, v6 :: v_dual_add_nc_u32 v31, v0, v3
	v_bitop3_b32 v1, v1, v7, v4 bitop3:0x80
	s_delay_alu instid0(VALU_DEP_4) | instskip(NEXT) | instid1(VALU_DEP_3)
	v_xor_b32_e32 v3, vcc_lo, v5
	v_xor_b32_e32 v2, s0, v2
	ds_load_b32 v16, v31 offset:64
	; wave barrier
	v_bitop3_b32 v1, v1, v2, v3 bitop3:0x80
	s_delay_alu instid0(VALU_DEP_1) | instskip(SKIP_1) | instid1(VALU_DEP_2)
	v_mbcnt_lo_u32_b32 v17, v1, 0
	v_cmp_ne_u32_e64 s0, 0, v1
	v_cmp_eq_u32_e32 vcc_lo, 0, v17
	s_and_b32 s1, s0, vcc_lo
	s_delay_alu instid0(SALU_CYCLE_1)
	s_and_saveexec_b32 s0, s1
	s_cbranch_execz .LBB202_103
; %bb.102:
	s_wait_dscnt 0x0
	v_bcnt_u32_b32 v1, v1, v16
	ds_store_b32 v31, v1 offset:64
.LBB202_103:
	s_or_b32 exec_lo, exec_lo, s0
	v_lshrrev_b32_e32 v1, s36, v15
	; wave barrier
	s_delay_alu instid0(VALU_DEP_1) | instskip(NEXT) | instid1(VALU_DEP_1)
	v_and_b32_e32 v2, s4, v1
	v_lshlrev_b32_e32 v5, 30, v2
	v_bitop3_b32 v1, v1, 1, s4 bitop3:0x80
	s_delay_alu instid0(VALU_DEP_1) | instskip(NEXT) | instid1(VALU_DEP_1)
	v_add_co_u32 v1, s0, v1, -1
	v_cndmask_b32_e64 v4, 0, 1, s0
	s_delay_alu instid0(VALU_DEP_4) | instskip(NEXT) | instid1(VALU_DEP_2)
	v_cmp_gt_i32_e64 s0, 0, v5
	v_cmp_ne_u32_e32 vcc_lo, 0, v4
	v_not_b32_e32 v4, v5
	s_delay_alu instid0(VALU_DEP_1) | instskip(SKIP_3) | instid1(VALU_DEP_4)
	v_dual_ashrrev_i32 v4, 31, v4 :: v_dual_lshlrev_b32 v6, 29, v2
	v_dual_lshlrev_b32 v7, 28, v2 :: v_dual_lshlrev_b32 v21, 27, v2
	v_lshlrev_b32_e32 v22, 26, v2
	v_mul_lo_u32 v3, 0x44, v2
	v_cmp_gt_i32_e64 s1, 0, v6
	v_not_b32_e32 v5, v6
	v_not_b32_e32 v6, v7
	v_cmp_gt_i32_e64 s2, 0, v7
	v_xor_b32_e32 v1, vcc_lo, v1
	s_delay_alu instid0(VALU_DEP_4) | instskip(NEXT) | instid1(VALU_DEP_4)
	v_dual_ashrrev_i32 v5, 31, v5 :: v_dual_bitop2_b32 v4, s0, v4 bitop3:0x14
	v_ashrrev_i32_e32 v6, 31, v6
	v_dual_lshlrev_b32 v25, 25, v2 :: v_dual_lshlrev_b32 v2, 24, v2
	v_not_b32_e32 v7, v21
	v_not_b32_e32 v26, v22
	v_xor_b32_e32 v5, s1, v5
	v_xor_b32_e32 v6, s2, v6
	v_bitop3_b32 v1, v1, v4, exec_lo bitop3:0x80
	v_cmp_gt_i32_e32 vcc_lo, 0, v21
	v_ashrrev_i32_e32 v4, 31, v7
	v_cmp_gt_i32_e64 s0, 0, v22
	v_ashrrev_i32_e32 v7, 31, v26
	v_bitop3_b32 v1, v1, v6, v5 bitop3:0x80
	v_not_b32_e32 v5, v25
	v_not_b32_e32 v6, v2
	v_xor_b32_e32 v4, vcc_lo, v4
	v_xor_b32_e32 v7, s0, v7
	v_cmp_gt_i32_e32 vcc_lo, 0, v25
	v_ashrrev_i32_e32 v5, 31, v5
	v_cmp_gt_i32_e64 s0, 0, v2
	v_dual_ashrrev_i32 v2, 31, v6 :: v_dual_add_nc_u32 v34, v0, v3
	v_bitop3_b32 v1, v1, v7, v4 bitop3:0x80
	s_delay_alu instid0(VALU_DEP_4) | instskip(NEXT) | instid1(VALU_DEP_3)
	v_xor_b32_e32 v3, vcc_lo, v5
	v_xor_b32_e32 v2, s0, v2
	ds_load_b32 v21, v34 offset:64
	; wave barrier
	v_bitop3_b32 v1, v1, v2, v3 bitop3:0x80
	s_delay_alu instid0(VALU_DEP_1) | instskip(SKIP_1) | instid1(VALU_DEP_2)
	v_mbcnt_lo_u32_b32 v22, v1, 0
	v_cmp_ne_u32_e64 s0, 0, v1
	v_cmp_eq_u32_e32 vcc_lo, 0, v22
	s_and_b32 s1, s0, vcc_lo
	s_delay_alu instid0(SALU_CYCLE_1)
	s_and_saveexec_b32 s0, s1
	s_cbranch_execz .LBB202_105
; %bb.104:
	s_wait_dscnt 0x0
	v_bcnt_u32_b32 v1, v1, v21
	ds_store_b32 v34, v1 offset:64
.LBB202_105:
	s_or_b32 exec_lo, exec_lo, s0
	v_lshrrev_b32_e32 v1, s36, v23
	; wave barrier
	s_delay_alu instid0(VALU_DEP_1) | instskip(NEXT) | instid1(VALU_DEP_1)
	v_and_b32_e32 v2, s4, v1
	v_lshlrev_b32_e32 v5, 30, v2
	v_bitop3_b32 v1, v1, 1, s4 bitop3:0x80
	s_delay_alu instid0(VALU_DEP_1) | instskip(NEXT) | instid1(VALU_DEP_1)
	v_add_co_u32 v1, s0, v1, -1
	v_cndmask_b32_e64 v4, 0, 1, s0
	s_delay_alu instid0(VALU_DEP_4) | instskip(NEXT) | instid1(VALU_DEP_2)
	v_cmp_gt_i32_e64 s0, 0, v5
	v_cmp_ne_u32_e32 vcc_lo, 0, v4
	v_not_b32_e32 v4, v5
	s_delay_alu instid0(VALU_DEP_1) | instskip(SKIP_3) | instid1(VALU_DEP_4)
	v_dual_ashrrev_i32 v4, 31, v4 :: v_dual_lshlrev_b32 v6, 29, v2
	v_dual_lshlrev_b32 v7, 28, v2 :: v_dual_lshlrev_b32 v25, 27, v2
	v_lshlrev_b32_e32 v26, 26, v2
	v_mul_lo_u32 v3, 0x44, v2
	v_cmp_gt_i32_e64 s1, 0, v6
	v_not_b32_e32 v5, v6
	v_not_b32_e32 v6, v7
	v_cmp_gt_i32_e64 s2, 0, v7
	v_xor_b32_e32 v1, vcc_lo, v1
	s_delay_alu instid0(VALU_DEP_4) | instskip(NEXT) | instid1(VALU_DEP_4)
	v_dual_ashrrev_i32 v5, 31, v5 :: v_dual_bitop2_b32 v4, s0, v4 bitop3:0x14
	v_ashrrev_i32_e32 v6, 31, v6
	v_dual_lshlrev_b32 v29, 25, v2 :: v_dual_lshlrev_b32 v2, 24, v2
	v_not_b32_e32 v7, v25
	v_not_b32_e32 v30, v26
	v_xor_b32_e32 v5, s1, v5
	v_xor_b32_e32 v6, s2, v6
	v_bitop3_b32 v1, v1, v4, exec_lo bitop3:0x80
	v_cmp_gt_i32_e32 vcc_lo, 0, v25
	v_ashrrev_i32_e32 v4, 31, v7
	v_cmp_gt_i32_e64 s0, 0, v26
	v_ashrrev_i32_e32 v7, 31, v30
	v_bitop3_b32 v1, v1, v6, v5 bitop3:0x80
	v_not_b32_e32 v5, v29
	v_not_b32_e32 v6, v2
	v_xor_b32_e32 v4, vcc_lo, v4
	v_xor_b32_e32 v7, s0, v7
	v_cmp_gt_i32_e32 vcc_lo, 0, v29
	v_ashrrev_i32_e32 v5, 31, v5
	v_cmp_gt_i32_e64 s0, 0, v2
	v_dual_ashrrev_i32 v2, 31, v6 :: v_dual_add_nc_u32 v37, v0, v3
	v_bitop3_b32 v1, v1, v7, v4 bitop3:0x80
	s_delay_alu instid0(VALU_DEP_4) | instskip(NEXT) | instid1(VALU_DEP_3)
	v_xor_b32_e32 v3, vcc_lo, v5
	v_xor_b32_e32 v2, s0, v2
	ds_load_b32 v25, v37 offset:64
	; wave barrier
	v_bitop3_b32 v1, v1, v2, v3 bitop3:0x80
	s_delay_alu instid0(VALU_DEP_1) | instskip(SKIP_1) | instid1(VALU_DEP_2)
	v_mbcnt_lo_u32_b32 v26, v1, 0
	v_cmp_ne_u32_e64 s0, 0, v1
	v_cmp_eq_u32_e32 vcc_lo, 0, v26
	s_and_b32 s1, s0, vcc_lo
	s_delay_alu instid0(SALU_CYCLE_1)
	s_and_saveexec_b32 s0, s1
	s_cbranch_execz .LBB202_107
; %bb.106:
	s_wait_dscnt 0x0
	v_bcnt_u32_b32 v1, v1, v25
	ds_store_b32 v37, v1 offset:64
.LBB202_107:
	s_or_b32 exec_lo, exec_lo, s0
	v_lshrrev_b32_e32 v1, s36, v9
	; wave barrier
	s_delay_alu instid0(VALU_DEP_1) | instskip(NEXT) | instid1(VALU_DEP_1)
	v_and_b32_e32 v2, s4, v1
	v_lshlrev_b32_e32 v5, 30, v2
	v_bitop3_b32 v1, v1, 1, s4 bitop3:0x80
	s_delay_alu instid0(VALU_DEP_1) | instskip(NEXT) | instid1(VALU_DEP_1)
	v_add_co_u32 v1, s0, v1, -1
	v_cndmask_b32_e64 v4, 0, 1, s0
	s_delay_alu instid0(VALU_DEP_4) | instskip(NEXT) | instid1(VALU_DEP_2)
	v_cmp_gt_i32_e64 s0, 0, v5
	v_cmp_ne_u32_e32 vcc_lo, 0, v4
	v_not_b32_e32 v4, v5
	s_delay_alu instid0(VALU_DEP_1) | instskip(SKIP_3) | instid1(VALU_DEP_4)
	v_dual_ashrrev_i32 v4, 31, v4 :: v_dual_lshlrev_b32 v6, 29, v2
	v_dual_lshlrev_b32 v7, 28, v2 :: v_dual_lshlrev_b32 v29, 27, v2
	v_lshlrev_b32_e32 v30, 26, v2
	v_mul_lo_u32 v3, 0x44, v2
	v_cmp_gt_i32_e64 s1, 0, v6
	v_not_b32_e32 v5, v6
	v_not_b32_e32 v6, v7
	v_cmp_gt_i32_e64 s2, 0, v7
	v_xor_b32_e32 v1, vcc_lo, v1
	s_delay_alu instid0(VALU_DEP_4) | instskip(NEXT) | instid1(VALU_DEP_4)
	v_dual_ashrrev_i32 v5, 31, v5 :: v_dual_bitop2_b32 v4, s0, v4 bitop3:0x14
	v_ashrrev_i32_e32 v6, 31, v6
	v_dual_lshlrev_b32 v32, 25, v2 :: v_dual_lshlrev_b32 v2, 24, v2
	v_not_b32_e32 v7, v29
	v_not_b32_e32 v33, v30
	v_xor_b32_e32 v5, s1, v5
	v_xor_b32_e32 v6, s2, v6
	v_bitop3_b32 v1, v1, v4, exec_lo bitop3:0x80
	v_cmp_gt_i32_e32 vcc_lo, 0, v29
	v_ashrrev_i32_e32 v4, 31, v7
	v_cmp_gt_i32_e64 s0, 0, v30
	v_ashrrev_i32_e32 v7, 31, v33
	v_bitop3_b32 v1, v1, v6, v5 bitop3:0x80
	v_not_b32_e32 v5, v32
	v_not_b32_e32 v6, v2
	v_xor_b32_e32 v4, vcc_lo, v4
	v_xor_b32_e32 v7, s0, v7
	v_cmp_gt_i32_e32 vcc_lo, 0, v32
	v_ashrrev_i32_e32 v5, 31, v5
	v_cmp_gt_i32_e64 s0, 0, v2
	v_dual_ashrrev_i32 v2, 31, v6 :: v_dual_add_nc_u32 v40, v0, v3
	v_bitop3_b32 v1, v1, v7, v4 bitop3:0x80
	s_delay_alu instid0(VALU_DEP_4) | instskip(NEXT) | instid1(VALU_DEP_3)
	v_xor_b32_e32 v3, vcc_lo, v5
	v_xor_b32_e32 v2, s0, v2
	ds_load_b32 v29, v40 offset:64
	; wave barrier
	v_bitop3_b32 v1, v1, v2, v3 bitop3:0x80
	s_delay_alu instid0(VALU_DEP_1) | instskip(SKIP_1) | instid1(VALU_DEP_2)
	v_mbcnt_lo_u32_b32 v30, v1, 0
	v_cmp_ne_u32_e64 s0, 0, v1
	v_cmp_eq_u32_e32 vcc_lo, 0, v30
	s_and_b32 s1, s0, vcc_lo
	s_delay_alu instid0(SALU_CYCLE_1)
	s_and_saveexec_b32 s0, s1
	s_cbranch_execz .LBB202_109
; %bb.108:
	s_wait_dscnt 0x0
	v_bcnt_u32_b32 v1, v1, v29
	ds_store_b32 v40, v1 offset:64
.LBB202_109:
	s_or_b32 exec_lo, exec_lo, s0
	v_lshrrev_b32_e32 v1, s36, v10
	; wave barrier
	s_delay_alu instid0(VALU_DEP_1) | instskip(SKIP_1) | instid1(VALU_DEP_2)
	v_and_b32_e32 v2, s4, v1
	v_bitop3_b32 v1, v1, 1, s4 bitop3:0x80
	v_dual_lshlrev_b32 v5, 30, v2 :: v_dual_lshlrev_b32 v6, 29, v2
	s_delay_alu instid0(VALU_DEP_2) | instskip(NEXT) | instid1(VALU_DEP_1)
	v_add_co_u32 v1, s0, v1, -1
	v_cndmask_b32_e64 v4, 0, 1, s0
	v_lshlrev_b32_e32 v7, 28, v2
	s_delay_alu instid0(VALU_DEP_4) | instskip(SKIP_1) | instid1(VALU_DEP_4)
	v_cmp_gt_i32_e64 s0, 0, v5
	v_cmp_gt_i32_e64 s1, 0, v6
	v_cmp_ne_u32_e32 vcc_lo, 0, v4
	v_not_b32_e32 v4, v5
	v_not_b32_e32 v5, v6
	;; [unrolled: 1-line block ×3, first 2 shown]
	s_delay_alu instid0(VALU_DEP_3) | instskip(NEXT) | instid1(VALU_DEP_2)
	v_dual_ashrrev_i32 v4, 31, v4 :: v_dual_bitop2_b32 v1, vcc_lo, v1 bitop3:0x14
	v_dual_ashrrev_i32 v5, 31, v5 :: v_dual_ashrrev_i32 v6, 31, v6
	v_mul_lo_u32 v3, 0x44, v2
	v_dual_lshlrev_b32 v32, 27, v2 :: v_dual_lshlrev_b32 v33, 26, v2
	v_dual_lshlrev_b32 v35, 25, v2 :: v_dual_lshlrev_b32 v2, 24, v2
	v_cmp_gt_i32_e64 s2, 0, v7
	v_xor_b32_e32 v4, s0, v4
	s_delay_alu instid0(VALU_DEP_4)
	v_not_b32_e32 v7, v32
	v_not_b32_e32 v36, v33
	v_xor_b32_e32 v5, s1, v5
	v_xor_b32_e32 v6, s2, v6
	v_bitop3_b32 v1, v1, v4, exec_lo bitop3:0x80
	v_cmp_gt_i32_e32 vcc_lo, 0, v32
	v_ashrrev_i32_e32 v4, 31, v7
	v_cmp_gt_i32_e64 s0, 0, v33
	v_ashrrev_i32_e32 v7, 31, v36
	v_bitop3_b32 v1, v1, v6, v5 bitop3:0x80
	v_not_b32_e32 v5, v35
	v_not_b32_e32 v6, v2
	v_xor_b32_e32 v4, vcc_lo, v4
	v_xor_b32_e32 v7, s0, v7
	v_cmp_gt_i32_e32 vcc_lo, 0, v35
	v_ashrrev_i32_e32 v5, 31, v5
	v_cmp_gt_i32_e64 s0, 0, v2
	v_dual_ashrrev_i32 v2, 31, v6 :: v_dual_add_nc_u32 v42, v0, v3
	v_bitop3_b32 v1, v1, v7, v4 bitop3:0x80
	s_delay_alu instid0(VALU_DEP_4) | instskip(NEXT) | instid1(VALU_DEP_3)
	v_xor_b32_e32 v3, vcc_lo, v5
	v_xor_b32_e32 v2, s0, v2
	ds_load_b32 v32, v42 offset:64
	; wave barrier
	v_bitop3_b32 v1, v1, v2, v3 bitop3:0x80
	s_delay_alu instid0(VALU_DEP_1) | instskip(SKIP_1) | instid1(VALU_DEP_2)
	v_mbcnt_lo_u32_b32 v33, v1, 0
	v_cmp_ne_u32_e64 s0, 0, v1
	v_cmp_eq_u32_e32 vcc_lo, 0, v33
	s_and_b32 s1, s0, vcc_lo
	s_delay_alu instid0(SALU_CYCLE_1)
	s_and_saveexec_b32 s0, s1
	s_cbranch_execz .LBB202_111
; %bb.110:
	s_wait_dscnt 0x0
	v_bcnt_u32_b32 v1, v1, v32
	ds_store_b32 v42, v1 offset:64
.LBB202_111:
	s_or_b32 exec_lo, exec_lo, s0
	v_lshrrev_b32_e32 v1, s36, v11
	; wave barrier
	s_delay_alu instid0(VALU_DEP_1) | instskip(NEXT) | instid1(VALU_DEP_1)
	v_and_b32_e32 v2, s4, v1
	v_lshlrev_b32_e32 v5, 30, v2
	v_bitop3_b32 v1, v1, 1, s4 bitop3:0x80
	s_delay_alu instid0(VALU_DEP_1) | instskip(NEXT) | instid1(VALU_DEP_1)
	v_add_co_u32 v1, s0, v1, -1
	v_cndmask_b32_e64 v4, 0, 1, s0
	s_delay_alu instid0(VALU_DEP_4) | instskip(NEXT) | instid1(VALU_DEP_2)
	v_cmp_gt_i32_e64 s0, 0, v5
	v_cmp_ne_u32_e32 vcc_lo, 0, v4
	v_not_b32_e32 v4, v5
	s_delay_alu instid0(VALU_DEP_1) | instskip(SKIP_3) | instid1(VALU_DEP_4)
	v_dual_ashrrev_i32 v4, 31, v4 :: v_dual_lshlrev_b32 v6, 29, v2
	v_dual_lshlrev_b32 v7, 28, v2 :: v_dual_lshlrev_b32 v35, 27, v2
	v_lshlrev_b32_e32 v36, 26, v2
	v_mul_lo_u32 v3, 0x44, v2
	v_cmp_gt_i32_e64 s1, 0, v6
	v_not_b32_e32 v5, v6
	v_not_b32_e32 v6, v7
	v_cmp_gt_i32_e64 s2, 0, v7
	v_xor_b32_e32 v1, vcc_lo, v1
	s_delay_alu instid0(VALU_DEP_4) | instskip(NEXT) | instid1(VALU_DEP_4)
	v_dual_ashrrev_i32 v5, 31, v5 :: v_dual_bitop2_b32 v4, s0, v4 bitop3:0x14
	v_ashrrev_i32_e32 v6, 31, v6
	v_dual_lshlrev_b32 v38, 25, v2 :: v_dual_lshlrev_b32 v2, 24, v2
	v_not_b32_e32 v7, v35
	v_not_b32_e32 v39, v36
	v_xor_b32_e32 v5, s1, v5
	v_xor_b32_e32 v6, s2, v6
	v_bitop3_b32 v1, v1, v4, exec_lo bitop3:0x80
	v_cmp_gt_i32_e32 vcc_lo, 0, v35
	v_ashrrev_i32_e32 v4, 31, v7
	v_cmp_gt_i32_e64 s0, 0, v36
	v_ashrrev_i32_e32 v7, 31, v39
	v_bitop3_b32 v1, v1, v6, v5 bitop3:0x80
	v_not_b32_e32 v5, v38
	v_not_b32_e32 v6, v2
	v_xor_b32_e32 v4, vcc_lo, v4
	v_xor_b32_e32 v7, s0, v7
	v_cmp_gt_i32_e32 vcc_lo, 0, v38
	v_ashrrev_i32_e32 v5, 31, v5
	v_cmp_gt_i32_e64 s0, 0, v2
	v_dual_ashrrev_i32 v2, 31, v6 :: v_dual_add_nc_u32 v43, v0, v3
	v_bitop3_b32 v1, v1, v7, v4 bitop3:0x80
	s_delay_alu instid0(VALU_DEP_4) | instskip(NEXT) | instid1(VALU_DEP_3)
	v_xor_b32_e32 v3, vcc_lo, v5
	v_xor_b32_e32 v2, s0, v2
	ds_load_b32 v35, v43 offset:64
	; wave barrier
	v_bitop3_b32 v1, v1, v2, v3 bitop3:0x80
	s_delay_alu instid0(VALU_DEP_1) | instskip(SKIP_1) | instid1(VALU_DEP_2)
	v_mbcnt_lo_u32_b32 v36, v1, 0
	v_cmp_ne_u32_e64 s0, 0, v1
	v_cmp_eq_u32_e32 vcc_lo, 0, v36
	s_and_b32 s1, s0, vcc_lo
	s_delay_alu instid0(SALU_CYCLE_1)
	s_and_saveexec_b32 s0, s1
	s_cbranch_execz .LBB202_113
; %bb.112:
	s_wait_dscnt 0x0
	v_bcnt_u32_b32 v1, v1, v35
	ds_store_b32 v43, v1 offset:64
.LBB202_113:
	s_or_b32 exec_lo, exec_lo, s0
	v_lshrrev_b32_e32 v1, s36, v12
	; wave barrier
	s_delay_alu instid0(VALU_DEP_1) | instskip(NEXT) | instid1(VALU_DEP_1)
	v_and_b32_e32 v2, s4, v1
	v_lshlrev_b32_e32 v5, 30, v2
	v_bitop3_b32 v1, v1, 1, s4 bitop3:0x80
	s_delay_alu instid0(VALU_DEP_1) | instskip(NEXT) | instid1(VALU_DEP_1)
	v_add_co_u32 v1, s0, v1, -1
	v_cndmask_b32_e64 v4, 0, 1, s0
	s_delay_alu instid0(VALU_DEP_4) | instskip(NEXT) | instid1(VALU_DEP_2)
	v_cmp_gt_i32_e64 s0, 0, v5
	v_cmp_ne_u32_e32 vcc_lo, 0, v4
	v_not_b32_e32 v4, v5
	s_delay_alu instid0(VALU_DEP_1) | instskip(SKIP_3) | instid1(VALU_DEP_4)
	v_dual_ashrrev_i32 v4, 31, v4 :: v_dual_lshlrev_b32 v6, 29, v2
	v_dual_lshlrev_b32 v7, 28, v2 :: v_dual_lshlrev_b32 v38, 27, v2
	v_lshlrev_b32_e32 v39, 26, v2
	v_mul_lo_u32 v3, 0x44, v2
	v_cmp_gt_i32_e64 s1, 0, v6
	v_not_b32_e32 v5, v6
	v_not_b32_e32 v6, v7
	v_cmp_gt_i32_e64 s2, 0, v7
	v_xor_b32_e32 v1, vcc_lo, v1
	s_delay_alu instid0(VALU_DEP_4) | instskip(NEXT) | instid1(VALU_DEP_4)
	v_dual_ashrrev_i32 v5, 31, v5 :: v_dual_bitop2_b32 v4, s0, v4 bitop3:0x14
	v_ashrrev_i32_e32 v6, 31, v6
	v_dual_lshlrev_b32 v41, 25, v2 :: v_dual_lshlrev_b32 v2, 24, v2
	v_not_b32_e32 v7, v38
	v_not_b32_e32 v44, v39
	v_xor_b32_e32 v5, s1, v5
	v_xor_b32_e32 v6, s2, v6
	v_bitop3_b32 v1, v1, v4, exec_lo bitop3:0x80
	v_cmp_gt_i32_e32 vcc_lo, 0, v38
	v_ashrrev_i32_e32 v4, 31, v7
	v_cmp_gt_i32_e64 s0, 0, v39
	v_ashrrev_i32_e32 v7, 31, v44
	v_bitop3_b32 v1, v1, v6, v5 bitop3:0x80
	v_not_b32_e32 v5, v41
	v_not_b32_e32 v6, v2
	v_xor_b32_e32 v4, vcc_lo, v4
	v_xor_b32_e32 v7, s0, v7
	v_cmp_gt_i32_e32 vcc_lo, 0, v41
	v_ashrrev_i32_e32 v5, 31, v5
	v_cmp_gt_i32_e64 s0, 0, v2
	v_dual_ashrrev_i32 v2, 31, v6 :: v_dual_add_nc_u32 v44, v0, v3
	v_bitop3_b32 v0, v1, v7, v4 bitop3:0x80
	s_delay_alu instid0(VALU_DEP_4) | instskip(NEXT) | instid1(VALU_DEP_3)
	v_xor_b32_e32 v1, vcc_lo, v5
	v_xor_b32_e32 v2, s0, v2
	ds_load_b32 v39, v44 offset:64
	; wave barrier
	v_bitop3_b32 v0, v0, v2, v1 bitop3:0x80
	s_delay_alu instid0(VALU_DEP_1) | instskip(SKIP_1) | instid1(VALU_DEP_2)
	v_mbcnt_lo_u32_b32 v41, v0, 0
	v_cmp_ne_u32_e64 s0, 0, v0
	v_cmp_eq_u32_e32 vcc_lo, 0, v41
	s_and_b32 s1, s0, vcc_lo
	s_delay_alu instid0(SALU_CYCLE_1)
	s_and_saveexec_b32 s0, s1
	s_cbranch_execz .LBB202_115
; %bb.114:
	s_wait_dscnt 0x0
	v_bcnt_u32_b32 v0, v0, v39
	ds_store_b32 v44, v0 offset:64
.LBB202_115:
	s_or_b32 exec_lo, exec_lo, s0
	; wave barrier
	s_wait_dscnt 0x0
	s_barrier_signal -1
	s_barrier_wait -1
	ds_load_2addr_b32 v[6:7], v27 offset0:16 offset1:17
	ds_load_2addr_b32 v[4:5], v27 offset0:18 offset1:19
	;; [unrolled: 1-line block ×4, first 2 shown]
	ds_load_b32 v38, v27 offset:96
	v_bfe_i32 v47, v20, 4, 1
	s_mov_b32 s5, exec_lo
	s_wait_dscnt 0x3
	v_add3_u32 v45, v7, v6, v4
	s_wait_dscnt 0x2
	s_delay_alu instid0(VALU_DEP_1) | instskip(SKIP_1) | instid1(VALU_DEP_1)
	v_add3_u32 v45, v45, v5, v2
	s_wait_dscnt 0x1
	v_add3_u32 v45, v45, v3, v0
	s_wait_dscnt 0x0
	s_delay_alu instid0(VALU_DEP_1) | instskip(SKIP_1) | instid1(VALU_DEP_2)
	v_add3_u32 v38, v45, v1, v38
	v_and_b32_e32 v45, 15, v20
	v_mov_b32_dpp v46, v38 row_shr:1 row_mask:0xf bank_mask:0xf
	s_delay_alu instid0(VALU_DEP_2) | instskip(NEXT) | instid1(VALU_DEP_2)
	v_cmp_eq_u32_e32 vcc_lo, 0, v45
	v_cndmask_b32_e64 v46, v46, 0, vcc_lo
	s_delay_alu instid0(VALU_DEP_1) | instskip(SKIP_3) | instid1(VALU_DEP_4)
	v_add_nc_u32_e32 v38, v46, v38
	v_cmp_lt_u32_e64 s0, 1, v45
	v_cmp_lt_u32_e64 s1, 3, v45
	;; [unrolled: 1-line block ×3, first 2 shown]
	v_mov_b32_dpp v46, v38 row_shr:2 row_mask:0xf bank_mask:0xf
	s_delay_alu instid0(VALU_DEP_1) | instskip(NEXT) | instid1(VALU_DEP_1)
	v_cndmask_b32_e64 v46, 0, v46, s0
	v_add_nc_u32_e32 v38, v38, v46
	s_delay_alu instid0(VALU_DEP_1) | instskip(NEXT) | instid1(VALU_DEP_1)
	v_mov_b32_dpp v46, v38 row_shr:4 row_mask:0xf bank_mask:0xf
	v_cndmask_b32_e64 v46, 0, v46, s1
	s_delay_alu instid0(VALU_DEP_1) | instskip(NEXT) | instid1(VALU_DEP_1)
	v_add_nc_u32_e32 v38, v38, v46
	v_mov_b32_dpp v46, v38 row_shr:8 row_mask:0xf bank_mask:0xf
	s_delay_alu instid0(VALU_DEP_1) | instskip(SKIP_1) | instid1(VALU_DEP_2)
	v_cndmask_b32_e64 v45, 0, v46, s2
	v_and_b32_e32 v46, 0x3e0, v18
	v_add_nc_u32_e32 v38, v38, v45
	s_delay_alu instid0(VALU_DEP_2) | instskip(SKIP_4) | instid1(VALU_DEP_2)
	v_min_u32_e32 v46, 0x1e0, v46
	ds_swizzle_b32 v45, v38 offset:swizzle(BROADCAST,32,15)
	s_wait_dscnt 0x0
	v_and_b32_e32 v45, v47, v45
	v_or_b32_e32 v47, 31, v46
	v_dual_lshrrev_b32 v46, 5, v18 :: v_dual_add_nc_u32 v45, v38, v45
	s_delay_alu instid0(VALU_DEP_2)
	v_cmpx_eq_u32_e64 v18, v47
; %bb.116:
	s_delay_alu instid0(VALU_DEP_2)
	v_lshlrev_b32_e32 v38, 2, v46
	ds_store_b32 v38, v45
; %bb.117:
	s_or_b32 exec_lo, exec_lo, s5
	v_lshlrev_b32_e32 v38, 2, v18
	s_mov_b32 s5, exec_lo
	s_wait_dscnt 0x0
	s_barrier_signal -1
	s_barrier_wait -1
	v_cmpx_gt_u32_e32 16, v18
	s_cbranch_execz .LBB202_119
; %bb.118:
	ds_load_b32 v47, v38
	s_wait_dscnt 0x0
	v_mov_b32_dpp v48, v47 row_shr:1 row_mask:0xf bank_mask:0xf
	s_delay_alu instid0(VALU_DEP_1) | instskip(NEXT) | instid1(VALU_DEP_1)
	v_cndmask_b32_e64 v48, v48, 0, vcc_lo
	v_add_nc_u32_e32 v47, v48, v47
	s_delay_alu instid0(VALU_DEP_1) | instskip(NEXT) | instid1(VALU_DEP_1)
	v_mov_b32_dpp v48, v47 row_shr:2 row_mask:0xf bank_mask:0xf
	v_cndmask_b32_e64 v48, 0, v48, s0
	s_delay_alu instid0(VALU_DEP_1) | instskip(NEXT) | instid1(VALU_DEP_1)
	v_add_nc_u32_e32 v47, v47, v48
	v_mov_b32_dpp v48, v47 row_shr:4 row_mask:0xf bank_mask:0xf
	s_delay_alu instid0(VALU_DEP_1) | instskip(NEXT) | instid1(VALU_DEP_1)
	v_cndmask_b32_e64 v48, 0, v48, s1
	v_add_nc_u32_e32 v47, v47, v48
	s_delay_alu instid0(VALU_DEP_1) | instskip(NEXT) | instid1(VALU_DEP_1)
	v_mov_b32_dpp v48, v47 row_shr:8 row_mask:0xf bank_mask:0xf
	v_cndmask_b32_e64 v48, 0, v48, s2
	s_delay_alu instid0(VALU_DEP_1)
	v_add_nc_u32_e32 v47, v47, v48
	ds_store_b32 v38, v47
.LBB202_119:
	s_or_b32 exec_lo, exec_lo, s5
	v_mov_b32_e32 v47, 0
	s_mov_b32 s0, exec_lo
	s_wait_dscnt 0x0
	s_barrier_signal -1
	s_barrier_wait -1
	v_cmpx_lt_u32_e32 31, v18
; %bb.120:
	v_lshl_add_u32 v46, v46, 2, -4
	ds_load_b32 v47, v46
; %bb.121:
	s_or_b32 exec_lo, exec_lo, s0
	v_sub_co_u32 v46, vcc_lo, v20, 1
	s_wait_dscnt 0x0
	v_add_nc_u32_e32 v45, v47, v45
	s_delay_alu instid0(VALU_DEP_2) | instskip(NEXT) | instid1(VALU_DEP_1)
	v_cmp_gt_i32_e64 s0, 0, v46
	v_cndmask_b32_e64 v46, v46, v20, s0
	v_cmp_lt_u32_e64 s0, 0xff, v18
	s_delay_alu instid0(VALU_DEP_2) | instskip(SKIP_4) | instid1(VALU_DEP_2)
	v_lshlrev_b32_e32 v46, 2, v46
	ds_bpermute_b32 v45, v46, v45
	s_wait_dscnt 0x0
	v_cndmask_b32_e32 v45, v45, v47, vcc_lo
	v_cmp_ne_u32_e32 vcc_lo, 0, v18
	v_cndmask_b32_e32 v45, 0, v45, vcc_lo
	v_cmp_gt_u32_e32 vcc_lo, 0x100, v18
	s_delay_alu instid0(VALU_DEP_2) | instskip(NEXT) | instid1(VALU_DEP_1)
	v_add_nc_u32_e32 v6, v45, v6
	v_add_nc_u32_e32 v7, v6, v7
	s_delay_alu instid0(VALU_DEP_1) | instskip(NEXT) | instid1(VALU_DEP_1)
	v_add_nc_u32_e32 v4, v7, v4
	v_add_nc_u32_e32 v5, v4, v5
	s_delay_alu instid0(VALU_DEP_1) | instskip(NEXT) | instid1(VALU_DEP_1)
	;; [unrolled: 3-line block ×3, first 2 shown]
	v_add_nc_u32_e32 v0, v3, v0
	v_add_nc_u32_e32 v1, v0, v1
	ds_store_2addr_b32 v27, v45, v6 offset0:16 offset1:17
	ds_store_2addr_b32 v27, v7, v4 offset0:18 offset1:19
	;; [unrolled: 1-line block ×4, first 2 shown]
	ds_store_b32 v27, v1 offset:96
	s_wait_dscnt 0x0
	s_barrier_signal -1
	s_barrier_wait -1
	ds_load_b32 v0, v28 offset:64
	ds_load_b32 v31, v31 offset:64
	;; [unrolled: 1-line block ×8, first 2 shown]
                                        ; implicit-def: $vgpr27
                                        ; implicit-def: $vgpr28
	s_and_saveexec_b32 s2, vcc_lo
	s_cbranch_execz .LBB202_125
; %bb.122:
	v_mul_u32_u24_e32 v1, 0x44, v18
	v_add_nc_u32_e32 v2, 1, v18
	s_mov_b32 s3, exec_lo
	ds_load_b32 v27, v1 offset:64
	v_mov_b32_e32 v1, 0x1000
	v_cmpx_ne_u32_e32 0x100, v2
; %bb.123:
	v_mul_u32_u24_e32 v1, 0x44, v2
	ds_load_b32 v1, v1 offset:64
; %bb.124:
	s_or_b32 exec_lo, exec_lo, s3
	s_wait_dscnt 0x0
	v_sub_nc_u32_e32 v28, v1, v27
.LBB202_125:
	s_or_b32 exec_lo, exec_lo, s2
	s_wait_dscnt 0x7
	v_dual_add_nc_u32 v5, v26, v25 :: v_dual_add_nc_u32 v24, v0, v24
	v_dual_add_nc_u32 v6, v22, v21 :: v_dual_add_nc_u32 v0, v17, v16
	;; [unrolled: 1-line block ×3, first 2 shown]
	s_delay_alu instid0(VALU_DEP_3)
	v_dual_lshlrev_b32 v7, 2, v24 :: v_dual_add_nc_u32 v2, v36, v35
	v_add_nc_u32_e32 v3, v33, v32
	s_wait_dscnt 0x6
	v_add_lshl_u32 v0, v0, v31, 2
	s_wait_dscnt 0x5
	v_add_lshl_u32 v6, v6, v34, 2
	s_wait_dscnt 0x4
	v_add_lshl_u32 v5, v5, v37, 2
	s_wait_dscnt 0x0
	s_barrier_signal -1
	s_barrier_wait -1
	ds_store_b32 v7, v13 offset:1024
	ds_store_b32 v0, v14 offset:1024
	ds_store_b32 v6, v15 offset:1024
	ds_store_b32 v5, v23 offset:1024
	v_add_lshl_u32 v0, v4, v40, 2
	v_add_lshl_u32 v4, v1, v44, 2
	v_mov_b32_e32 v1, 0
	v_add_lshl_u32 v3, v3, v42, 2
	v_add_lshl_u32 v2, v2, v43, 2
	ds_store_b32 v0, v9 offset:1024
	ds_store_b32 v3, v10 offset:1024
	ds_store_b32 v2, v11 offset:1024
	ds_store_b32 v4, v12 offset:1024
	s_and_saveexec_b32 s1, vcc_lo
	s_cbranch_execz .LBB202_135
; %bb.126:
	v_lshl_add_u32 v0, s17, 8, v18
	v_dual_mov_b32 v6, 0 :: v_dual_bitop2_b32 v4, 2.0, v28 bitop3:0x54
	s_mov_b32 s2, 0
	s_mov_b32 s3, s17
	s_delay_alu instid0(VALU_DEP_2)
	v_lshl_add_u64 v[2:3], v[0:1], 2, s[18:19]
	global_store_b32 v0, v4, s[18:19] scale_offset scope:SCOPE_DEV
                                        ; implicit-def: $sgpr5
	s_branch .LBB202_129
.LBB202_127:                            ;   in Loop: Header=BB202_129 Depth=1
	s_or_b32 exec_lo, exec_lo, s6
.LBB202_128:                            ;   in Loop: Header=BB202_129 Depth=1
	s_delay_alu instid0(SALU_CYCLE_1) | instskip(SKIP_2) | instid1(VALU_DEP_2)
	s_or_b32 exec_lo, exec_lo, s5
	v_and_b32_e32 v0, 0x3fffffff, v7
	v_cmp_gt_i32_e64 s5, -2.0, v7
	v_add_nc_u32_e32 v6, v0, v6
	s_and_b32 s6, exec_lo, s5
	s_delay_alu instid0(SALU_CYCLE_1) | instskip(NEXT) | instid1(SALU_CYCLE_1)
	s_or_b32 s2, s6, s2
	s_and_not1_b32 exec_lo, exec_lo, s2
	s_cbranch_execz .LBB202_134
.LBB202_129:                            ; =>This Loop Header: Depth=1
                                        ;     Child Loop BB202_132 Depth 2
	s_or_b32 s5, s5, exec_lo
	s_cmp_eq_u32 s3, 0
	s_cbranch_scc1 .LBB202_133
; %bb.130:                              ;   in Loop: Header=BB202_129 Depth=1
	s_add_co_i32 s3, s3, -1
	s_mov_b32 s5, exec_lo
	s_wait_xcnt 0x0
	v_lshl_or_b32 v0, s3, 8, v18
	global_load_b32 v7, v0, s[18:19] scale_offset scope:SCOPE_DEV
	s_wait_loadcnt 0x0
	v_cmpx_gt_u32_e32 2.0, v7
	s_cbranch_execz .LBB202_128
; %bb.131:                              ;   in Loop: Header=BB202_129 Depth=1
	v_lshl_add_u64 v[4:5], v[0:1], 2, s[18:19]
	s_mov_b32 s6, 0
.LBB202_132:                            ;   Parent Loop BB202_129 Depth=1
                                        ; =>  This Inner Loop Header: Depth=2
	global_load_b32 v7, v[4:5], off scope:SCOPE_DEV
	s_wait_loadcnt 0x0
	v_cmp_lt_u32_e32 vcc_lo, 0x3fffffff, v7
	s_or_b32 s6, vcc_lo, s6
	s_wait_xcnt 0x0
	s_and_not1_b32 exec_lo, exec_lo, s6
	s_cbranch_execnz .LBB202_132
	s_branch .LBB202_127
.LBB202_133:                            ;   in Loop: Header=BB202_129 Depth=1
                                        ; implicit-def: $sgpr3
	s_and_b32 s6, exec_lo, s5
	s_delay_alu instid0(SALU_CYCLE_1)
	s_or_b32 s2, s6, s2
	s_wait_xcnt 0x0
	s_and_not1_b32 exec_lo, exec_lo, s2
	s_cbranch_execnz .LBB202_129
.LBB202_134:
	s_or_b32 exec_lo, exec_lo, s2
	v_dual_add_nc_u32 v0, v6, v28 :: v_dual_sub_nc_u32 v1, v6, v27
	s_delay_alu instid0(VALU_DEP_1)
	v_or_b32_e32 v0, 0x80000000, v0
	global_store_b32 v[2:3], v0, off scope:SCOPE_DEV
	global_load_b32 v0, v18, s[28:29] scale_offset
	s_wait_loadcnt 0x0
	v_add_nc_u32_e32 v0, v1, v0
	ds_store_b32 v38, v0
.LBB202_135:
	s_wait_xcnt 0x0
	s_or_b32 exec_lo, exec_lo, s1
	s_wait_storecnt_dscnt 0x0
	s_barrier_signal -1
	s_barrier_wait -1
	ds_load_2addr_stride64_b32 v[0:1], v38 offset0:4 offset1:12
	ds_load_2addr_stride64_b32 v[2:3], v38 offset0:20 offset1:28
	;; [unrolled: 1-line block ×4, first 2 shown]
	v_dual_mov_b32 v11, 0 :: v_dual_lshlrev_b32 v10, 3, v20
	s_lshl_b64 s[2:3], s[8:9], 3
	v_add3_u32 v32, v33, v42, v32
	s_add_nc_u64 s[2:3], s[24:25], s[2:3]
	v_add3_u32 v29, v30, v40, v29
	v_add3_u32 v25, v26, v37, v25
	;; [unrolled: 1-line block ×4, first 2 shown]
	s_mov_b32 s1, 0
	v_add_nc_u32_e32 v17, v38, v38
	s_wait_dscnt 0x3
	v_dual_mov_b32 v22, v18 :: v_dual_lshrrev_b32 v9, s36, v1
	s_wait_dscnt 0x2
	v_dual_lshrrev_b32 v12, s36, v0 :: v_dual_lshrrev_b32 v13, s36, v3
	s_wait_dscnt 0x1
	v_dual_lshrrev_b32 v14, s36, v2 :: v_dual_lshrrev_b32 v15, s36, v5
	;; [unrolled: 2-line block ×3, first 2 shown]
	v_dual_lshrrev_b32 v45, s36, v6 :: v_dual_bitop2_b32 v46, s4, v12 bitop3:0x40
	v_and_b32_e32 v47, s4, v9
	v_and_b32_e32 v48, s4, v14
	;; [unrolled: 1-line block ×6, first 2 shown]
	v_dual_lshlrev_b32 v9, 2, v46 :: v_dual_bitop2_b32 v53, s4, v23 bitop3:0x40
	v_dual_lshlrev_b32 v12, 2, v47 :: v_dual_lshlrev_b32 v13, 2, v48
	v_dual_lshlrev_b32 v14, 2, v49 :: v_dual_lshlrev_b32 v15, 2, v50
	s_delay_alu instid0(VALU_DEP_4) | instskip(NEXT) | instid1(VALU_DEP_4)
	v_dual_lshlrev_b32 v20, 2, v51 :: v_dual_lshlrev_b32 v23, 2, v52
	v_lshlrev_b32_e32 v45, 2, v53
	ds_load_b32 v9, v9
	ds_load_b32 v56, v12
	ds_load_b32 v57, v13
	ds_load_b32 v14, v14
	ds_load_b32 v15, v15
	ds_load_b32 v20, v20
	ds_load_b32 v23, v23
	ds_load_b32 v45, v45
	v_add_nc_u64_e32 v[12:13], s[2:3], v[10:11]
	v_lshlrev_b32_e32 v10, 3, v8
	s_mov_b32 s2, -1
	s_delay_alu instid0(VALU_DEP_1)
	v_add_nc_u64_e32 v[54:55], v[12:13], v[10:11]
	s_wait_dscnt 0x7
	v_add_nc_u32_e32 v8, v9, v18
	s_wait_dscnt 0x6
	v_add3_u32 v9, v18, v56, 0x200
	s_wait_dscnt 0x5
	v_add3_u32 v10, v57, v18, 0x400
	;; [unrolled: 2-line block ×7, first 2 shown]
	s_clause 0x7
	global_store_b32 v8, v0, s[22:23] scale_offset
	global_store_b32 v9, v1, s[22:23] scale_offset
	;; [unrolled: 1-line block ×8, first 2 shown]
	s_clause 0x7
	global_load_b64 v[0:1], v[54:55], off
	global_load_b64 v[2:3], v[54:55], off offset:256
	global_load_b64 v[4:5], v[54:55], off offset:512
	;; [unrolled: 1-line block ×7, first 2 shown]
	v_lshlrev_b32_e32 v20, 5, v19
	ds_store_b128 v20, v[46:49] offset:34896
	ds_store_b128 v20, v[50:53] offset:34912
	v_add_nc_u32_e32 v45, 0x8850, v20
	v_add_nc_u32_e32 v19, 0x8860, v20
	v_add3_u32 v20, v41, v44, v39
	v_add3_u32 v23, v36, v43, v35
	s_wait_storecnt 0x0
	s_wait_loadcnt_dscnt 0x0
	s_barrier_signal -1
	s_barrier_wait -1
.LBB202_136:                            ; =>This Inner Loop Header: Depth=1
	s_wait_xcnt 0x3
	v_add_min_u32_e64 v26, v24, s1, 0x800
	s_wait_xcnt 0x2
	v_add_min_u32_e64 v30, v16, s1, 0x800
	;; [unrolled: 2-line block ×4, first 2 shown]
	v_add_min_u32_e64 v34, v29, s1, 0x800
	v_add_min_u32_e64 v35, v32, s1, 0x800
	;; [unrolled: 1-line block ×4, first 2 shown]
	v_dual_lshlrev_b32 v26, 3, v26 :: v_dual_lshlrev_b32 v31, 3, v31
	v_dual_lshlrev_b32 v30, 3, v30 :: v_dual_lshlrev_b32 v33, 3, v33
	;; [unrolled: 1-line block ×3, first 2 shown]
	s_delay_alu instid0(VALU_DEP_4)
	v_dual_lshlrev_b32 v36, 3, v36 :: v_dual_lshlrev_b32 v37, 3, v37
	ds_store_b64 v26, v[0:1] offset:1024
	ds_store_b64 v30, v[2:3] offset:1024
	;; [unrolled: 1-line block ×8, first 2 shown]
	s_wait_dscnt 0x0
	s_barrier_signal -1
	s_barrier_wait -1
	ds_load_2addr_b32 v[30:31], v45 offset1:1
	ds_load_2addr_b32 v[40:41], v45 offset0:2 offset1:3
	ds_load_2addr_stride64_b64 v[34:37], v17 offset0:2 offset1:10
	s_addk_co_i32 s1, 0xf800
	s_and_b32 vcc_lo, exec_lo, s2
	s_mov_b32 s2, 0
	s_wait_dscnt 0x2
	v_dual_lshlrev_b32 v26, 2, v30 :: v_dual_lshlrev_b32 v30, 2, v31
	s_wait_dscnt 0x1
	v_dual_lshlrev_b32 v31, 2, v40 :: v_dual_lshlrev_b32 v33, 2, v41
	ds_load_b32 v26, v26
	ds_load_b32 v30, v30
	;; [unrolled: 1-line block ×4, first 2 shown]
	ds_load_2addr_stride64_b64 v[40:43], v17 offset0:18 offset1:26
	s_wait_dscnt 0x4
	v_dual_mov_b32 v45, v19 :: v_dual_add_nc_u32 v26, v22, v26
	s_wait_dscnt 0x3
	v_add3_u32 v30, v22, v30, 0x200
	s_wait_dscnt 0x2
	v_add3_u32 v31, v22, v31, 0x400
	;; [unrolled: 2-line block ×3, first 2 shown]
	v_add_nc_u32_e32 v22, 0x800, v22
	s_clause 0x1
	global_store_b64 v26, v[34:35], s[26:27] scale_offset
	global_store_b64 v30, v[36:37], s[26:27] scale_offset
	s_wait_dscnt 0x0
	s_clause 0x1
	global_store_b64 v31, v[40:41], s[26:27] scale_offset
	global_store_b64 v33, v[42:43], s[26:27] scale_offset
	s_wait_storecnt 0x0
	s_barrier_signal -1
	s_barrier_wait -1
	s_cbranch_vccnz .LBB202_136
; %bb.137:
	s_add_co_i32 s7, s7, -1
	s_delay_alu instid0(SALU_CYCLE_1) | instskip(SKIP_2) | instid1(SALU_CYCLE_1)
	s_cmp_eq_u32 s17, s7
	s_cselect_b32 s1, -1, 0
	s_xor_b32 s0, s0, -1
	s_and_b32 s0, s0, s1
	s_wait_xcnt 0x0
	s_and_saveexec_b32 s1, s0
	s_cbranch_execz .LBB202_139
; %bb.138:
	ds_load_b32 v0, v38
	s_wait_dscnt 0x0
	v_add3_u32 v0, v27, v28, v0
	global_store_b32 v18, v0, s[30:31] scale_offset
.LBB202_139:
	s_endpgm
	.section	.rodata,"a",@progbits
	.p2align	6, 0x0
	.amdhsa_kernel _ZN7rocprim17ROCPRIM_400000_NS6detail17trampoline_kernelINS0_14default_configENS1_35radix_sort_onesweep_config_selectorIjN6thrust23THRUST_200600_302600_NS5tupleIffNS6_9null_typeES8_S8_S8_S8_S8_S8_S8_EEEEZZNS1_29radix_sort_onesweep_iterationIS3_Lb0ENS6_6detail15normal_iteratorINS6_10device_ptrIjEEEESG_NSD_INSE_IS9_EEEESI_jNS0_19identity_decomposerENS1_16block_id_wrapperIjLb0EEEEE10hipError_tT1_PNSt15iterator_traitsISN_E10value_typeET2_T3_PNSO_IST_E10value_typeET4_T5_PSY_SZ_PNS1_23onesweep_lookback_stateEbbT6_jjT7_P12ihipStream_tbENKUlT_T0_SN_SS_E_clISG_SG_SI_SI_EEDaS16_S17_SN_SS_EUlS16_E_NS1_11comp_targetILNS1_3genE0ELNS1_11target_archE4294967295ELNS1_3gpuE0ELNS1_3repE0EEENS1_47radix_sort_onesweep_sort_config_static_selectorELNS0_4arch9wavefront6targetE0EEEvSN_
		.amdhsa_group_segment_fixed_size 51280
		.amdhsa_private_segment_fixed_size 0
		.amdhsa_kernarg_size 344
		.amdhsa_user_sgpr_count 4
		.amdhsa_user_sgpr_dispatch_ptr 1
		.amdhsa_user_sgpr_queue_ptr 0
		.amdhsa_user_sgpr_kernarg_segment_ptr 1
		.amdhsa_user_sgpr_dispatch_id 0
		.amdhsa_user_sgpr_kernarg_preload_length 0
		.amdhsa_user_sgpr_kernarg_preload_offset 0
		.amdhsa_user_sgpr_private_segment_size 0
		.amdhsa_wavefront_size32 1
		.amdhsa_uses_dynamic_stack 0
		.amdhsa_enable_private_segment 0
		.amdhsa_system_sgpr_workgroup_id_x 1
		.amdhsa_system_sgpr_workgroup_id_y 0
		.amdhsa_system_sgpr_workgroup_id_z 0
		.amdhsa_system_sgpr_workgroup_info 0
		.amdhsa_system_vgpr_workitem_id 2
		.amdhsa_next_free_vgpr 58
		.amdhsa_next_free_sgpr 43
		.amdhsa_named_barrier_count 0
		.amdhsa_reserve_vcc 1
		.amdhsa_float_round_mode_32 0
		.amdhsa_float_round_mode_16_64 0
		.amdhsa_float_denorm_mode_32 3
		.amdhsa_float_denorm_mode_16_64 3
		.amdhsa_fp16_overflow 0
		.amdhsa_memory_ordered 1
		.amdhsa_forward_progress 1
		.amdhsa_inst_pref_size 104
		.amdhsa_round_robin_scheduling 0
		.amdhsa_exception_fp_ieee_invalid_op 0
		.amdhsa_exception_fp_denorm_src 0
		.amdhsa_exception_fp_ieee_div_zero 0
		.amdhsa_exception_fp_ieee_overflow 0
		.amdhsa_exception_fp_ieee_underflow 0
		.amdhsa_exception_fp_ieee_inexact 0
		.amdhsa_exception_int_div_zero 0
	.end_amdhsa_kernel
	.section	.text._ZN7rocprim17ROCPRIM_400000_NS6detail17trampoline_kernelINS0_14default_configENS1_35radix_sort_onesweep_config_selectorIjN6thrust23THRUST_200600_302600_NS5tupleIffNS6_9null_typeES8_S8_S8_S8_S8_S8_S8_EEEEZZNS1_29radix_sort_onesweep_iterationIS3_Lb0ENS6_6detail15normal_iteratorINS6_10device_ptrIjEEEESG_NSD_INSE_IS9_EEEESI_jNS0_19identity_decomposerENS1_16block_id_wrapperIjLb0EEEEE10hipError_tT1_PNSt15iterator_traitsISN_E10value_typeET2_T3_PNSO_IST_E10value_typeET4_T5_PSY_SZ_PNS1_23onesweep_lookback_stateEbbT6_jjT7_P12ihipStream_tbENKUlT_T0_SN_SS_E_clISG_SG_SI_SI_EEDaS16_S17_SN_SS_EUlS16_E_NS1_11comp_targetILNS1_3genE0ELNS1_11target_archE4294967295ELNS1_3gpuE0ELNS1_3repE0EEENS1_47radix_sort_onesweep_sort_config_static_selectorELNS0_4arch9wavefront6targetE0EEEvSN_,"axG",@progbits,_ZN7rocprim17ROCPRIM_400000_NS6detail17trampoline_kernelINS0_14default_configENS1_35radix_sort_onesweep_config_selectorIjN6thrust23THRUST_200600_302600_NS5tupleIffNS6_9null_typeES8_S8_S8_S8_S8_S8_S8_EEEEZZNS1_29radix_sort_onesweep_iterationIS3_Lb0ENS6_6detail15normal_iteratorINS6_10device_ptrIjEEEESG_NSD_INSE_IS9_EEEESI_jNS0_19identity_decomposerENS1_16block_id_wrapperIjLb0EEEEE10hipError_tT1_PNSt15iterator_traitsISN_E10value_typeET2_T3_PNSO_IST_E10value_typeET4_T5_PSY_SZ_PNS1_23onesweep_lookback_stateEbbT6_jjT7_P12ihipStream_tbENKUlT_T0_SN_SS_E_clISG_SG_SI_SI_EEDaS16_S17_SN_SS_EUlS16_E_NS1_11comp_targetILNS1_3genE0ELNS1_11target_archE4294967295ELNS1_3gpuE0ELNS1_3repE0EEENS1_47radix_sort_onesweep_sort_config_static_selectorELNS0_4arch9wavefront6targetE0EEEvSN_,comdat
.Lfunc_end202:
	.size	_ZN7rocprim17ROCPRIM_400000_NS6detail17trampoline_kernelINS0_14default_configENS1_35radix_sort_onesweep_config_selectorIjN6thrust23THRUST_200600_302600_NS5tupleIffNS6_9null_typeES8_S8_S8_S8_S8_S8_S8_EEEEZZNS1_29radix_sort_onesweep_iterationIS3_Lb0ENS6_6detail15normal_iteratorINS6_10device_ptrIjEEEESG_NSD_INSE_IS9_EEEESI_jNS0_19identity_decomposerENS1_16block_id_wrapperIjLb0EEEEE10hipError_tT1_PNSt15iterator_traitsISN_E10value_typeET2_T3_PNSO_IST_E10value_typeET4_T5_PSY_SZ_PNS1_23onesweep_lookback_stateEbbT6_jjT7_P12ihipStream_tbENKUlT_T0_SN_SS_E_clISG_SG_SI_SI_EEDaS16_S17_SN_SS_EUlS16_E_NS1_11comp_targetILNS1_3genE0ELNS1_11target_archE4294967295ELNS1_3gpuE0ELNS1_3repE0EEENS1_47radix_sort_onesweep_sort_config_static_selectorELNS0_4arch9wavefront6targetE0EEEvSN_, .Lfunc_end202-_ZN7rocprim17ROCPRIM_400000_NS6detail17trampoline_kernelINS0_14default_configENS1_35radix_sort_onesweep_config_selectorIjN6thrust23THRUST_200600_302600_NS5tupleIffNS6_9null_typeES8_S8_S8_S8_S8_S8_S8_EEEEZZNS1_29radix_sort_onesweep_iterationIS3_Lb0ENS6_6detail15normal_iteratorINS6_10device_ptrIjEEEESG_NSD_INSE_IS9_EEEESI_jNS0_19identity_decomposerENS1_16block_id_wrapperIjLb0EEEEE10hipError_tT1_PNSt15iterator_traitsISN_E10value_typeET2_T3_PNSO_IST_E10value_typeET4_T5_PSY_SZ_PNS1_23onesweep_lookback_stateEbbT6_jjT7_P12ihipStream_tbENKUlT_T0_SN_SS_E_clISG_SG_SI_SI_EEDaS16_S17_SN_SS_EUlS16_E_NS1_11comp_targetILNS1_3genE0ELNS1_11target_archE4294967295ELNS1_3gpuE0ELNS1_3repE0EEENS1_47radix_sort_onesweep_sort_config_static_selectorELNS0_4arch9wavefront6targetE0EEEvSN_
                                        ; -- End function
	.set _ZN7rocprim17ROCPRIM_400000_NS6detail17trampoline_kernelINS0_14default_configENS1_35radix_sort_onesweep_config_selectorIjN6thrust23THRUST_200600_302600_NS5tupleIffNS6_9null_typeES8_S8_S8_S8_S8_S8_S8_EEEEZZNS1_29radix_sort_onesweep_iterationIS3_Lb0ENS6_6detail15normal_iteratorINS6_10device_ptrIjEEEESG_NSD_INSE_IS9_EEEESI_jNS0_19identity_decomposerENS1_16block_id_wrapperIjLb0EEEEE10hipError_tT1_PNSt15iterator_traitsISN_E10value_typeET2_T3_PNSO_IST_E10value_typeET4_T5_PSY_SZ_PNS1_23onesweep_lookback_stateEbbT6_jjT7_P12ihipStream_tbENKUlT_T0_SN_SS_E_clISG_SG_SI_SI_EEDaS16_S17_SN_SS_EUlS16_E_NS1_11comp_targetILNS1_3genE0ELNS1_11target_archE4294967295ELNS1_3gpuE0ELNS1_3repE0EEENS1_47radix_sort_onesweep_sort_config_static_selectorELNS0_4arch9wavefront6targetE0EEEvSN_.num_vgpr, 58
	.set _ZN7rocprim17ROCPRIM_400000_NS6detail17trampoline_kernelINS0_14default_configENS1_35radix_sort_onesweep_config_selectorIjN6thrust23THRUST_200600_302600_NS5tupleIffNS6_9null_typeES8_S8_S8_S8_S8_S8_S8_EEEEZZNS1_29radix_sort_onesweep_iterationIS3_Lb0ENS6_6detail15normal_iteratorINS6_10device_ptrIjEEEESG_NSD_INSE_IS9_EEEESI_jNS0_19identity_decomposerENS1_16block_id_wrapperIjLb0EEEEE10hipError_tT1_PNSt15iterator_traitsISN_E10value_typeET2_T3_PNSO_IST_E10value_typeET4_T5_PSY_SZ_PNS1_23onesweep_lookback_stateEbbT6_jjT7_P12ihipStream_tbENKUlT_T0_SN_SS_E_clISG_SG_SI_SI_EEDaS16_S17_SN_SS_EUlS16_E_NS1_11comp_targetILNS1_3genE0ELNS1_11target_archE4294967295ELNS1_3gpuE0ELNS1_3repE0EEENS1_47radix_sort_onesweep_sort_config_static_selectorELNS0_4arch9wavefront6targetE0EEEvSN_.num_agpr, 0
	.set _ZN7rocprim17ROCPRIM_400000_NS6detail17trampoline_kernelINS0_14default_configENS1_35radix_sort_onesweep_config_selectorIjN6thrust23THRUST_200600_302600_NS5tupleIffNS6_9null_typeES8_S8_S8_S8_S8_S8_S8_EEEEZZNS1_29radix_sort_onesweep_iterationIS3_Lb0ENS6_6detail15normal_iteratorINS6_10device_ptrIjEEEESG_NSD_INSE_IS9_EEEESI_jNS0_19identity_decomposerENS1_16block_id_wrapperIjLb0EEEEE10hipError_tT1_PNSt15iterator_traitsISN_E10value_typeET2_T3_PNSO_IST_E10value_typeET4_T5_PSY_SZ_PNS1_23onesweep_lookback_stateEbbT6_jjT7_P12ihipStream_tbENKUlT_T0_SN_SS_E_clISG_SG_SI_SI_EEDaS16_S17_SN_SS_EUlS16_E_NS1_11comp_targetILNS1_3genE0ELNS1_11target_archE4294967295ELNS1_3gpuE0ELNS1_3repE0EEENS1_47radix_sort_onesweep_sort_config_static_selectorELNS0_4arch9wavefront6targetE0EEEvSN_.numbered_sgpr, 43
	.set _ZN7rocprim17ROCPRIM_400000_NS6detail17trampoline_kernelINS0_14default_configENS1_35radix_sort_onesweep_config_selectorIjN6thrust23THRUST_200600_302600_NS5tupleIffNS6_9null_typeES8_S8_S8_S8_S8_S8_S8_EEEEZZNS1_29radix_sort_onesweep_iterationIS3_Lb0ENS6_6detail15normal_iteratorINS6_10device_ptrIjEEEESG_NSD_INSE_IS9_EEEESI_jNS0_19identity_decomposerENS1_16block_id_wrapperIjLb0EEEEE10hipError_tT1_PNSt15iterator_traitsISN_E10value_typeET2_T3_PNSO_IST_E10value_typeET4_T5_PSY_SZ_PNS1_23onesweep_lookback_stateEbbT6_jjT7_P12ihipStream_tbENKUlT_T0_SN_SS_E_clISG_SG_SI_SI_EEDaS16_S17_SN_SS_EUlS16_E_NS1_11comp_targetILNS1_3genE0ELNS1_11target_archE4294967295ELNS1_3gpuE0ELNS1_3repE0EEENS1_47radix_sort_onesweep_sort_config_static_selectorELNS0_4arch9wavefront6targetE0EEEvSN_.num_named_barrier, 0
	.set _ZN7rocprim17ROCPRIM_400000_NS6detail17trampoline_kernelINS0_14default_configENS1_35radix_sort_onesweep_config_selectorIjN6thrust23THRUST_200600_302600_NS5tupleIffNS6_9null_typeES8_S8_S8_S8_S8_S8_S8_EEEEZZNS1_29radix_sort_onesweep_iterationIS3_Lb0ENS6_6detail15normal_iteratorINS6_10device_ptrIjEEEESG_NSD_INSE_IS9_EEEESI_jNS0_19identity_decomposerENS1_16block_id_wrapperIjLb0EEEEE10hipError_tT1_PNSt15iterator_traitsISN_E10value_typeET2_T3_PNSO_IST_E10value_typeET4_T5_PSY_SZ_PNS1_23onesweep_lookback_stateEbbT6_jjT7_P12ihipStream_tbENKUlT_T0_SN_SS_E_clISG_SG_SI_SI_EEDaS16_S17_SN_SS_EUlS16_E_NS1_11comp_targetILNS1_3genE0ELNS1_11target_archE4294967295ELNS1_3gpuE0ELNS1_3repE0EEENS1_47radix_sort_onesweep_sort_config_static_selectorELNS0_4arch9wavefront6targetE0EEEvSN_.private_seg_size, 0
	.set _ZN7rocprim17ROCPRIM_400000_NS6detail17trampoline_kernelINS0_14default_configENS1_35radix_sort_onesweep_config_selectorIjN6thrust23THRUST_200600_302600_NS5tupleIffNS6_9null_typeES8_S8_S8_S8_S8_S8_S8_EEEEZZNS1_29radix_sort_onesweep_iterationIS3_Lb0ENS6_6detail15normal_iteratorINS6_10device_ptrIjEEEESG_NSD_INSE_IS9_EEEESI_jNS0_19identity_decomposerENS1_16block_id_wrapperIjLb0EEEEE10hipError_tT1_PNSt15iterator_traitsISN_E10value_typeET2_T3_PNSO_IST_E10value_typeET4_T5_PSY_SZ_PNS1_23onesweep_lookback_stateEbbT6_jjT7_P12ihipStream_tbENKUlT_T0_SN_SS_E_clISG_SG_SI_SI_EEDaS16_S17_SN_SS_EUlS16_E_NS1_11comp_targetILNS1_3genE0ELNS1_11target_archE4294967295ELNS1_3gpuE0ELNS1_3repE0EEENS1_47radix_sort_onesweep_sort_config_static_selectorELNS0_4arch9wavefront6targetE0EEEvSN_.uses_vcc, 1
	.set _ZN7rocprim17ROCPRIM_400000_NS6detail17trampoline_kernelINS0_14default_configENS1_35radix_sort_onesweep_config_selectorIjN6thrust23THRUST_200600_302600_NS5tupleIffNS6_9null_typeES8_S8_S8_S8_S8_S8_S8_EEEEZZNS1_29radix_sort_onesweep_iterationIS3_Lb0ENS6_6detail15normal_iteratorINS6_10device_ptrIjEEEESG_NSD_INSE_IS9_EEEESI_jNS0_19identity_decomposerENS1_16block_id_wrapperIjLb0EEEEE10hipError_tT1_PNSt15iterator_traitsISN_E10value_typeET2_T3_PNSO_IST_E10value_typeET4_T5_PSY_SZ_PNS1_23onesweep_lookback_stateEbbT6_jjT7_P12ihipStream_tbENKUlT_T0_SN_SS_E_clISG_SG_SI_SI_EEDaS16_S17_SN_SS_EUlS16_E_NS1_11comp_targetILNS1_3genE0ELNS1_11target_archE4294967295ELNS1_3gpuE0ELNS1_3repE0EEENS1_47radix_sort_onesweep_sort_config_static_selectorELNS0_4arch9wavefront6targetE0EEEvSN_.uses_flat_scratch, 0
	.set _ZN7rocprim17ROCPRIM_400000_NS6detail17trampoline_kernelINS0_14default_configENS1_35radix_sort_onesweep_config_selectorIjN6thrust23THRUST_200600_302600_NS5tupleIffNS6_9null_typeES8_S8_S8_S8_S8_S8_S8_EEEEZZNS1_29radix_sort_onesweep_iterationIS3_Lb0ENS6_6detail15normal_iteratorINS6_10device_ptrIjEEEESG_NSD_INSE_IS9_EEEESI_jNS0_19identity_decomposerENS1_16block_id_wrapperIjLb0EEEEE10hipError_tT1_PNSt15iterator_traitsISN_E10value_typeET2_T3_PNSO_IST_E10value_typeET4_T5_PSY_SZ_PNS1_23onesweep_lookback_stateEbbT6_jjT7_P12ihipStream_tbENKUlT_T0_SN_SS_E_clISG_SG_SI_SI_EEDaS16_S17_SN_SS_EUlS16_E_NS1_11comp_targetILNS1_3genE0ELNS1_11target_archE4294967295ELNS1_3gpuE0ELNS1_3repE0EEENS1_47radix_sort_onesweep_sort_config_static_selectorELNS0_4arch9wavefront6targetE0EEEvSN_.has_dyn_sized_stack, 0
	.set _ZN7rocprim17ROCPRIM_400000_NS6detail17trampoline_kernelINS0_14default_configENS1_35radix_sort_onesweep_config_selectorIjN6thrust23THRUST_200600_302600_NS5tupleIffNS6_9null_typeES8_S8_S8_S8_S8_S8_S8_EEEEZZNS1_29radix_sort_onesweep_iterationIS3_Lb0ENS6_6detail15normal_iteratorINS6_10device_ptrIjEEEESG_NSD_INSE_IS9_EEEESI_jNS0_19identity_decomposerENS1_16block_id_wrapperIjLb0EEEEE10hipError_tT1_PNSt15iterator_traitsISN_E10value_typeET2_T3_PNSO_IST_E10value_typeET4_T5_PSY_SZ_PNS1_23onesweep_lookback_stateEbbT6_jjT7_P12ihipStream_tbENKUlT_T0_SN_SS_E_clISG_SG_SI_SI_EEDaS16_S17_SN_SS_EUlS16_E_NS1_11comp_targetILNS1_3genE0ELNS1_11target_archE4294967295ELNS1_3gpuE0ELNS1_3repE0EEENS1_47radix_sort_onesweep_sort_config_static_selectorELNS0_4arch9wavefront6targetE0EEEvSN_.has_recursion, 0
	.set _ZN7rocprim17ROCPRIM_400000_NS6detail17trampoline_kernelINS0_14default_configENS1_35radix_sort_onesweep_config_selectorIjN6thrust23THRUST_200600_302600_NS5tupleIffNS6_9null_typeES8_S8_S8_S8_S8_S8_S8_EEEEZZNS1_29radix_sort_onesweep_iterationIS3_Lb0ENS6_6detail15normal_iteratorINS6_10device_ptrIjEEEESG_NSD_INSE_IS9_EEEESI_jNS0_19identity_decomposerENS1_16block_id_wrapperIjLb0EEEEE10hipError_tT1_PNSt15iterator_traitsISN_E10value_typeET2_T3_PNSO_IST_E10value_typeET4_T5_PSY_SZ_PNS1_23onesweep_lookback_stateEbbT6_jjT7_P12ihipStream_tbENKUlT_T0_SN_SS_E_clISG_SG_SI_SI_EEDaS16_S17_SN_SS_EUlS16_E_NS1_11comp_targetILNS1_3genE0ELNS1_11target_archE4294967295ELNS1_3gpuE0ELNS1_3repE0EEENS1_47radix_sort_onesweep_sort_config_static_selectorELNS0_4arch9wavefront6targetE0EEEvSN_.has_indirect_call, 0
	.section	.AMDGPU.csdata,"",@progbits
; Kernel info:
; codeLenInByte = 13196
; TotalNumSgprs: 45
; NumVgprs: 58
; ScratchSize: 0
; MemoryBound: 0
; FloatMode: 240
; IeeeMode: 1
; LDSByteSize: 51280 bytes/workgroup (compile time only)
; SGPRBlocks: 0
; VGPRBlocks: 3
; NumSGPRsForWavesPerEU: 45
; NumVGPRsForWavesPerEU: 58
; NamedBarCnt: 0
; Occupancy: 16
; WaveLimiterHint : 1
; COMPUTE_PGM_RSRC2:SCRATCH_EN: 0
; COMPUTE_PGM_RSRC2:USER_SGPR: 4
; COMPUTE_PGM_RSRC2:TRAP_HANDLER: 0
; COMPUTE_PGM_RSRC2:TGID_X_EN: 1
; COMPUTE_PGM_RSRC2:TGID_Y_EN: 0
; COMPUTE_PGM_RSRC2:TGID_Z_EN: 0
; COMPUTE_PGM_RSRC2:TIDIG_COMP_CNT: 2
	.section	.text._ZN7rocprim17ROCPRIM_400000_NS6detail17trampoline_kernelINS0_14default_configENS1_35radix_sort_onesweep_config_selectorIjN6thrust23THRUST_200600_302600_NS5tupleIffNS6_9null_typeES8_S8_S8_S8_S8_S8_S8_EEEEZZNS1_29radix_sort_onesweep_iterationIS3_Lb0ENS6_6detail15normal_iteratorINS6_10device_ptrIjEEEESG_NSD_INSE_IS9_EEEESI_jNS0_19identity_decomposerENS1_16block_id_wrapperIjLb0EEEEE10hipError_tT1_PNSt15iterator_traitsISN_E10value_typeET2_T3_PNSO_IST_E10value_typeET4_T5_PSY_SZ_PNS1_23onesweep_lookback_stateEbbT6_jjT7_P12ihipStream_tbENKUlT_T0_SN_SS_E_clISG_SG_SI_SI_EEDaS16_S17_SN_SS_EUlS16_E_NS1_11comp_targetILNS1_3genE6ELNS1_11target_archE950ELNS1_3gpuE13ELNS1_3repE0EEENS1_47radix_sort_onesweep_sort_config_static_selectorELNS0_4arch9wavefront6targetE0EEEvSN_,"axG",@progbits,_ZN7rocprim17ROCPRIM_400000_NS6detail17trampoline_kernelINS0_14default_configENS1_35radix_sort_onesweep_config_selectorIjN6thrust23THRUST_200600_302600_NS5tupleIffNS6_9null_typeES8_S8_S8_S8_S8_S8_S8_EEEEZZNS1_29radix_sort_onesweep_iterationIS3_Lb0ENS6_6detail15normal_iteratorINS6_10device_ptrIjEEEESG_NSD_INSE_IS9_EEEESI_jNS0_19identity_decomposerENS1_16block_id_wrapperIjLb0EEEEE10hipError_tT1_PNSt15iterator_traitsISN_E10value_typeET2_T3_PNSO_IST_E10value_typeET4_T5_PSY_SZ_PNS1_23onesweep_lookback_stateEbbT6_jjT7_P12ihipStream_tbENKUlT_T0_SN_SS_E_clISG_SG_SI_SI_EEDaS16_S17_SN_SS_EUlS16_E_NS1_11comp_targetILNS1_3genE6ELNS1_11target_archE950ELNS1_3gpuE13ELNS1_3repE0EEENS1_47radix_sort_onesweep_sort_config_static_selectorELNS0_4arch9wavefront6targetE0EEEvSN_,comdat
	.protected	_ZN7rocprim17ROCPRIM_400000_NS6detail17trampoline_kernelINS0_14default_configENS1_35radix_sort_onesweep_config_selectorIjN6thrust23THRUST_200600_302600_NS5tupleIffNS6_9null_typeES8_S8_S8_S8_S8_S8_S8_EEEEZZNS1_29radix_sort_onesweep_iterationIS3_Lb0ENS6_6detail15normal_iteratorINS6_10device_ptrIjEEEESG_NSD_INSE_IS9_EEEESI_jNS0_19identity_decomposerENS1_16block_id_wrapperIjLb0EEEEE10hipError_tT1_PNSt15iterator_traitsISN_E10value_typeET2_T3_PNSO_IST_E10value_typeET4_T5_PSY_SZ_PNS1_23onesweep_lookback_stateEbbT6_jjT7_P12ihipStream_tbENKUlT_T0_SN_SS_E_clISG_SG_SI_SI_EEDaS16_S17_SN_SS_EUlS16_E_NS1_11comp_targetILNS1_3genE6ELNS1_11target_archE950ELNS1_3gpuE13ELNS1_3repE0EEENS1_47radix_sort_onesweep_sort_config_static_selectorELNS0_4arch9wavefront6targetE0EEEvSN_ ; -- Begin function _ZN7rocprim17ROCPRIM_400000_NS6detail17trampoline_kernelINS0_14default_configENS1_35radix_sort_onesweep_config_selectorIjN6thrust23THRUST_200600_302600_NS5tupleIffNS6_9null_typeES8_S8_S8_S8_S8_S8_S8_EEEEZZNS1_29radix_sort_onesweep_iterationIS3_Lb0ENS6_6detail15normal_iteratorINS6_10device_ptrIjEEEESG_NSD_INSE_IS9_EEEESI_jNS0_19identity_decomposerENS1_16block_id_wrapperIjLb0EEEEE10hipError_tT1_PNSt15iterator_traitsISN_E10value_typeET2_T3_PNSO_IST_E10value_typeET4_T5_PSY_SZ_PNS1_23onesweep_lookback_stateEbbT6_jjT7_P12ihipStream_tbENKUlT_T0_SN_SS_E_clISG_SG_SI_SI_EEDaS16_S17_SN_SS_EUlS16_E_NS1_11comp_targetILNS1_3genE6ELNS1_11target_archE950ELNS1_3gpuE13ELNS1_3repE0EEENS1_47radix_sort_onesweep_sort_config_static_selectorELNS0_4arch9wavefront6targetE0EEEvSN_
	.globl	_ZN7rocprim17ROCPRIM_400000_NS6detail17trampoline_kernelINS0_14default_configENS1_35radix_sort_onesweep_config_selectorIjN6thrust23THRUST_200600_302600_NS5tupleIffNS6_9null_typeES8_S8_S8_S8_S8_S8_S8_EEEEZZNS1_29radix_sort_onesweep_iterationIS3_Lb0ENS6_6detail15normal_iteratorINS6_10device_ptrIjEEEESG_NSD_INSE_IS9_EEEESI_jNS0_19identity_decomposerENS1_16block_id_wrapperIjLb0EEEEE10hipError_tT1_PNSt15iterator_traitsISN_E10value_typeET2_T3_PNSO_IST_E10value_typeET4_T5_PSY_SZ_PNS1_23onesweep_lookback_stateEbbT6_jjT7_P12ihipStream_tbENKUlT_T0_SN_SS_E_clISG_SG_SI_SI_EEDaS16_S17_SN_SS_EUlS16_E_NS1_11comp_targetILNS1_3genE6ELNS1_11target_archE950ELNS1_3gpuE13ELNS1_3repE0EEENS1_47radix_sort_onesweep_sort_config_static_selectorELNS0_4arch9wavefront6targetE0EEEvSN_
	.p2align	8
	.type	_ZN7rocprim17ROCPRIM_400000_NS6detail17trampoline_kernelINS0_14default_configENS1_35radix_sort_onesweep_config_selectorIjN6thrust23THRUST_200600_302600_NS5tupleIffNS6_9null_typeES8_S8_S8_S8_S8_S8_S8_EEEEZZNS1_29radix_sort_onesweep_iterationIS3_Lb0ENS6_6detail15normal_iteratorINS6_10device_ptrIjEEEESG_NSD_INSE_IS9_EEEESI_jNS0_19identity_decomposerENS1_16block_id_wrapperIjLb0EEEEE10hipError_tT1_PNSt15iterator_traitsISN_E10value_typeET2_T3_PNSO_IST_E10value_typeET4_T5_PSY_SZ_PNS1_23onesweep_lookback_stateEbbT6_jjT7_P12ihipStream_tbENKUlT_T0_SN_SS_E_clISG_SG_SI_SI_EEDaS16_S17_SN_SS_EUlS16_E_NS1_11comp_targetILNS1_3genE6ELNS1_11target_archE950ELNS1_3gpuE13ELNS1_3repE0EEENS1_47radix_sort_onesweep_sort_config_static_selectorELNS0_4arch9wavefront6targetE0EEEvSN_,@function
_ZN7rocprim17ROCPRIM_400000_NS6detail17trampoline_kernelINS0_14default_configENS1_35radix_sort_onesweep_config_selectorIjN6thrust23THRUST_200600_302600_NS5tupleIffNS6_9null_typeES8_S8_S8_S8_S8_S8_S8_EEEEZZNS1_29radix_sort_onesweep_iterationIS3_Lb0ENS6_6detail15normal_iteratorINS6_10device_ptrIjEEEESG_NSD_INSE_IS9_EEEESI_jNS0_19identity_decomposerENS1_16block_id_wrapperIjLb0EEEEE10hipError_tT1_PNSt15iterator_traitsISN_E10value_typeET2_T3_PNSO_IST_E10value_typeET4_T5_PSY_SZ_PNS1_23onesweep_lookback_stateEbbT6_jjT7_P12ihipStream_tbENKUlT_T0_SN_SS_E_clISG_SG_SI_SI_EEDaS16_S17_SN_SS_EUlS16_E_NS1_11comp_targetILNS1_3genE6ELNS1_11target_archE950ELNS1_3gpuE13ELNS1_3repE0EEENS1_47radix_sort_onesweep_sort_config_static_selectorELNS0_4arch9wavefront6targetE0EEEvSN_: ; @_ZN7rocprim17ROCPRIM_400000_NS6detail17trampoline_kernelINS0_14default_configENS1_35radix_sort_onesweep_config_selectorIjN6thrust23THRUST_200600_302600_NS5tupleIffNS6_9null_typeES8_S8_S8_S8_S8_S8_S8_EEEEZZNS1_29radix_sort_onesweep_iterationIS3_Lb0ENS6_6detail15normal_iteratorINS6_10device_ptrIjEEEESG_NSD_INSE_IS9_EEEESI_jNS0_19identity_decomposerENS1_16block_id_wrapperIjLb0EEEEE10hipError_tT1_PNSt15iterator_traitsISN_E10value_typeET2_T3_PNSO_IST_E10value_typeET4_T5_PSY_SZ_PNS1_23onesweep_lookback_stateEbbT6_jjT7_P12ihipStream_tbENKUlT_T0_SN_SS_E_clISG_SG_SI_SI_EEDaS16_S17_SN_SS_EUlS16_E_NS1_11comp_targetILNS1_3genE6ELNS1_11target_archE950ELNS1_3gpuE13ELNS1_3repE0EEENS1_47radix_sort_onesweep_sort_config_static_selectorELNS0_4arch9wavefront6targetE0EEEvSN_
; %bb.0:
	.section	.rodata,"a",@progbits
	.p2align	6, 0x0
	.amdhsa_kernel _ZN7rocprim17ROCPRIM_400000_NS6detail17trampoline_kernelINS0_14default_configENS1_35radix_sort_onesweep_config_selectorIjN6thrust23THRUST_200600_302600_NS5tupleIffNS6_9null_typeES8_S8_S8_S8_S8_S8_S8_EEEEZZNS1_29radix_sort_onesweep_iterationIS3_Lb0ENS6_6detail15normal_iteratorINS6_10device_ptrIjEEEESG_NSD_INSE_IS9_EEEESI_jNS0_19identity_decomposerENS1_16block_id_wrapperIjLb0EEEEE10hipError_tT1_PNSt15iterator_traitsISN_E10value_typeET2_T3_PNSO_IST_E10value_typeET4_T5_PSY_SZ_PNS1_23onesweep_lookback_stateEbbT6_jjT7_P12ihipStream_tbENKUlT_T0_SN_SS_E_clISG_SG_SI_SI_EEDaS16_S17_SN_SS_EUlS16_E_NS1_11comp_targetILNS1_3genE6ELNS1_11target_archE950ELNS1_3gpuE13ELNS1_3repE0EEENS1_47radix_sort_onesweep_sort_config_static_selectorELNS0_4arch9wavefront6targetE0EEEvSN_
		.amdhsa_group_segment_fixed_size 0
		.amdhsa_private_segment_fixed_size 0
		.amdhsa_kernarg_size 88
		.amdhsa_user_sgpr_count 2
		.amdhsa_user_sgpr_dispatch_ptr 0
		.amdhsa_user_sgpr_queue_ptr 0
		.amdhsa_user_sgpr_kernarg_segment_ptr 1
		.amdhsa_user_sgpr_dispatch_id 0
		.amdhsa_user_sgpr_kernarg_preload_length 0
		.amdhsa_user_sgpr_kernarg_preload_offset 0
		.amdhsa_user_sgpr_private_segment_size 0
		.amdhsa_wavefront_size32 1
		.amdhsa_uses_dynamic_stack 0
		.amdhsa_enable_private_segment 0
		.amdhsa_system_sgpr_workgroup_id_x 1
		.amdhsa_system_sgpr_workgroup_id_y 0
		.amdhsa_system_sgpr_workgroup_id_z 0
		.amdhsa_system_sgpr_workgroup_info 0
		.amdhsa_system_vgpr_workitem_id 0
		.amdhsa_next_free_vgpr 1
		.amdhsa_next_free_sgpr 1
		.amdhsa_named_barrier_count 0
		.amdhsa_reserve_vcc 0
		.amdhsa_float_round_mode_32 0
		.amdhsa_float_round_mode_16_64 0
		.amdhsa_float_denorm_mode_32 3
		.amdhsa_float_denorm_mode_16_64 3
		.amdhsa_fp16_overflow 0
		.amdhsa_memory_ordered 1
		.amdhsa_forward_progress 1
		.amdhsa_inst_pref_size 0
		.amdhsa_round_robin_scheduling 0
		.amdhsa_exception_fp_ieee_invalid_op 0
		.amdhsa_exception_fp_denorm_src 0
		.amdhsa_exception_fp_ieee_div_zero 0
		.amdhsa_exception_fp_ieee_overflow 0
		.amdhsa_exception_fp_ieee_underflow 0
		.amdhsa_exception_fp_ieee_inexact 0
		.amdhsa_exception_int_div_zero 0
	.end_amdhsa_kernel
	.section	.text._ZN7rocprim17ROCPRIM_400000_NS6detail17trampoline_kernelINS0_14default_configENS1_35radix_sort_onesweep_config_selectorIjN6thrust23THRUST_200600_302600_NS5tupleIffNS6_9null_typeES8_S8_S8_S8_S8_S8_S8_EEEEZZNS1_29radix_sort_onesweep_iterationIS3_Lb0ENS6_6detail15normal_iteratorINS6_10device_ptrIjEEEESG_NSD_INSE_IS9_EEEESI_jNS0_19identity_decomposerENS1_16block_id_wrapperIjLb0EEEEE10hipError_tT1_PNSt15iterator_traitsISN_E10value_typeET2_T3_PNSO_IST_E10value_typeET4_T5_PSY_SZ_PNS1_23onesweep_lookback_stateEbbT6_jjT7_P12ihipStream_tbENKUlT_T0_SN_SS_E_clISG_SG_SI_SI_EEDaS16_S17_SN_SS_EUlS16_E_NS1_11comp_targetILNS1_3genE6ELNS1_11target_archE950ELNS1_3gpuE13ELNS1_3repE0EEENS1_47radix_sort_onesweep_sort_config_static_selectorELNS0_4arch9wavefront6targetE0EEEvSN_,"axG",@progbits,_ZN7rocprim17ROCPRIM_400000_NS6detail17trampoline_kernelINS0_14default_configENS1_35radix_sort_onesweep_config_selectorIjN6thrust23THRUST_200600_302600_NS5tupleIffNS6_9null_typeES8_S8_S8_S8_S8_S8_S8_EEEEZZNS1_29radix_sort_onesweep_iterationIS3_Lb0ENS6_6detail15normal_iteratorINS6_10device_ptrIjEEEESG_NSD_INSE_IS9_EEEESI_jNS0_19identity_decomposerENS1_16block_id_wrapperIjLb0EEEEE10hipError_tT1_PNSt15iterator_traitsISN_E10value_typeET2_T3_PNSO_IST_E10value_typeET4_T5_PSY_SZ_PNS1_23onesweep_lookback_stateEbbT6_jjT7_P12ihipStream_tbENKUlT_T0_SN_SS_E_clISG_SG_SI_SI_EEDaS16_S17_SN_SS_EUlS16_E_NS1_11comp_targetILNS1_3genE6ELNS1_11target_archE950ELNS1_3gpuE13ELNS1_3repE0EEENS1_47radix_sort_onesweep_sort_config_static_selectorELNS0_4arch9wavefront6targetE0EEEvSN_,comdat
.Lfunc_end203:
	.size	_ZN7rocprim17ROCPRIM_400000_NS6detail17trampoline_kernelINS0_14default_configENS1_35radix_sort_onesweep_config_selectorIjN6thrust23THRUST_200600_302600_NS5tupleIffNS6_9null_typeES8_S8_S8_S8_S8_S8_S8_EEEEZZNS1_29radix_sort_onesweep_iterationIS3_Lb0ENS6_6detail15normal_iteratorINS6_10device_ptrIjEEEESG_NSD_INSE_IS9_EEEESI_jNS0_19identity_decomposerENS1_16block_id_wrapperIjLb0EEEEE10hipError_tT1_PNSt15iterator_traitsISN_E10value_typeET2_T3_PNSO_IST_E10value_typeET4_T5_PSY_SZ_PNS1_23onesweep_lookback_stateEbbT6_jjT7_P12ihipStream_tbENKUlT_T0_SN_SS_E_clISG_SG_SI_SI_EEDaS16_S17_SN_SS_EUlS16_E_NS1_11comp_targetILNS1_3genE6ELNS1_11target_archE950ELNS1_3gpuE13ELNS1_3repE0EEENS1_47radix_sort_onesweep_sort_config_static_selectorELNS0_4arch9wavefront6targetE0EEEvSN_, .Lfunc_end203-_ZN7rocprim17ROCPRIM_400000_NS6detail17trampoline_kernelINS0_14default_configENS1_35radix_sort_onesweep_config_selectorIjN6thrust23THRUST_200600_302600_NS5tupleIffNS6_9null_typeES8_S8_S8_S8_S8_S8_S8_EEEEZZNS1_29radix_sort_onesweep_iterationIS3_Lb0ENS6_6detail15normal_iteratorINS6_10device_ptrIjEEEESG_NSD_INSE_IS9_EEEESI_jNS0_19identity_decomposerENS1_16block_id_wrapperIjLb0EEEEE10hipError_tT1_PNSt15iterator_traitsISN_E10value_typeET2_T3_PNSO_IST_E10value_typeET4_T5_PSY_SZ_PNS1_23onesweep_lookback_stateEbbT6_jjT7_P12ihipStream_tbENKUlT_T0_SN_SS_E_clISG_SG_SI_SI_EEDaS16_S17_SN_SS_EUlS16_E_NS1_11comp_targetILNS1_3genE6ELNS1_11target_archE950ELNS1_3gpuE13ELNS1_3repE0EEENS1_47radix_sort_onesweep_sort_config_static_selectorELNS0_4arch9wavefront6targetE0EEEvSN_
                                        ; -- End function
	.set _ZN7rocprim17ROCPRIM_400000_NS6detail17trampoline_kernelINS0_14default_configENS1_35radix_sort_onesweep_config_selectorIjN6thrust23THRUST_200600_302600_NS5tupleIffNS6_9null_typeES8_S8_S8_S8_S8_S8_S8_EEEEZZNS1_29radix_sort_onesweep_iterationIS3_Lb0ENS6_6detail15normal_iteratorINS6_10device_ptrIjEEEESG_NSD_INSE_IS9_EEEESI_jNS0_19identity_decomposerENS1_16block_id_wrapperIjLb0EEEEE10hipError_tT1_PNSt15iterator_traitsISN_E10value_typeET2_T3_PNSO_IST_E10value_typeET4_T5_PSY_SZ_PNS1_23onesweep_lookback_stateEbbT6_jjT7_P12ihipStream_tbENKUlT_T0_SN_SS_E_clISG_SG_SI_SI_EEDaS16_S17_SN_SS_EUlS16_E_NS1_11comp_targetILNS1_3genE6ELNS1_11target_archE950ELNS1_3gpuE13ELNS1_3repE0EEENS1_47radix_sort_onesweep_sort_config_static_selectorELNS0_4arch9wavefront6targetE0EEEvSN_.num_vgpr, 0
	.set _ZN7rocprim17ROCPRIM_400000_NS6detail17trampoline_kernelINS0_14default_configENS1_35radix_sort_onesweep_config_selectorIjN6thrust23THRUST_200600_302600_NS5tupleIffNS6_9null_typeES8_S8_S8_S8_S8_S8_S8_EEEEZZNS1_29radix_sort_onesweep_iterationIS3_Lb0ENS6_6detail15normal_iteratorINS6_10device_ptrIjEEEESG_NSD_INSE_IS9_EEEESI_jNS0_19identity_decomposerENS1_16block_id_wrapperIjLb0EEEEE10hipError_tT1_PNSt15iterator_traitsISN_E10value_typeET2_T3_PNSO_IST_E10value_typeET4_T5_PSY_SZ_PNS1_23onesweep_lookback_stateEbbT6_jjT7_P12ihipStream_tbENKUlT_T0_SN_SS_E_clISG_SG_SI_SI_EEDaS16_S17_SN_SS_EUlS16_E_NS1_11comp_targetILNS1_3genE6ELNS1_11target_archE950ELNS1_3gpuE13ELNS1_3repE0EEENS1_47radix_sort_onesweep_sort_config_static_selectorELNS0_4arch9wavefront6targetE0EEEvSN_.num_agpr, 0
	.set _ZN7rocprim17ROCPRIM_400000_NS6detail17trampoline_kernelINS0_14default_configENS1_35radix_sort_onesweep_config_selectorIjN6thrust23THRUST_200600_302600_NS5tupleIffNS6_9null_typeES8_S8_S8_S8_S8_S8_S8_EEEEZZNS1_29radix_sort_onesweep_iterationIS3_Lb0ENS6_6detail15normal_iteratorINS6_10device_ptrIjEEEESG_NSD_INSE_IS9_EEEESI_jNS0_19identity_decomposerENS1_16block_id_wrapperIjLb0EEEEE10hipError_tT1_PNSt15iterator_traitsISN_E10value_typeET2_T3_PNSO_IST_E10value_typeET4_T5_PSY_SZ_PNS1_23onesweep_lookback_stateEbbT6_jjT7_P12ihipStream_tbENKUlT_T0_SN_SS_E_clISG_SG_SI_SI_EEDaS16_S17_SN_SS_EUlS16_E_NS1_11comp_targetILNS1_3genE6ELNS1_11target_archE950ELNS1_3gpuE13ELNS1_3repE0EEENS1_47radix_sort_onesweep_sort_config_static_selectorELNS0_4arch9wavefront6targetE0EEEvSN_.numbered_sgpr, 0
	.set _ZN7rocprim17ROCPRIM_400000_NS6detail17trampoline_kernelINS0_14default_configENS1_35radix_sort_onesweep_config_selectorIjN6thrust23THRUST_200600_302600_NS5tupleIffNS6_9null_typeES8_S8_S8_S8_S8_S8_S8_EEEEZZNS1_29radix_sort_onesweep_iterationIS3_Lb0ENS6_6detail15normal_iteratorINS6_10device_ptrIjEEEESG_NSD_INSE_IS9_EEEESI_jNS0_19identity_decomposerENS1_16block_id_wrapperIjLb0EEEEE10hipError_tT1_PNSt15iterator_traitsISN_E10value_typeET2_T3_PNSO_IST_E10value_typeET4_T5_PSY_SZ_PNS1_23onesweep_lookback_stateEbbT6_jjT7_P12ihipStream_tbENKUlT_T0_SN_SS_E_clISG_SG_SI_SI_EEDaS16_S17_SN_SS_EUlS16_E_NS1_11comp_targetILNS1_3genE6ELNS1_11target_archE950ELNS1_3gpuE13ELNS1_3repE0EEENS1_47radix_sort_onesweep_sort_config_static_selectorELNS0_4arch9wavefront6targetE0EEEvSN_.num_named_barrier, 0
	.set _ZN7rocprim17ROCPRIM_400000_NS6detail17trampoline_kernelINS0_14default_configENS1_35radix_sort_onesweep_config_selectorIjN6thrust23THRUST_200600_302600_NS5tupleIffNS6_9null_typeES8_S8_S8_S8_S8_S8_S8_EEEEZZNS1_29radix_sort_onesweep_iterationIS3_Lb0ENS6_6detail15normal_iteratorINS6_10device_ptrIjEEEESG_NSD_INSE_IS9_EEEESI_jNS0_19identity_decomposerENS1_16block_id_wrapperIjLb0EEEEE10hipError_tT1_PNSt15iterator_traitsISN_E10value_typeET2_T3_PNSO_IST_E10value_typeET4_T5_PSY_SZ_PNS1_23onesweep_lookback_stateEbbT6_jjT7_P12ihipStream_tbENKUlT_T0_SN_SS_E_clISG_SG_SI_SI_EEDaS16_S17_SN_SS_EUlS16_E_NS1_11comp_targetILNS1_3genE6ELNS1_11target_archE950ELNS1_3gpuE13ELNS1_3repE0EEENS1_47radix_sort_onesweep_sort_config_static_selectorELNS0_4arch9wavefront6targetE0EEEvSN_.private_seg_size, 0
	.set _ZN7rocprim17ROCPRIM_400000_NS6detail17trampoline_kernelINS0_14default_configENS1_35radix_sort_onesweep_config_selectorIjN6thrust23THRUST_200600_302600_NS5tupleIffNS6_9null_typeES8_S8_S8_S8_S8_S8_S8_EEEEZZNS1_29radix_sort_onesweep_iterationIS3_Lb0ENS6_6detail15normal_iteratorINS6_10device_ptrIjEEEESG_NSD_INSE_IS9_EEEESI_jNS0_19identity_decomposerENS1_16block_id_wrapperIjLb0EEEEE10hipError_tT1_PNSt15iterator_traitsISN_E10value_typeET2_T3_PNSO_IST_E10value_typeET4_T5_PSY_SZ_PNS1_23onesweep_lookback_stateEbbT6_jjT7_P12ihipStream_tbENKUlT_T0_SN_SS_E_clISG_SG_SI_SI_EEDaS16_S17_SN_SS_EUlS16_E_NS1_11comp_targetILNS1_3genE6ELNS1_11target_archE950ELNS1_3gpuE13ELNS1_3repE0EEENS1_47radix_sort_onesweep_sort_config_static_selectorELNS0_4arch9wavefront6targetE0EEEvSN_.uses_vcc, 0
	.set _ZN7rocprim17ROCPRIM_400000_NS6detail17trampoline_kernelINS0_14default_configENS1_35radix_sort_onesweep_config_selectorIjN6thrust23THRUST_200600_302600_NS5tupleIffNS6_9null_typeES8_S8_S8_S8_S8_S8_S8_EEEEZZNS1_29radix_sort_onesweep_iterationIS3_Lb0ENS6_6detail15normal_iteratorINS6_10device_ptrIjEEEESG_NSD_INSE_IS9_EEEESI_jNS0_19identity_decomposerENS1_16block_id_wrapperIjLb0EEEEE10hipError_tT1_PNSt15iterator_traitsISN_E10value_typeET2_T3_PNSO_IST_E10value_typeET4_T5_PSY_SZ_PNS1_23onesweep_lookback_stateEbbT6_jjT7_P12ihipStream_tbENKUlT_T0_SN_SS_E_clISG_SG_SI_SI_EEDaS16_S17_SN_SS_EUlS16_E_NS1_11comp_targetILNS1_3genE6ELNS1_11target_archE950ELNS1_3gpuE13ELNS1_3repE0EEENS1_47radix_sort_onesweep_sort_config_static_selectorELNS0_4arch9wavefront6targetE0EEEvSN_.uses_flat_scratch, 0
	.set _ZN7rocprim17ROCPRIM_400000_NS6detail17trampoline_kernelINS0_14default_configENS1_35radix_sort_onesweep_config_selectorIjN6thrust23THRUST_200600_302600_NS5tupleIffNS6_9null_typeES8_S8_S8_S8_S8_S8_S8_EEEEZZNS1_29radix_sort_onesweep_iterationIS3_Lb0ENS6_6detail15normal_iteratorINS6_10device_ptrIjEEEESG_NSD_INSE_IS9_EEEESI_jNS0_19identity_decomposerENS1_16block_id_wrapperIjLb0EEEEE10hipError_tT1_PNSt15iterator_traitsISN_E10value_typeET2_T3_PNSO_IST_E10value_typeET4_T5_PSY_SZ_PNS1_23onesweep_lookback_stateEbbT6_jjT7_P12ihipStream_tbENKUlT_T0_SN_SS_E_clISG_SG_SI_SI_EEDaS16_S17_SN_SS_EUlS16_E_NS1_11comp_targetILNS1_3genE6ELNS1_11target_archE950ELNS1_3gpuE13ELNS1_3repE0EEENS1_47radix_sort_onesweep_sort_config_static_selectorELNS0_4arch9wavefront6targetE0EEEvSN_.has_dyn_sized_stack, 0
	.set _ZN7rocprim17ROCPRIM_400000_NS6detail17trampoline_kernelINS0_14default_configENS1_35radix_sort_onesweep_config_selectorIjN6thrust23THRUST_200600_302600_NS5tupleIffNS6_9null_typeES8_S8_S8_S8_S8_S8_S8_EEEEZZNS1_29radix_sort_onesweep_iterationIS3_Lb0ENS6_6detail15normal_iteratorINS6_10device_ptrIjEEEESG_NSD_INSE_IS9_EEEESI_jNS0_19identity_decomposerENS1_16block_id_wrapperIjLb0EEEEE10hipError_tT1_PNSt15iterator_traitsISN_E10value_typeET2_T3_PNSO_IST_E10value_typeET4_T5_PSY_SZ_PNS1_23onesweep_lookback_stateEbbT6_jjT7_P12ihipStream_tbENKUlT_T0_SN_SS_E_clISG_SG_SI_SI_EEDaS16_S17_SN_SS_EUlS16_E_NS1_11comp_targetILNS1_3genE6ELNS1_11target_archE950ELNS1_3gpuE13ELNS1_3repE0EEENS1_47radix_sort_onesweep_sort_config_static_selectorELNS0_4arch9wavefront6targetE0EEEvSN_.has_recursion, 0
	.set _ZN7rocprim17ROCPRIM_400000_NS6detail17trampoline_kernelINS0_14default_configENS1_35radix_sort_onesweep_config_selectorIjN6thrust23THRUST_200600_302600_NS5tupleIffNS6_9null_typeES8_S8_S8_S8_S8_S8_S8_EEEEZZNS1_29radix_sort_onesweep_iterationIS3_Lb0ENS6_6detail15normal_iteratorINS6_10device_ptrIjEEEESG_NSD_INSE_IS9_EEEESI_jNS0_19identity_decomposerENS1_16block_id_wrapperIjLb0EEEEE10hipError_tT1_PNSt15iterator_traitsISN_E10value_typeET2_T3_PNSO_IST_E10value_typeET4_T5_PSY_SZ_PNS1_23onesweep_lookback_stateEbbT6_jjT7_P12ihipStream_tbENKUlT_T0_SN_SS_E_clISG_SG_SI_SI_EEDaS16_S17_SN_SS_EUlS16_E_NS1_11comp_targetILNS1_3genE6ELNS1_11target_archE950ELNS1_3gpuE13ELNS1_3repE0EEENS1_47radix_sort_onesweep_sort_config_static_selectorELNS0_4arch9wavefront6targetE0EEEvSN_.has_indirect_call, 0
	.section	.AMDGPU.csdata,"",@progbits
; Kernel info:
; codeLenInByte = 0
; TotalNumSgprs: 0
; NumVgprs: 0
; ScratchSize: 0
; MemoryBound: 0
; FloatMode: 240
; IeeeMode: 1
; LDSByteSize: 0 bytes/workgroup (compile time only)
; SGPRBlocks: 0
; VGPRBlocks: 0
; NumSGPRsForWavesPerEU: 1
; NumVGPRsForWavesPerEU: 1
; NamedBarCnt: 0
; Occupancy: 16
; WaveLimiterHint : 0
; COMPUTE_PGM_RSRC2:SCRATCH_EN: 0
; COMPUTE_PGM_RSRC2:USER_SGPR: 2
; COMPUTE_PGM_RSRC2:TRAP_HANDLER: 0
; COMPUTE_PGM_RSRC2:TGID_X_EN: 1
; COMPUTE_PGM_RSRC2:TGID_Y_EN: 0
; COMPUTE_PGM_RSRC2:TGID_Z_EN: 0
; COMPUTE_PGM_RSRC2:TIDIG_COMP_CNT: 0
	.section	.text._ZN7rocprim17ROCPRIM_400000_NS6detail17trampoline_kernelINS0_14default_configENS1_35radix_sort_onesweep_config_selectorIjN6thrust23THRUST_200600_302600_NS5tupleIffNS6_9null_typeES8_S8_S8_S8_S8_S8_S8_EEEEZZNS1_29radix_sort_onesweep_iterationIS3_Lb0ENS6_6detail15normal_iteratorINS6_10device_ptrIjEEEESG_NSD_INSE_IS9_EEEESI_jNS0_19identity_decomposerENS1_16block_id_wrapperIjLb0EEEEE10hipError_tT1_PNSt15iterator_traitsISN_E10value_typeET2_T3_PNSO_IST_E10value_typeET4_T5_PSY_SZ_PNS1_23onesweep_lookback_stateEbbT6_jjT7_P12ihipStream_tbENKUlT_T0_SN_SS_E_clISG_SG_SI_SI_EEDaS16_S17_SN_SS_EUlS16_E_NS1_11comp_targetILNS1_3genE5ELNS1_11target_archE942ELNS1_3gpuE9ELNS1_3repE0EEENS1_47radix_sort_onesweep_sort_config_static_selectorELNS0_4arch9wavefront6targetE0EEEvSN_,"axG",@progbits,_ZN7rocprim17ROCPRIM_400000_NS6detail17trampoline_kernelINS0_14default_configENS1_35radix_sort_onesweep_config_selectorIjN6thrust23THRUST_200600_302600_NS5tupleIffNS6_9null_typeES8_S8_S8_S8_S8_S8_S8_EEEEZZNS1_29radix_sort_onesweep_iterationIS3_Lb0ENS6_6detail15normal_iteratorINS6_10device_ptrIjEEEESG_NSD_INSE_IS9_EEEESI_jNS0_19identity_decomposerENS1_16block_id_wrapperIjLb0EEEEE10hipError_tT1_PNSt15iterator_traitsISN_E10value_typeET2_T3_PNSO_IST_E10value_typeET4_T5_PSY_SZ_PNS1_23onesweep_lookback_stateEbbT6_jjT7_P12ihipStream_tbENKUlT_T0_SN_SS_E_clISG_SG_SI_SI_EEDaS16_S17_SN_SS_EUlS16_E_NS1_11comp_targetILNS1_3genE5ELNS1_11target_archE942ELNS1_3gpuE9ELNS1_3repE0EEENS1_47radix_sort_onesweep_sort_config_static_selectorELNS0_4arch9wavefront6targetE0EEEvSN_,comdat
	.protected	_ZN7rocprim17ROCPRIM_400000_NS6detail17trampoline_kernelINS0_14default_configENS1_35radix_sort_onesweep_config_selectorIjN6thrust23THRUST_200600_302600_NS5tupleIffNS6_9null_typeES8_S8_S8_S8_S8_S8_S8_EEEEZZNS1_29radix_sort_onesweep_iterationIS3_Lb0ENS6_6detail15normal_iteratorINS6_10device_ptrIjEEEESG_NSD_INSE_IS9_EEEESI_jNS0_19identity_decomposerENS1_16block_id_wrapperIjLb0EEEEE10hipError_tT1_PNSt15iterator_traitsISN_E10value_typeET2_T3_PNSO_IST_E10value_typeET4_T5_PSY_SZ_PNS1_23onesweep_lookback_stateEbbT6_jjT7_P12ihipStream_tbENKUlT_T0_SN_SS_E_clISG_SG_SI_SI_EEDaS16_S17_SN_SS_EUlS16_E_NS1_11comp_targetILNS1_3genE5ELNS1_11target_archE942ELNS1_3gpuE9ELNS1_3repE0EEENS1_47radix_sort_onesweep_sort_config_static_selectorELNS0_4arch9wavefront6targetE0EEEvSN_ ; -- Begin function _ZN7rocprim17ROCPRIM_400000_NS6detail17trampoline_kernelINS0_14default_configENS1_35radix_sort_onesweep_config_selectorIjN6thrust23THRUST_200600_302600_NS5tupleIffNS6_9null_typeES8_S8_S8_S8_S8_S8_S8_EEEEZZNS1_29radix_sort_onesweep_iterationIS3_Lb0ENS6_6detail15normal_iteratorINS6_10device_ptrIjEEEESG_NSD_INSE_IS9_EEEESI_jNS0_19identity_decomposerENS1_16block_id_wrapperIjLb0EEEEE10hipError_tT1_PNSt15iterator_traitsISN_E10value_typeET2_T3_PNSO_IST_E10value_typeET4_T5_PSY_SZ_PNS1_23onesweep_lookback_stateEbbT6_jjT7_P12ihipStream_tbENKUlT_T0_SN_SS_E_clISG_SG_SI_SI_EEDaS16_S17_SN_SS_EUlS16_E_NS1_11comp_targetILNS1_3genE5ELNS1_11target_archE942ELNS1_3gpuE9ELNS1_3repE0EEENS1_47radix_sort_onesweep_sort_config_static_selectorELNS0_4arch9wavefront6targetE0EEEvSN_
	.globl	_ZN7rocprim17ROCPRIM_400000_NS6detail17trampoline_kernelINS0_14default_configENS1_35radix_sort_onesweep_config_selectorIjN6thrust23THRUST_200600_302600_NS5tupleIffNS6_9null_typeES8_S8_S8_S8_S8_S8_S8_EEEEZZNS1_29radix_sort_onesweep_iterationIS3_Lb0ENS6_6detail15normal_iteratorINS6_10device_ptrIjEEEESG_NSD_INSE_IS9_EEEESI_jNS0_19identity_decomposerENS1_16block_id_wrapperIjLb0EEEEE10hipError_tT1_PNSt15iterator_traitsISN_E10value_typeET2_T3_PNSO_IST_E10value_typeET4_T5_PSY_SZ_PNS1_23onesweep_lookback_stateEbbT6_jjT7_P12ihipStream_tbENKUlT_T0_SN_SS_E_clISG_SG_SI_SI_EEDaS16_S17_SN_SS_EUlS16_E_NS1_11comp_targetILNS1_3genE5ELNS1_11target_archE942ELNS1_3gpuE9ELNS1_3repE0EEENS1_47radix_sort_onesweep_sort_config_static_selectorELNS0_4arch9wavefront6targetE0EEEvSN_
	.p2align	8
	.type	_ZN7rocprim17ROCPRIM_400000_NS6detail17trampoline_kernelINS0_14default_configENS1_35radix_sort_onesweep_config_selectorIjN6thrust23THRUST_200600_302600_NS5tupleIffNS6_9null_typeES8_S8_S8_S8_S8_S8_S8_EEEEZZNS1_29radix_sort_onesweep_iterationIS3_Lb0ENS6_6detail15normal_iteratorINS6_10device_ptrIjEEEESG_NSD_INSE_IS9_EEEESI_jNS0_19identity_decomposerENS1_16block_id_wrapperIjLb0EEEEE10hipError_tT1_PNSt15iterator_traitsISN_E10value_typeET2_T3_PNSO_IST_E10value_typeET4_T5_PSY_SZ_PNS1_23onesweep_lookback_stateEbbT6_jjT7_P12ihipStream_tbENKUlT_T0_SN_SS_E_clISG_SG_SI_SI_EEDaS16_S17_SN_SS_EUlS16_E_NS1_11comp_targetILNS1_3genE5ELNS1_11target_archE942ELNS1_3gpuE9ELNS1_3repE0EEENS1_47radix_sort_onesweep_sort_config_static_selectorELNS0_4arch9wavefront6targetE0EEEvSN_,@function
_ZN7rocprim17ROCPRIM_400000_NS6detail17trampoline_kernelINS0_14default_configENS1_35radix_sort_onesweep_config_selectorIjN6thrust23THRUST_200600_302600_NS5tupleIffNS6_9null_typeES8_S8_S8_S8_S8_S8_S8_EEEEZZNS1_29radix_sort_onesweep_iterationIS3_Lb0ENS6_6detail15normal_iteratorINS6_10device_ptrIjEEEESG_NSD_INSE_IS9_EEEESI_jNS0_19identity_decomposerENS1_16block_id_wrapperIjLb0EEEEE10hipError_tT1_PNSt15iterator_traitsISN_E10value_typeET2_T3_PNSO_IST_E10value_typeET4_T5_PSY_SZ_PNS1_23onesweep_lookback_stateEbbT6_jjT7_P12ihipStream_tbENKUlT_T0_SN_SS_E_clISG_SG_SI_SI_EEDaS16_S17_SN_SS_EUlS16_E_NS1_11comp_targetILNS1_3genE5ELNS1_11target_archE942ELNS1_3gpuE9ELNS1_3repE0EEENS1_47radix_sort_onesweep_sort_config_static_selectorELNS0_4arch9wavefront6targetE0EEEvSN_: ; @_ZN7rocprim17ROCPRIM_400000_NS6detail17trampoline_kernelINS0_14default_configENS1_35radix_sort_onesweep_config_selectorIjN6thrust23THRUST_200600_302600_NS5tupleIffNS6_9null_typeES8_S8_S8_S8_S8_S8_S8_EEEEZZNS1_29radix_sort_onesweep_iterationIS3_Lb0ENS6_6detail15normal_iteratorINS6_10device_ptrIjEEEESG_NSD_INSE_IS9_EEEESI_jNS0_19identity_decomposerENS1_16block_id_wrapperIjLb0EEEEE10hipError_tT1_PNSt15iterator_traitsISN_E10value_typeET2_T3_PNSO_IST_E10value_typeET4_T5_PSY_SZ_PNS1_23onesweep_lookback_stateEbbT6_jjT7_P12ihipStream_tbENKUlT_T0_SN_SS_E_clISG_SG_SI_SI_EEDaS16_S17_SN_SS_EUlS16_E_NS1_11comp_targetILNS1_3genE5ELNS1_11target_archE942ELNS1_3gpuE9ELNS1_3repE0EEENS1_47radix_sort_onesweep_sort_config_static_selectorELNS0_4arch9wavefront6targetE0EEEvSN_
; %bb.0:
	.section	.rodata,"a",@progbits
	.p2align	6, 0x0
	.amdhsa_kernel _ZN7rocprim17ROCPRIM_400000_NS6detail17trampoline_kernelINS0_14default_configENS1_35radix_sort_onesweep_config_selectorIjN6thrust23THRUST_200600_302600_NS5tupleIffNS6_9null_typeES8_S8_S8_S8_S8_S8_S8_EEEEZZNS1_29radix_sort_onesweep_iterationIS3_Lb0ENS6_6detail15normal_iteratorINS6_10device_ptrIjEEEESG_NSD_INSE_IS9_EEEESI_jNS0_19identity_decomposerENS1_16block_id_wrapperIjLb0EEEEE10hipError_tT1_PNSt15iterator_traitsISN_E10value_typeET2_T3_PNSO_IST_E10value_typeET4_T5_PSY_SZ_PNS1_23onesweep_lookback_stateEbbT6_jjT7_P12ihipStream_tbENKUlT_T0_SN_SS_E_clISG_SG_SI_SI_EEDaS16_S17_SN_SS_EUlS16_E_NS1_11comp_targetILNS1_3genE5ELNS1_11target_archE942ELNS1_3gpuE9ELNS1_3repE0EEENS1_47radix_sort_onesweep_sort_config_static_selectorELNS0_4arch9wavefront6targetE0EEEvSN_
		.amdhsa_group_segment_fixed_size 0
		.amdhsa_private_segment_fixed_size 0
		.amdhsa_kernarg_size 88
		.amdhsa_user_sgpr_count 2
		.amdhsa_user_sgpr_dispatch_ptr 0
		.amdhsa_user_sgpr_queue_ptr 0
		.amdhsa_user_sgpr_kernarg_segment_ptr 1
		.amdhsa_user_sgpr_dispatch_id 0
		.amdhsa_user_sgpr_kernarg_preload_length 0
		.amdhsa_user_sgpr_kernarg_preload_offset 0
		.amdhsa_user_sgpr_private_segment_size 0
		.amdhsa_wavefront_size32 1
		.amdhsa_uses_dynamic_stack 0
		.amdhsa_enable_private_segment 0
		.amdhsa_system_sgpr_workgroup_id_x 1
		.amdhsa_system_sgpr_workgroup_id_y 0
		.amdhsa_system_sgpr_workgroup_id_z 0
		.amdhsa_system_sgpr_workgroup_info 0
		.amdhsa_system_vgpr_workitem_id 0
		.amdhsa_next_free_vgpr 1
		.amdhsa_next_free_sgpr 1
		.amdhsa_named_barrier_count 0
		.amdhsa_reserve_vcc 0
		.amdhsa_float_round_mode_32 0
		.amdhsa_float_round_mode_16_64 0
		.amdhsa_float_denorm_mode_32 3
		.amdhsa_float_denorm_mode_16_64 3
		.amdhsa_fp16_overflow 0
		.amdhsa_memory_ordered 1
		.amdhsa_forward_progress 1
		.amdhsa_inst_pref_size 0
		.amdhsa_round_robin_scheduling 0
		.amdhsa_exception_fp_ieee_invalid_op 0
		.amdhsa_exception_fp_denorm_src 0
		.amdhsa_exception_fp_ieee_div_zero 0
		.amdhsa_exception_fp_ieee_overflow 0
		.amdhsa_exception_fp_ieee_underflow 0
		.amdhsa_exception_fp_ieee_inexact 0
		.amdhsa_exception_int_div_zero 0
	.end_amdhsa_kernel
	.section	.text._ZN7rocprim17ROCPRIM_400000_NS6detail17trampoline_kernelINS0_14default_configENS1_35radix_sort_onesweep_config_selectorIjN6thrust23THRUST_200600_302600_NS5tupleIffNS6_9null_typeES8_S8_S8_S8_S8_S8_S8_EEEEZZNS1_29radix_sort_onesweep_iterationIS3_Lb0ENS6_6detail15normal_iteratorINS6_10device_ptrIjEEEESG_NSD_INSE_IS9_EEEESI_jNS0_19identity_decomposerENS1_16block_id_wrapperIjLb0EEEEE10hipError_tT1_PNSt15iterator_traitsISN_E10value_typeET2_T3_PNSO_IST_E10value_typeET4_T5_PSY_SZ_PNS1_23onesweep_lookback_stateEbbT6_jjT7_P12ihipStream_tbENKUlT_T0_SN_SS_E_clISG_SG_SI_SI_EEDaS16_S17_SN_SS_EUlS16_E_NS1_11comp_targetILNS1_3genE5ELNS1_11target_archE942ELNS1_3gpuE9ELNS1_3repE0EEENS1_47radix_sort_onesweep_sort_config_static_selectorELNS0_4arch9wavefront6targetE0EEEvSN_,"axG",@progbits,_ZN7rocprim17ROCPRIM_400000_NS6detail17trampoline_kernelINS0_14default_configENS1_35radix_sort_onesweep_config_selectorIjN6thrust23THRUST_200600_302600_NS5tupleIffNS6_9null_typeES8_S8_S8_S8_S8_S8_S8_EEEEZZNS1_29radix_sort_onesweep_iterationIS3_Lb0ENS6_6detail15normal_iteratorINS6_10device_ptrIjEEEESG_NSD_INSE_IS9_EEEESI_jNS0_19identity_decomposerENS1_16block_id_wrapperIjLb0EEEEE10hipError_tT1_PNSt15iterator_traitsISN_E10value_typeET2_T3_PNSO_IST_E10value_typeET4_T5_PSY_SZ_PNS1_23onesweep_lookback_stateEbbT6_jjT7_P12ihipStream_tbENKUlT_T0_SN_SS_E_clISG_SG_SI_SI_EEDaS16_S17_SN_SS_EUlS16_E_NS1_11comp_targetILNS1_3genE5ELNS1_11target_archE942ELNS1_3gpuE9ELNS1_3repE0EEENS1_47radix_sort_onesweep_sort_config_static_selectorELNS0_4arch9wavefront6targetE0EEEvSN_,comdat
.Lfunc_end204:
	.size	_ZN7rocprim17ROCPRIM_400000_NS6detail17trampoline_kernelINS0_14default_configENS1_35radix_sort_onesweep_config_selectorIjN6thrust23THRUST_200600_302600_NS5tupleIffNS6_9null_typeES8_S8_S8_S8_S8_S8_S8_EEEEZZNS1_29radix_sort_onesweep_iterationIS3_Lb0ENS6_6detail15normal_iteratorINS6_10device_ptrIjEEEESG_NSD_INSE_IS9_EEEESI_jNS0_19identity_decomposerENS1_16block_id_wrapperIjLb0EEEEE10hipError_tT1_PNSt15iterator_traitsISN_E10value_typeET2_T3_PNSO_IST_E10value_typeET4_T5_PSY_SZ_PNS1_23onesweep_lookback_stateEbbT6_jjT7_P12ihipStream_tbENKUlT_T0_SN_SS_E_clISG_SG_SI_SI_EEDaS16_S17_SN_SS_EUlS16_E_NS1_11comp_targetILNS1_3genE5ELNS1_11target_archE942ELNS1_3gpuE9ELNS1_3repE0EEENS1_47radix_sort_onesweep_sort_config_static_selectorELNS0_4arch9wavefront6targetE0EEEvSN_, .Lfunc_end204-_ZN7rocprim17ROCPRIM_400000_NS6detail17trampoline_kernelINS0_14default_configENS1_35radix_sort_onesweep_config_selectorIjN6thrust23THRUST_200600_302600_NS5tupleIffNS6_9null_typeES8_S8_S8_S8_S8_S8_S8_EEEEZZNS1_29radix_sort_onesweep_iterationIS3_Lb0ENS6_6detail15normal_iteratorINS6_10device_ptrIjEEEESG_NSD_INSE_IS9_EEEESI_jNS0_19identity_decomposerENS1_16block_id_wrapperIjLb0EEEEE10hipError_tT1_PNSt15iterator_traitsISN_E10value_typeET2_T3_PNSO_IST_E10value_typeET4_T5_PSY_SZ_PNS1_23onesweep_lookback_stateEbbT6_jjT7_P12ihipStream_tbENKUlT_T0_SN_SS_E_clISG_SG_SI_SI_EEDaS16_S17_SN_SS_EUlS16_E_NS1_11comp_targetILNS1_3genE5ELNS1_11target_archE942ELNS1_3gpuE9ELNS1_3repE0EEENS1_47radix_sort_onesweep_sort_config_static_selectorELNS0_4arch9wavefront6targetE0EEEvSN_
                                        ; -- End function
	.set _ZN7rocprim17ROCPRIM_400000_NS6detail17trampoline_kernelINS0_14default_configENS1_35radix_sort_onesweep_config_selectorIjN6thrust23THRUST_200600_302600_NS5tupleIffNS6_9null_typeES8_S8_S8_S8_S8_S8_S8_EEEEZZNS1_29radix_sort_onesweep_iterationIS3_Lb0ENS6_6detail15normal_iteratorINS6_10device_ptrIjEEEESG_NSD_INSE_IS9_EEEESI_jNS0_19identity_decomposerENS1_16block_id_wrapperIjLb0EEEEE10hipError_tT1_PNSt15iterator_traitsISN_E10value_typeET2_T3_PNSO_IST_E10value_typeET4_T5_PSY_SZ_PNS1_23onesweep_lookback_stateEbbT6_jjT7_P12ihipStream_tbENKUlT_T0_SN_SS_E_clISG_SG_SI_SI_EEDaS16_S17_SN_SS_EUlS16_E_NS1_11comp_targetILNS1_3genE5ELNS1_11target_archE942ELNS1_3gpuE9ELNS1_3repE0EEENS1_47radix_sort_onesweep_sort_config_static_selectorELNS0_4arch9wavefront6targetE0EEEvSN_.num_vgpr, 0
	.set _ZN7rocprim17ROCPRIM_400000_NS6detail17trampoline_kernelINS0_14default_configENS1_35radix_sort_onesweep_config_selectorIjN6thrust23THRUST_200600_302600_NS5tupleIffNS6_9null_typeES8_S8_S8_S8_S8_S8_S8_EEEEZZNS1_29radix_sort_onesweep_iterationIS3_Lb0ENS6_6detail15normal_iteratorINS6_10device_ptrIjEEEESG_NSD_INSE_IS9_EEEESI_jNS0_19identity_decomposerENS1_16block_id_wrapperIjLb0EEEEE10hipError_tT1_PNSt15iterator_traitsISN_E10value_typeET2_T3_PNSO_IST_E10value_typeET4_T5_PSY_SZ_PNS1_23onesweep_lookback_stateEbbT6_jjT7_P12ihipStream_tbENKUlT_T0_SN_SS_E_clISG_SG_SI_SI_EEDaS16_S17_SN_SS_EUlS16_E_NS1_11comp_targetILNS1_3genE5ELNS1_11target_archE942ELNS1_3gpuE9ELNS1_3repE0EEENS1_47radix_sort_onesweep_sort_config_static_selectorELNS0_4arch9wavefront6targetE0EEEvSN_.num_agpr, 0
	.set _ZN7rocprim17ROCPRIM_400000_NS6detail17trampoline_kernelINS0_14default_configENS1_35radix_sort_onesweep_config_selectorIjN6thrust23THRUST_200600_302600_NS5tupleIffNS6_9null_typeES8_S8_S8_S8_S8_S8_S8_EEEEZZNS1_29radix_sort_onesweep_iterationIS3_Lb0ENS6_6detail15normal_iteratorINS6_10device_ptrIjEEEESG_NSD_INSE_IS9_EEEESI_jNS0_19identity_decomposerENS1_16block_id_wrapperIjLb0EEEEE10hipError_tT1_PNSt15iterator_traitsISN_E10value_typeET2_T3_PNSO_IST_E10value_typeET4_T5_PSY_SZ_PNS1_23onesweep_lookback_stateEbbT6_jjT7_P12ihipStream_tbENKUlT_T0_SN_SS_E_clISG_SG_SI_SI_EEDaS16_S17_SN_SS_EUlS16_E_NS1_11comp_targetILNS1_3genE5ELNS1_11target_archE942ELNS1_3gpuE9ELNS1_3repE0EEENS1_47radix_sort_onesweep_sort_config_static_selectorELNS0_4arch9wavefront6targetE0EEEvSN_.numbered_sgpr, 0
	.set _ZN7rocprim17ROCPRIM_400000_NS6detail17trampoline_kernelINS0_14default_configENS1_35radix_sort_onesweep_config_selectorIjN6thrust23THRUST_200600_302600_NS5tupleIffNS6_9null_typeES8_S8_S8_S8_S8_S8_S8_EEEEZZNS1_29radix_sort_onesweep_iterationIS3_Lb0ENS6_6detail15normal_iteratorINS6_10device_ptrIjEEEESG_NSD_INSE_IS9_EEEESI_jNS0_19identity_decomposerENS1_16block_id_wrapperIjLb0EEEEE10hipError_tT1_PNSt15iterator_traitsISN_E10value_typeET2_T3_PNSO_IST_E10value_typeET4_T5_PSY_SZ_PNS1_23onesweep_lookback_stateEbbT6_jjT7_P12ihipStream_tbENKUlT_T0_SN_SS_E_clISG_SG_SI_SI_EEDaS16_S17_SN_SS_EUlS16_E_NS1_11comp_targetILNS1_3genE5ELNS1_11target_archE942ELNS1_3gpuE9ELNS1_3repE0EEENS1_47radix_sort_onesweep_sort_config_static_selectorELNS0_4arch9wavefront6targetE0EEEvSN_.num_named_barrier, 0
	.set _ZN7rocprim17ROCPRIM_400000_NS6detail17trampoline_kernelINS0_14default_configENS1_35radix_sort_onesweep_config_selectorIjN6thrust23THRUST_200600_302600_NS5tupleIffNS6_9null_typeES8_S8_S8_S8_S8_S8_S8_EEEEZZNS1_29radix_sort_onesweep_iterationIS3_Lb0ENS6_6detail15normal_iteratorINS6_10device_ptrIjEEEESG_NSD_INSE_IS9_EEEESI_jNS0_19identity_decomposerENS1_16block_id_wrapperIjLb0EEEEE10hipError_tT1_PNSt15iterator_traitsISN_E10value_typeET2_T3_PNSO_IST_E10value_typeET4_T5_PSY_SZ_PNS1_23onesweep_lookback_stateEbbT6_jjT7_P12ihipStream_tbENKUlT_T0_SN_SS_E_clISG_SG_SI_SI_EEDaS16_S17_SN_SS_EUlS16_E_NS1_11comp_targetILNS1_3genE5ELNS1_11target_archE942ELNS1_3gpuE9ELNS1_3repE0EEENS1_47radix_sort_onesweep_sort_config_static_selectorELNS0_4arch9wavefront6targetE0EEEvSN_.private_seg_size, 0
	.set _ZN7rocprim17ROCPRIM_400000_NS6detail17trampoline_kernelINS0_14default_configENS1_35radix_sort_onesweep_config_selectorIjN6thrust23THRUST_200600_302600_NS5tupleIffNS6_9null_typeES8_S8_S8_S8_S8_S8_S8_EEEEZZNS1_29radix_sort_onesweep_iterationIS3_Lb0ENS6_6detail15normal_iteratorINS6_10device_ptrIjEEEESG_NSD_INSE_IS9_EEEESI_jNS0_19identity_decomposerENS1_16block_id_wrapperIjLb0EEEEE10hipError_tT1_PNSt15iterator_traitsISN_E10value_typeET2_T3_PNSO_IST_E10value_typeET4_T5_PSY_SZ_PNS1_23onesweep_lookback_stateEbbT6_jjT7_P12ihipStream_tbENKUlT_T0_SN_SS_E_clISG_SG_SI_SI_EEDaS16_S17_SN_SS_EUlS16_E_NS1_11comp_targetILNS1_3genE5ELNS1_11target_archE942ELNS1_3gpuE9ELNS1_3repE0EEENS1_47radix_sort_onesweep_sort_config_static_selectorELNS0_4arch9wavefront6targetE0EEEvSN_.uses_vcc, 0
	.set _ZN7rocprim17ROCPRIM_400000_NS6detail17trampoline_kernelINS0_14default_configENS1_35radix_sort_onesweep_config_selectorIjN6thrust23THRUST_200600_302600_NS5tupleIffNS6_9null_typeES8_S8_S8_S8_S8_S8_S8_EEEEZZNS1_29radix_sort_onesweep_iterationIS3_Lb0ENS6_6detail15normal_iteratorINS6_10device_ptrIjEEEESG_NSD_INSE_IS9_EEEESI_jNS0_19identity_decomposerENS1_16block_id_wrapperIjLb0EEEEE10hipError_tT1_PNSt15iterator_traitsISN_E10value_typeET2_T3_PNSO_IST_E10value_typeET4_T5_PSY_SZ_PNS1_23onesweep_lookback_stateEbbT6_jjT7_P12ihipStream_tbENKUlT_T0_SN_SS_E_clISG_SG_SI_SI_EEDaS16_S17_SN_SS_EUlS16_E_NS1_11comp_targetILNS1_3genE5ELNS1_11target_archE942ELNS1_3gpuE9ELNS1_3repE0EEENS1_47radix_sort_onesweep_sort_config_static_selectorELNS0_4arch9wavefront6targetE0EEEvSN_.uses_flat_scratch, 0
	.set _ZN7rocprim17ROCPRIM_400000_NS6detail17trampoline_kernelINS0_14default_configENS1_35radix_sort_onesweep_config_selectorIjN6thrust23THRUST_200600_302600_NS5tupleIffNS6_9null_typeES8_S8_S8_S8_S8_S8_S8_EEEEZZNS1_29radix_sort_onesweep_iterationIS3_Lb0ENS6_6detail15normal_iteratorINS6_10device_ptrIjEEEESG_NSD_INSE_IS9_EEEESI_jNS0_19identity_decomposerENS1_16block_id_wrapperIjLb0EEEEE10hipError_tT1_PNSt15iterator_traitsISN_E10value_typeET2_T3_PNSO_IST_E10value_typeET4_T5_PSY_SZ_PNS1_23onesweep_lookback_stateEbbT6_jjT7_P12ihipStream_tbENKUlT_T0_SN_SS_E_clISG_SG_SI_SI_EEDaS16_S17_SN_SS_EUlS16_E_NS1_11comp_targetILNS1_3genE5ELNS1_11target_archE942ELNS1_3gpuE9ELNS1_3repE0EEENS1_47radix_sort_onesweep_sort_config_static_selectorELNS0_4arch9wavefront6targetE0EEEvSN_.has_dyn_sized_stack, 0
	.set _ZN7rocprim17ROCPRIM_400000_NS6detail17trampoline_kernelINS0_14default_configENS1_35radix_sort_onesweep_config_selectorIjN6thrust23THRUST_200600_302600_NS5tupleIffNS6_9null_typeES8_S8_S8_S8_S8_S8_S8_EEEEZZNS1_29radix_sort_onesweep_iterationIS3_Lb0ENS6_6detail15normal_iteratorINS6_10device_ptrIjEEEESG_NSD_INSE_IS9_EEEESI_jNS0_19identity_decomposerENS1_16block_id_wrapperIjLb0EEEEE10hipError_tT1_PNSt15iterator_traitsISN_E10value_typeET2_T3_PNSO_IST_E10value_typeET4_T5_PSY_SZ_PNS1_23onesweep_lookback_stateEbbT6_jjT7_P12ihipStream_tbENKUlT_T0_SN_SS_E_clISG_SG_SI_SI_EEDaS16_S17_SN_SS_EUlS16_E_NS1_11comp_targetILNS1_3genE5ELNS1_11target_archE942ELNS1_3gpuE9ELNS1_3repE0EEENS1_47radix_sort_onesweep_sort_config_static_selectorELNS0_4arch9wavefront6targetE0EEEvSN_.has_recursion, 0
	.set _ZN7rocprim17ROCPRIM_400000_NS6detail17trampoline_kernelINS0_14default_configENS1_35radix_sort_onesweep_config_selectorIjN6thrust23THRUST_200600_302600_NS5tupleIffNS6_9null_typeES8_S8_S8_S8_S8_S8_S8_EEEEZZNS1_29radix_sort_onesweep_iterationIS3_Lb0ENS6_6detail15normal_iteratorINS6_10device_ptrIjEEEESG_NSD_INSE_IS9_EEEESI_jNS0_19identity_decomposerENS1_16block_id_wrapperIjLb0EEEEE10hipError_tT1_PNSt15iterator_traitsISN_E10value_typeET2_T3_PNSO_IST_E10value_typeET4_T5_PSY_SZ_PNS1_23onesweep_lookback_stateEbbT6_jjT7_P12ihipStream_tbENKUlT_T0_SN_SS_E_clISG_SG_SI_SI_EEDaS16_S17_SN_SS_EUlS16_E_NS1_11comp_targetILNS1_3genE5ELNS1_11target_archE942ELNS1_3gpuE9ELNS1_3repE0EEENS1_47radix_sort_onesweep_sort_config_static_selectorELNS0_4arch9wavefront6targetE0EEEvSN_.has_indirect_call, 0
	.section	.AMDGPU.csdata,"",@progbits
; Kernel info:
; codeLenInByte = 0
; TotalNumSgprs: 0
; NumVgprs: 0
; ScratchSize: 0
; MemoryBound: 0
; FloatMode: 240
; IeeeMode: 1
; LDSByteSize: 0 bytes/workgroup (compile time only)
; SGPRBlocks: 0
; VGPRBlocks: 0
; NumSGPRsForWavesPerEU: 1
; NumVGPRsForWavesPerEU: 1
; NamedBarCnt: 0
; Occupancy: 16
; WaveLimiterHint : 0
; COMPUTE_PGM_RSRC2:SCRATCH_EN: 0
; COMPUTE_PGM_RSRC2:USER_SGPR: 2
; COMPUTE_PGM_RSRC2:TRAP_HANDLER: 0
; COMPUTE_PGM_RSRC2:TGID_X_EN: 1
; COMPUTE_PGM_RSRC2:TGID_Y_EN: 0
; COMPUTE_PGM_RSRC2:TGID_Z_EN: 0
; COMPUTE_PGM_RSRC2:TIDIG_COMP_CNT: 0
	.section	.text._ZN7rocprim17ROCPRIM_400000_NS6detail17trampoline_kernelINS0_14default_configENS1_35radix_sort_onesweep_config_selectorIjN6thrust23THRUST_200600_302600_NS5tupleIffNS6_9null_typeES8_S8_S8_S8_S8_S8_S8_EEEEZZNS1_29radix_sort_onesweep_iterationIS3_Lb0ENS6_6detail15normal_iteratorINS6_10device_ptrIjEEEESG_NSD_INSE_IS9_EEEESI_jNS0_19identity_decomposerENS1_16block_id_wrapperIjLb0EEEEE10hipError_tT1_PNSt15iterator_traitsISN_E10value_typeET2_T3_PNSO_IST_E10value_typeET4_T5_PSY_SZ_PNS1_23onesweep_lookback_stateEbbT6_jjT7_P12ihipStream_tbENKUlT_T0_SN_SS_E_clISG_SG_SI_SI_EEDaS16_S17_SN_SS_EUlS16_E_NS1_11comp_targetILNS1_3genE2ELNS1_11target_archE906ELNS1_3gpuE6ELNS1_3repE0EEENS1_47radix_sort_onesweep_sort_config_static_selectorELNS0_4arch9wavefront6targetE0EEEvSN_,"axG",@progbits,_ZN7rocprim17ROCPRIM_400000_NS6detail17trampoline_kernelINS0_14default_configENS1_35radix_sort_onesweep_config_selectorIjN6thrust23THRUST_200600_302600_NS5tupleIffNS6_9null_typeES8_S8_S8_S8_S8_S8_S8_EEEEZZNS1_29radix_sort_onesweep_iterationIS3_Lb0ENS6_6detail15normal_iteratorINS6_10device_ptrIjEEEESG_NSD_INSE_IS9_EEEESI_jNS0_19identity_decomposerENS1_16block_id_wrapperIjLb0EEEEE10hipError_tT1_PNSt15iterator_traitsISN_E10value_typeET2_T3_PNSO_IST_E10value_typeET4_T5_PSY_SZ_PNS1_23onesweep_lookback_stateEbbT6_jjT7_P12ihipStream_tbENKUlT_T0_SN_SS_E_clISG_SG_SI_SI_EEDaS16_S17_SN_SS_EUlS16_E_NS1_11comp_targetILNS1_3genE2ELNS1_11target_archE906ELNS1_3gpuE6ELNS1_3repE0EEENS1_47radix_sort_onesweep_sort_config_static_selectorELNS0_4arch9wavefront6targetE0EEEvSN_,comdat
	.protected	_ZN7rocprim17ROCPRIM_400000_NS6detail17trampoline_kernelINS0_14default_configENS1_35radix_sort_onesweep_config_selectorIjN6thrust23THRUST_200600_302600_NS5tupleIffNS6_9null_typeES8_S8_S8_S8_S8_S8_S8_EEEEZZNS1_29radix_sort_onesweep_iterationIS3_Lb0ENS6_6detail15normal_iteratorINS6_10device_ptrIjEEEESG_NSD_INSE_IS9_EEEESI_jNS0_19identity_decomposerENS1_16block_id_wrapperIjLb0EEEEE10hipError_tT1_PNSt15iterator_traitsISN_E10value_typeET2_T3_PNSO_IST_E10value_typeET4_T5_PSY_SZ_PNS1_23onesweep_lookback_stateEbbT6_jjT7_P12ihipStream_tbENKUlT_T0_SN_SS_E_clISG_SG_SI_SI_EEDaS16_S17_SN_SS_EUlS16_E_NS1_11comp_targetILNS1_3genE2ELNS1_11target_archE906ELNS1_3gpuE6ELNS1_3repE0EEENS1_47radix_sort_onesweep_sort_config_static_selectorELNS0_4arch9wavefront6targetE0EEEvSN_ ; -- Begin function _ZN7rocprim17ROCPRIM_400000_NS6detail17trampoline_kernelINS0_14default_configENS1_35radix_sort_onesweep_config_selectorIjN6thrust23THRUST_200600_302600_NS5tupleIffNS6_9null_typeES8_S8_S8_S8_S8_S8_S8_EEEEZZNS1_29radix_sort_onesweep_iterationIS3_Lb0ENS6_6detail15normal_iteratorINS6_10device_ptrIjEEEESG_NSD_INSE_IS9_EEEESI_jNS0_19identity_decomposerENS1_16block_id_wrapperIjLb0EEEEE10hipError_tT1_PNSt15iterator_traitsISN_E10value_typeET2_T3_PNSO_IST_E10value_typeET4_T5_PSY_SZ_PNS1_23onesweep_lookback_stateEbbT6_jjT7_P12ihipStream_tbENKUlT_T0_SN_SS_E_clISG_SG_SI_SI_EEDaS16_S17_SN_SS_EUlS16_E_NS1_11comp_targetILNS1_3genE2ELNS1_11target_archE906ELNS1_3gpuE6ELNS1_3repE0EEENS1_47radix_sort_onesweep_sort_config_static_selectorELNS0_4arch9wavefront6targetE0EEEvSN_
	.globl	_ZN7rocprim17ROCPRIM_400000_NS6detail17trampoline_kernelINS0_14default_configENS1_35radix_sort_onesweep_config_selectorIjN6thrust23THRUST_200600_302600_NS5tupleIffNS6_9null_typeES8_S8_S8_S8_S8_S8_S8_EEEEZZNS1_29radix_sort_onesweep_iterationIS3_Lb0ENS6_6detail15normal_iteratorINS6_10device_ptrIjEEEESG_NSD_INSE_IS9_EEEESI_jNS0_19identity_decomposerENS1_16block_id_wrapperIjLb0EEEEE10hipError_tT1_PNSt15iterator_traitsISN_E10value_typeET2_T3_PNSO_IST_E10value_typeET4_T5_PSY_SZ_PNS1_23onesweep_lookback_stateEbbT6_jjT7_P12ihipStream_tbENKUlT_T0_SN_SS_E_clISG_SG_SI_SI_EEDaS16_S17_SN_SS_EUlS16_E_NS1_11comp_targetILNS1_3genE2ELNS1_11target_archE906ELNS1_3gpuE6ELNS1_3repE0EEENS1_47radix_sort_onesweep_sort_config_static_selectorELNS0_4arch9wavefront6targetE0EEEvSN_
	.p2align	8
	.type	_ZN7rocprim17ROCPRIM_400000_NS6detail17trampoline_kernelINS0_14default_configENS1_35radix_sort_onesweep_config_selectorIjN6thrust23THRUST_200600_302600_NS5tupleIffNS6_9null_typeES8_S8_S8_S8_S8_S8_S8_EEEEZZNS1_29radix_sort_onesweep_iterationIS3_Lb0ENS6_6detail15normal_iteratorINS6_10device_ptrIjEEEESG_NSD_INSE_IS9_EEEESI_jNS0_19identity_decomposerENS1_16block_id_wrapperIjLb0EEEEE10hipError_tT1_PNSt15iterator_traitsISN_E10value_typeET2_T3_PNSO_IST_E10value_typeET4_T5_PSY_SZ_PNS1_23onesweep_lookback_stateEbbT6_jjT7_P12ihipStream_tbENKUlT_T0_SN_SS_E_clISG_SG_SI_SI_EEDaS16_S17_SN_SS_EUlS16_E_NS1_11comp_targetILNS1_3genE2ELNS1_11target_archE906ELNS1_3gpuE6ELNS1_3repE0EEENS1_47radix_sort_onesweep_sort_config_static_selectorELNS0_4arch9wavefront6targetE0EEEvSN_,@function
_ZN7rocprim17ROCPRIM_400000_NS6detail17trampoline_kernelINS0_14default_configENS1_35radix_sort_onesweep_config_selectorIjN6thrust23THRUST_200600_302600_NS5tupleIffNS6_9null_typeES8_S8_S8_S8_S8_S8_S8_EEEEZZNS1_29radix_sort_onesweep_iterationIS3_Lb0ENS6_6detail15normal_iteratorINS6_10device_ptrIjEEEESG_NSD_INSE_IS9_EEEESI_jNS0_19identity_decomposerENS1_16block_id_wrapperIjLb0EEEEE10hipError_tT1_PNSt15iterator_traitsISN_E10value_typeET2_T3_PNSO_IST_E10value_typeET4_T5_PSY_SZ_PNS1_23onesweep_lookback_stateEbbT6_jjT7_P12ihipStream_tbENKUlT_T0_SN_SS_E_clISG_SG_SI_SI_EEDaS16_S17_SN_SS_EUlS16_E_NS1_11comp_targetILNS1_3genE2ELNS1_11target_archE906ELNS1_3gpuE6ELNS1_3repE0EEENS1_47radix_sort_onesweep_sort_config_static_selectorELNS0_4arch9wavefront6targetE0EEEvSN_: ; @_ZN7rocprim17ROCPRIM_400000_NS6detail17trampoline_kernelINS0_14default_configENS1_35radix_sort_onesweep_config_selectorIjN6thrust23THRUST_200600_302600_NS5tupleIffNS6_9null_typeES8_S8_S8_S8_S8_S8_S8_EEEEZZNS1_29radix_sort_onesweep_iterationIS3_Lb0ENS6_6detail15normal_iteratorINS6_10device_ptrIjEEEESG_NSD_INSE_IS9_EEEESI_jNS0_19identity_decomposerENS1_16block_id_wrapperIjLb0EEEEE10hipError_tT1_PNSt15iterator_traitsISN_E10value_typeET2_T3_PNSO_IST_E10value_typeET4_T5_PSY_SZ_PNS1_23onesweep_lookback_stateEbbT6_jjT7_P12ihipStream_tbENKUlT_T0_SN_SS_E_clISG_SG_SI_SI_EEDaS16_S17_SN_SS_EUlS16_E_NS1_11comp_targetILNS1_3genE2ELNS1_11target_archE906ELNS1_3gpuE6ELNS1_3repE0EEENS1_47radix_sort_onesweep_sort_config_static_selectorELNS0_4arch9wavefront6targetE0EEEvSN_
; %bb.0:
	.section	.rodata,"a",@progbits
	.p2align	6, 0x0
	.amdhsa_kernel _ZN7rocprim17ROCPRIM_400000_NS6detail17trampoline_kernelINS0_14default_configENS1_35radix_sort_onesweep_config_selectorIjN6thrust23THRUST_200600_302600_NS5tupleIffNS6_9null_typeES8_S8_S8_S8_S8_S8_S8_EEEEZZNS1_29radix_sort_onesweep_iterationIS3_Lb0ENS6_6detail15normal_iteratorINS6_10device_ptrIjEEEESG_NSD_INSE_IS9_EEEESI_jNS0_19identity_decomposerENS1_16block_id_wrapperIjLb0EEEEE10hipError_tT1_PNSt15iterator_traitsISN_E10value_typeET2_T3_PNSO_IST_E10value_typeET4_T5_PSY_SZ_PNS1_23onesweep_lookback_stateEbbT6_jjT7_P12ihipStream_tbENKUlT_T0_SN_SS_E_clISG_SG_SI_SI_EEDaS16_S17_SN_SS_EUlS16_E_NS1_11comp_targetILNS1_3genE2ELNS1_11target_archE906ELNS1_3gpuE6ELNS1_3repE0EEENS1_47radix_sort_onesweep_sort_config_static_selectorELNS0_4arch9wavefront6targetE0EEEvSN_
		.amdhsa_group_segment_fixed_size 0
		.amdhsa_private_segment_fixed_size 0
		.amdhsa_kernarg_size 88
		.amdhsa_user_sgpr_count 2
		.amdhsa_user_sgpr_dispatch_ptr 0
		.amdhsa_user_sgpr_queue_ptr 0
		.amdhsa_user_sgpr_kernarg_segment_ptr 1
		.amdhsa_user_sgpr_dispatch_id 0
		.amdhsa_user_sgpr_kernarg_preload_length 0
		.amdhsa_user_sgpr_kernarg_preload_offset 0
		.amdhsa_user_sgpr_private_segment_size 0
		.amdhsa_wavefront_size32 1
		.amdhsa_uses_dynamic_stack 0
		.amdhsa_enable_private_segment 0
		.amdhsa_system_sgpr_workgroup_id_x 1
		.amdhsa_system_sgpr_workgroup_id_y 0
		.amdhsa_system_sgpr_workgroup_id_z 0
		.amdhsa_system_sgpr_workgroup_info 0
		.amdhsa_system_vgpr_workitem_id 0
		.amdhsa_next_free_vgpr 1
		.amdhsa_next_free_sgpr 1
		.amdhsa_named_barrier_count 0
		.amdhsa_reserve_vcc 0
		.amdhsa_float_round_mode_32 0
		.amdhsa_float_round_mode_16_64 0
		.amdhsa_float_denorm_mode_32 3
		.amdhsa_float_denorm_mode_16_64 3
		.amdhsa_fp16_overflow 0
		.amdhsa_memory_ordered 1
		.amdhsa_forward_progress 1
		.amdhsa_inst_pref_size 0
		.amdhsa_round_robin_scheduling 0
		.amdhsa_exception_fp_ieee_invalid_op 0
		.amdhsa_exception_fp_denorm_src 0
		.amdhsa_exception_fp_ieee_div_zero 0
		.amdhsa_exception_fp_ieee_overflow 0
		.amdhsa_exception_fp_ieee_underflow 0
		.amdhsa_exception_fp_ieee_inexact 0
		.amdhsa_exception_int_div_zero 0
	.end_amdhsa_kernel
	.section	.text._ZN7rocprim17ROCPRIM_400000_NS6detail17trampoline_kernelINS0_14default_configENS1_35radix_sort_onesweep_config_selectorIjN6thrust23THRUST_200600_302600_NS5tupleIffNS6_9null_typeES8_S8_S8_S8_S8_S8_S8_EEEEZZNS1_29radix_sort_onesweep_iterationIS3_Lb0ENS6_6detail15normal_iteratorINS6_10device_ptrIjEEEESG_NSD_INSE_IS9_EEEESI_jNS0_19identity_decomposerENS1_16block_id_wrapperIjLb0EEEEE10hipError_tT1_PNSt15iterator_traitsISN_E10value_typeET2_T3_PNSO_IST_E10value_typeET4_T5_PSY_SZ_PNS1_23onesweep_lookback_stateEbbT6_jjT7_P12ihipStream_tbENKUlT_T0_SN_SS_E_clISG_SG_SI_SI_EEDaS16_S17_SN_SS_EUlS16_E_NS1_11comp_targetILNS1_3genE2ELNS1_11target_archE906ELNS1_3gpuE6ELNS1_3repE0EEENS1_47radix_sort_onesweep_sort_config_static_selectorELNS0_4arch9wavefront6targetE0EEEvSN_,"axG",@progbits,_ZN7rocprim17ROCPRIM_400000_NS6detail17trampoline_kernelINS0_14default_configENS1_35radix_sort_onesweep_config_selectorIjN6thrust23THRUST_200600_302600_NS5tupleIffNS6_9null_typeES8_S8_S8_S8_S8_S8_S8_EEEEZZNS1_29radix_sort_onesweep_iterationIS3_Lb0ENS6_6detail15normal_iteratorINS6_10device_ptrIjEEEESG_NSD_INSE_IS9_EEEESI_jNS0_19identity_decomposerENS1_16block_id_wrapperIjLb0EEEEE10hipError_tT1_PNSt15iterator_traitsISN_E10value_typeET2_T3_PNSO_IST_E10value_typeET4_T5_PSY_SZ_PNS1_23onesweep_lookback_stateEbbT6_jjT7_P12ihipStream_tbENKUlT_T0_SN_SS_E_clISG_SG_SI_SI_EEDaS16_S17_SN_SS_EUlS16_E_NS1_11comp_targetILNS1_3genE2ELNS1_11target_archE906ELNS1_3gpuE6ELNS1_3repE0EEENS1_47radix_sort_onesweep_sort_config_static_selectorELNS0_4arch9wavefront6targetE0EEEvSN_,comdat
.Lfunc_end205:
	.size	_ZN7rocprim17ROCPRIM_400000_NS6detail17trampoline_kernelINS0_14default_configENS1_35radix_sort_onesweep_config_selectorIjN6thrust23THRUST_200600_302600_NS5tupleIffNS6_9null_typeES8_S8_S8_S8_S8_S8_S8_EEEEZZNS1_29radix_sort_onesweep_iterationIS3_Lb0ENS6_6detail15normal_iteratorINS6_10device_ptrIjEEEESG_NSD_INSE_IS9_EEEESI_jNS0_19identity_decomposerENS1_16block_id_wrapperIjLb0EEEEE10hipError_tT1_PNSt15iterator_traitsISN_E10value_typeET2_T3_PNSO_IST_E10value_typeET4_T5_PSY_SZ_PNS1_23onesweep_lookback_stateEbbT6_jjT7_P12ihipStream_tbENKUlT_T0_SN_SS_E_clISG_SG_SI_SI_EEDaS16_S17_SN_SS_EUlS16_E_NS1_11comp_targetILNS1_3genE2ELNS1_11target_archE906ELNS1_3gpuE6ELNS1_3repE0EEENS1_47radix_sort_onesweep_sort_config_static_selectorELNS0_4arch9wavefront6targetE0EEEvSN_, .Lfunc_end205-_ZN7rocprim17ROCPRIM_400000_NS6detail17trampoline_kernelINS0_14default_configENS1_35radix_sort_onesweep_config_selectorIjN6thrust23THRUST_200600_302600_NS5tupleIffNS6_9null_typeES8_S8_S8_S8_S8_S8_S8_EEEEZZNS1_29radix_sort_onesweep_iterationIS3_Lb0ENS6_6detail15normal_iteratorINS6_10device_ptrIjEEEESG_NSD_INSE_IS9_EEEESI_jNS0_19identity_decomposerENS1_16block_id_wrapperIjLb0EEEEE10hipError_tT1_PNSt15iterator_traitsISN_E10value_typeET2_T3_PNSO_IST_E10value_typeET4_T5_PSY_SZ_PNS1_23onesweep_lookback_stateEbbT6_jjT7_P12ihipStream_tbENKUlT_T0_SN_SS_E_clISG_SG_SI_SI_EEDaS16_S17_SN_SS_EUlS16_E_NS1_11comp_targetILNS1_3genE2ELNS1_11target_archE906ELNS1_3gpuE6ELNS1_3repE0EEENS1_47radix_sort_onesweep_sort_config_static_selectorELNS0_4arch9wavefront6targetE0EEEvSN_
                                        ; -- End function
	.set _ZN7rocprim17ROCPRIM_400000_NS6detail17trampoline_kernelINS0_14default_configENS1_35radix_sort_onesweep_config_selectorIjN6thrust23THRUST_200600_302600_NS5tupleIffNS6_9null_typeES8_S8_S8_S8_S8_S8_S8_EEEEZZNS1_29radix_sort_onesweep_iterationIS3_Lb0ENS6_6detail15normal_iteratorINS6_10device_ptrIjEEEESG_NSD_INSE_IS9_EEEESI_jNS0_19identity_decomposerENS1_16block_id_wrapperIjLb0EEEEE10hipError_tT1_PNSt15iterator_traitsISN_E10value_typeET2_T3_PNSO_IST_E10value_typeET4_T5_PSY_SZ_PNS1_23onesweep_lookback_stateEbbT6_jjT7_P12ihipStream_tbENKUlT_T0_SN_SS_E_clISG_SG_SI_SI_EEDaS16_S17_SN_SS_EUlS16_E_NS1_11comp_targetILNS1_3genE2ELNS1_11target_archE906ELNS1_3gpuE6ELNS1_3repE0EEENS1_47radix_sort_onesweep_sort_config_static_selectorELNS0_4arch9wavefront6targetE0EEEvSN_.num_vgpr, 0
	.set _ZN7rocprim17ROCPRIM_400000_NS6detail17trampoline_kernelINS0_14default_configENS1_35radix_sort_onesweep_config_selectorIjN6thrust23THRUST_200600_302600_NS5tupleIffNS6_9null_typeES8_S8_S8_S8_S8_S8_S8_EEEEZZNS1_29radix_sort_onesweep_iterationIS3_Lb0ENS6_6detail15normal_iteratorINS6_10device_ptrIjEEEESG_NSD_INSE_IS9_EEEESI_jNS0_19identity_decomposerENS1_16block_id_wrapperIjLb0EEEEE10hipError_tT1_PNSt15iterator_traitsISN_E10value_typeET2_T3_PNSO_IST_E10value_typeET4_T5_PSY_SZ_PNS1_23onesweep_lookback_stateEbbT6_jjT7_P12ihipStream_tbENKUlT_T0_SN_SS_E_clISG_SG_SI_SI_EEDaS16_S17_SN_SS_EUlS16_E_NS1_11comp_targetILNS1_3genE2ELNS1_11target_archE906ELNS1_3gpuE6ELNS1_3repE0EEENS1_47radix_sort_onesweep_sort_config_static_selectorELNS0_4arch9wavefront6targetE0EEEvSN_.num_agpr, 0
	.set _ZN7rocprim17ROCPRIM_400000_NS6detail17trampoline_kernelINS0_14default_configENS1_35radix_sort_onesweep_config_selectorIjN6thrust23THRUST_200600_302600_NS5tupleIffNS6_9null_typeES8_S8_S8_S8_S8_S8_S8_EEEEZZNS1_29radix_sort_onesweep_iterationIS3_Lb0ENS6_6detail15normal_iteratorINS6_10device_ptrIjEEEESG_NSD_INSE_IS9_EEEESI_jNS0_19identity_decomposerENS1_16block_id_wrapperIjLb0EEEEE10hipError_tT1_PNSt15iterator_traitsISN_E10value_typeET2_T3_PNSO_IST_E10value_typeET4_T5_PSY_SZ_PNS1_23onesweep_lookback_stateEbbT6_jjT7_P12ihipStream_tbENKUlT_T0_SN_SS_E_clISG_SG_SI_SI_EEDaS16_S17_SN_SS_EUlS16_E_NS1_11comp_targetILNS1_3genE2ELNS1_11target_archE906ELNS1_3gpuE6ELNS1_3repE0EEENS1_47radix_sort_onesweep_sort_config_static_selectorELNS0_4arch9wavefront6targetE0EEEvSN_.numbered_sgpr, 0
	.set _ZN7rocprim17ROCPRIM_400000_NS6detail17trampoline_kernelINS0_14default_configENS1_35radix_sort_onesweep_config_selectorIjN6thrust23THRUST_200600_302600_NS5tupleIffNS6_9null_typeES8_S8_S8_S8_S8_S8_S8_EEEEZZNS1_29radix_sort_onesweep_iterationIS3_Lb0ENS6_6detail15normal_iteratorINS6_10device_ptrIjEEEESG_NSD_INSE_IS9_EEEESI_jNS0_19identity_decomposerENS1_16block_id_wrapperIjLb0EEEEE10hipError_tT1_PNSt15iterator_traitsISN_E10value_typeET2_T3_PNSO_IST_E10value_typeET4_T5_PSY_SZ_PNS1_23onesweep_lookback_stateEbbT6_jjT7_P12ihipStream_tbENKUlT_T0_SN_SS_E_clISG_SG_SI_SI_EEDaS16_S17_SN_SS_EUlS16_E_NS1_11comp_targetILNS1_3genE2ELNS1_11target_archE906ELNS1_3gpuE6ELNS1_3repE0EEENS1_47radix_sort_onesweep_sort_config_static_selectorELNS0_4arch9wavefront6targetE0EEEvSN_.num_named_barrier, 0
	.set _ZN7rocprim17ROCPRIM_400000_NS6detail17trampoline_kernelINS0_14default_configENS1_35radix_sort_onesweep_config_selectorIjN6thrust23THRUST_200600_302600_NS5tupleIffNS6_9null_typeES8_S8_S8_S8_S8_S8_S8_EEEEZZNS1_29radix_sort_onesweep_iterationIS3_Lb0ENS6_6detail15normal_iteratorINS6_10device_ptrIjEEEESG_NSD_INSE_IS9_EEEESI_jNS0_19identity_decomposerENS1_16block_id_wrapperIjLb0EEEEE10hipError_tT1_PNSt15iterator_traitsISN_E10value_typeET2_T3_PNSO_IST_E10value_typeET4_T5_PSY_SZ_PNS1_23onesweep_lookback_stateEbbT6_jjT7_P12ihipStream_tbENKUlT_T0_SN_SS_E_clISG_SG_SI_SI_EEDaS16_S17_SN_SS_EUlS16_E_NS1_11comp_targetILNS1_3genE2ELNS1_11target_archE906ELNS1_3gpuE6ELNS1_3repE0EEENS1_47radix_sort_onesweep_sort_config_static_selectorELNS0_4arch9wavefront6targetE0EEEvSN_.private_seg_size, 0
	.set _ZN7rocprim17ROCPRIM_400000_NS6detail17trampoline_kernelINS0_14default_configENS1_35radix_sort_onesweep_config_selectorIjN6thrust23THRUST_200600_302600_NS5tupleIffNS6_9null_typeES8_S8_S8_S8_S8_S8_S8_EEEEZZNS1_29radix_sort_onesweep_iterationIS3_Lb0ENS6_6detail15normal_iteratorINS6_10device_ptrIjEEEESG_NSD_INSE_IS9_EEEESI_jNS0_19identity_decomposerENS1_16block_id_wrapperIjLb0EEEEE10hipError_tT1_PNSt15iterator_traitsISN_E10value_typeET2_T3_PNSO_IST_E10value_typeET4_T5_PSY_SZ_PNS1_23onesweep_lookback_stateEbbT6_jjT7_P12ihipStream_tbENKUlT_T0_SN_SS_E_clISG_SG_SI_SI_EEDaS16_S17_SN_SS_EUlS16_E_NS1_11comp_targetILNS1_3genE2ELNS1_11target_archE906ELNS1_3gpuE6ELNS1_3repE0EEENS1_47radix_sort_onesweep_sort_config_static_selectorELNS0_4arch9wavefront6targetE0EEEvSN_.uses_vcc, 0
	.set _ZN7rocprim17ROCPRIM_400000_NS6detail17trampoline_kernelINS0_14default_configENS1_35radix_sort_onesweep_config_selectorIjN6thrust23THRUST_200600_302600_NS5tupleIffNS6_9null_typeES8_S8_S8_S8_S8_S8_S8_EEEEZZNS1_29radix_sort_onesweep_iterationIS3_Lb0ENS6_6detail15normal_iteratorINS6_10device_ptrIjEEEESG_NSD_INSE_IS9_EEEESI_jNS0_19identity_decomposerENS1_16block_id_wrapperIjLb0EEEEE10hipError_tT1_PNSt15iterator_traitsISN_E10value_typeET2_T3_PNSO_IST_E10value_typeET4_T5_PSY_SZ_PNS1_23onesweep_lookback_stateEbbT6_jjT7_P12ihipStream_tbENKUlT_T0_SN_SS_E_clISG_SG_SI_SI_EEDaS16_S17_SN_SS_EUlS16_E_NS1_11comp_targetILNS1_3genE2ELNS1_11target_archE906ELNS1_3gpuE6ELNS1_3repE0EEENS1_47radix_sort_onesweep_sort_config_static_selectorELNS0_4arch9wavefront6targetE0EEEvSN_.uses_flat_scratch, 0
	.set _ZN7rocprim17ROCPRIM_400000_NS6detail17trampoline_kernelINS0_14default_configENS1_35radix_sort_onesweep_config_selectorIjN6thrust23THRUST_200600_302600_NS5tupleIffNS6_9null_typeES8_S8_S8_S8_S8_S8_S8_EEEEZZNS1_29radix_sort_onesweep_iterationIS3_Lb0ENS6_6detail15normal_iteratorINS6_10device_ptrIjEEEESG_NSD_INSE_IS9_EEEESI_jNS0_19identity_decomposerENS1_16block_id_wrapperIjLb0EEEEE10hipError_tT1_PNSt15iterator_traitsISN_E10value_typeET2_T3_PNSO_IST_E10value_typeET4_T5_PSY_SZ_PNS1_23onesweep_lookback_stateEbbT6_jjT7_P12ihipStream_tbENKUlT_T0_SN_SS_E_clISG_SG_SI_SI_EEDaS16_S17_SN_SS_EUlS16_E_NS1_11comp_targetILNS1_3genE2ELNS1_11target_archE906ELNS1_3gpuE6ELNS1_3repE0EEENS1_47radix_sort_onesweep_sort_config_static_selectorELNS0_4arch9wavefront6targetE0EEEvSN_.has_dyn_sized_stack, 0
	.set _ZN7rocprim17ROCPRIM_400000_NS6detail17trampoline_kernelINS0_14default_configENS1_35radix_sort_onesweep_config_selectorIjN6thrust23THRUST_200600_302600_NS5tupleIffNS6_9null_typeES8_S8_S8_S8_S8_S8_S8_EEEEZZNS1_29radix_sort_onesweep_iterationIS3_Lb0ENS6_6detail15normal_iteratorINS6_10device_ptrIjEEEESG_NSD_INSE_IS9_EEEESI_jNS0_19identity_decomposerENS1_16block_id_wrapperIjLb0EEEEE10hipError_tT1_PNSt15iterator_traitsISN_E10value_typeET2_T3_PNSO_IST_E10value_typeET4_T5_PSY_SZ_PNS1_23onesweep_lookback_stateEbbT6_jjT7_P12ihipStream_tbENKUlT_T0_SN_SS_E_clISG_SG_SI_SI_EEDaS16_S17_SN_SS_EUlS16_E_NS1_11comp_targetILNS1_3genE2ELNS1_11target_archE906ELNS1_3gpuE6ELNS1_3repE0EEENS1_47radix_sort_onesweep_sort_config_static_selectorELNS0_4arch9wavefront6targetE0EEEvSN_.has_recursion, 0
	.set _ZN7rocprim17ROCPRIM_400000_NS6detail17trampoline_kernelINS0_14default_configENS1_35radix_sort_onesweep_config_selectorIjN6thrust23THRUST_200600_302600_NS5tupleIffNS6_9null_typeES8_S8_S8_S8_S8_S8_S8_EEEEZZNS1_29radix_sort_onesweep_iterationIS3_Lb0ENS6_6detail15normal_iteratorINS6_10device_ptrIjEEEESG_NSD_INSE_IS9_EEEESI_jNS0_19identity_decomposerENS1_16block_id_wrapperIjLb0EEEEE10hipError_tT1_PNSt15iterator_traitsISN_E10value_typeET2_T3_PNSO_IST_E10value_typeET4_T5_PSY_SZ_PNS1_23onesweep_lookback_stateEbbT6_jjT7_P12ihipStream_tbENKUlT_T0_SN_SS_E_clISG_SG_SI_SI_EEDaS16_S17_SN_SS_EUlS16_E_NS1_11comp_targetILNS1_3genE2ELNS1_11target_archE906ELNS1_3gpuE6ELNS1_3repE0EEENS1_47radix_sort_onesweep_sort_config_static_selectorELNS0_4arch9wavefront6targetE0EEEvSN_.has_indirect_call, 0
	.section	.AMDGPU.csdata,"",@progbits
; Kernel info:
; codeLenInByte = 0
; TotalNumSgprs: 0
; NumVgprs: 0
; ScratchSize: 0
; MemoryBound: 0
; FloatMode: 240
; IeeeMode: 1
; LDSByteSize: 0 bytes/workgroup (compile time only)
; SGPRBlocks: 0
; VGPRBlocks: 0
; NumSGPRsForWavesPerEU: 1
; NumVGPRsForWavesPerEU: 1
; NamedBarCnt: 0
; Occupancy: 16
; WaveLimiterHint : 0
; COMPUTE_PGM_RSRC2:SCRATCH_EN: 0
; COMPUTE_PGM_RSRC2:USER_SGPR: 2
; COMPUTE_PGM_RSRC2:TRAP_HANDLER: 0
; COMPUTE_PGM_RSRC2:TGID_X_EN: 1
; COMPUTE_PGM_RSRC2:TGID_Y_EN: 0
; COMPUTE_PGM_RSRC2:TGID_Z_EN: 0
; COMPUTE_PGM_RSRC2:TIDIG_COMP_CNT: 0
	.section	.text._ZN7rocprim17ROCPRIM_400000_NS6detail17trampoline_kernelINS0_14default_configENS1_35radix_sort_onesweep_config_selectorIjN6thrust23THRUST_200600_302600_NS5tupleIffNS6_9null_typeES8_S8_S8_S8_S8_S8_S8_EEEEZZNS1_29radix_sort_onesweep_iterationIS3_Lb0ENS6_6detail15normal_iteratorINS6_10device_ptrIjEEEESG_NSD_INSE_IS9_EEEESI_jNS0_19identity_decomposerENS1_16block_id_wrapperIjLb0EEEEE10hipError_tT1_PNSt15iterator_traitsISN_E10value_typeET2_T3_PNSO_IST_E10value_typeET4_T5_PSY_SZ_PNS1_23onesweep_lookback_stateEbbT6_jjT7_P12ihipStream_tbENKUlT_T0_SN_SS_E_clISG_SG_SI_SI_EEDaS16_S17_SN_SS_EUlS16_E_NS1_11comp_targetILNS1_3genE4ELNS1_11target_archE910ELNS1_3gpuE8ELNS1_3repE0EEENS1_47radix_sort_onesweep_sort_config_static_selectorELNS0_4arch9wavefront6targetE0EEEvSN_,"axG",@progbits,_ZN7rocprim17ROCPRIM_400000_NS6detail17trampoline_kernelINS0_14default_configENS1_35radix_sort_onesweep_config_selectorIjN6thrust23THRUST_200600_302600_NS5tupleIffNS6_9null_typeES8_S8_S8_S8_S8_S8_S8_EEEEZZNS1_29radix_sort_onesweep_iterationIS3_Lb0ENS6_6detail15normal_iteratorINS6_10device_ptrIjEEEESG_NSD_INSE_IS9_EEEESI_jNS0_19identity_decomposerENS1_16block_id_wrapperIjLb0EEEEE10hipError_tT1_PNSt15iterator_traitsISN_E10value_typeET2_T3_PNSO_IST_E10value_typeET4_T5_PSY_SZ_PNS1_23onesweep_lookback_stateEbbT6_jjT7_P12ihipStream_tbENKUlT_T0_SN_SS_E_clISG_SG_SI_SI_EEDaS16_S17_SN_SS_EUlS16_E_NS1_11comp_targetILNS1_3genE4ELNS1_11target_archE910ELNS1_3gpuE8ELNS1_3repE0EEENS1_47radix_sort_onesweep_sort_config_static_selectorELNS0_4arch9wavefront6targetE0EEEvSN_,comdat
	.protected	_ZN7rocprim17ROCPRIM_400000_NS6detail17trampoline_kernelINS0_14default_configENS1_35radix_sort_onesweep_config_selectorIjN6thrust23THRUST_200600_302600_NS5tupleIffNS6_9null_typeES8_S8_S8_S8_S8_S8_S8_EEEEZZNS1_29radix_sort_onesweep_iterationIS3_Lb0ENS6_6detail15normal_iteratorINS6_10device_ptrIjEEEESG_NSD_INSE_IS9_EEEESI_jNS0_19identity_decomposerENS1_16block_id_wrapperIjLb0EEEEE10hipError_tT1_PNSt15iterator_traitsISN_E10value_typeET2_T3_PNSO_IST_E10value_typeET4_T5_PSY_SZ_PNS1_23onesweep_lookback_stateEbbT6_jjT7_P12ihipStream_tbENKUlT_T0_SN_SS_E_clISG_SG_SI_SI_EEDaS16_S17_SN_SS_EUlS16_E_NS1_11comp_targetILNS1_3genE4ELNS1_11target_archE910ELNS1_3gpuE8ELNS1_3repE0EEENS1_47radix_sort_onesweep_sort_config_static_selectorELNS0_4arch9wavefront6targetE0EEEvSN_ ; -- Begin function _ZN7rocprim17ROCPRIM_400000_NS6detail17trampoline_kernelINS0_14default_configENS1_35radix_sort_onesweep_config_selectorIjN6thrust23THRUST_200600_302600_NS5tupleIffNS6_9null_typeES8_S8_S8_S8_S8_S8_S8_EEEEZZNS1_29radix_sort_onesweep_iterationIS3_Lb0ENS6_6detail15normal_iteratorINS6_10device_ptrIjEEEESG_NSD_INSE_IS9_EEEESI_jNS0_19identity_decomposerENS1_16block_id_wrapperIjLb0EEEEE10hipError_tT1_PNSt15iterator_traitsISN_E10value_typeET2_T3_PNSO_IST_E10value_typeET4_T5_PSY_SZ_PNS1_23onesweep_lookback_stateEbbT6_jjT7_P12ihipStream_tbENKUlT_T0_SN_SS_E_clISG_SG_SI_SI_EEDaS16_S17_SN_SS_EUlS16_E_NS1_11comp_targetILNS1_3genE4ELNS1_11target_archE910ELNS1_3gpuE8ELNS1_3repE0EEENS1_47radix_sort_onesweep_sort_config_static_selectorELNS0_4arch9wavefront6targetE0EEEvSN_
	.globl	_ZN7rocprim17ROCPRIM_400000_NS6detail17trampoline_kernelINS0_14default_configENS1_35radix_sort_onesweep_config_selectorIjN6thrust23THRUST_200600_302600_NS5tupleIffNS6_9null_typeES8_S8_S8_S8_S8_S8_S8_EEEEZZNS1_29radix_sort_onesweep_iterationIS3_Lb0ENS6_6detail15normal_iteratorINS6_10device_ptrIjEEEESG_NSD_INSE_IS9_EEEESI_jNS0_19identity_decomposerENS1_16block_id_wrapperIjLb0EEEEE10hipError_tT1_PNSt15iterator_traitsISN_E10value_typeET2_T3_PNSO_IST_E10value_typeET4_T5_PSY_SZ_PNS1_23onesweep_lookback_stateEbbT6_jjT7_P12ihipStream_tbENKUlT_T0_SN_SS_E_clISG_SG_SI_SI_EEDaS16_S17_SN_SS_EUlS16_E_NS1_11comp_targetILNS1_3genE4ELNS1_11target_archE910ELNS1_3gpuE8ELNS1_3repE0EEENS1_47radix_sort_onesweep_sort_config_static_selectorELNS0_4arch9wavefront6targetE0EEEvSN_
	.p2align	8
	.type	_ZN7rocprim17ROCPRIM_400000_NS6detail17trampoline_kernelINS0_14default_configENS1_35radix_sort_onesweep_config_selectorIjN6thrust23THRUST_200600_302600_NS5tupleIffNS6_9null_typeES8_S8_S8_S8_S8_S8_S8_EEEEZZNS1_29radix_sort_onesweep_iterationIS3_Lb0ENS6_6detail15normal_iteratorINS6_10device_ptrIjEEEESG_NSD_INSE_IS9_EEEESI_jNS0_19identity_decomposerENS1_16block_id_wrapperIjLb0EEEEE10hipError_tT1_PNSt15iterator_traitsISN_E10value_typeET2_T3_PNSO_IST_E10value_typeET4_T5_PSY_SZ_PNS1_23onesweep_lookback_stateEbbT6_jjT7_P12ihipStream_tbENKUlT_T0_SN_SS_E_clISG_SG_SI_SI_EEDaS16_S17_SN_SS_EUlS16_E_NS1_11comp_targetILNS1_3genE4ELNS1_11target_archE910ELNS1_3gpuE8ELNS1_3repE0EEENS1_47radix_sort_onesweep_sort_config_static_selectorELNS0_4arch9wavefront6targetE0EEEvSN_,@function
_ZN7rocprim17ROCPRIM_400000_NS6detail17trampoline_kernelINS0_14default_configENS1_35radix_sort_onesweep_config_selectorIjN6thrust23THRUST_200600_302600_NS5tupleIffNS6_9null_typeES8_S8_S8_S8_S8_S8_S8_EEEEZZNS1_29radix_sort_onesweep_iterationIS3_Lb0ENS6_6detail15normal_iteratorINS6_10device_ptrIjEEEESG_NSD_INSE_IS9_EEEESI_jNS0_19identity_decomposerENS1_16block_id_wrapperIjLb0EEEEE10hipError_tT1_PNSt15iterator_traitsISN_E10value_typeET2_T3_PNSO_IST_E10value_typeET4_T5_PSY_SZ_PNS1_23onesweep_lookback_stateEbbT6_jjT7_P12ihipStream_tbENKUlT_T0_SN_SS_E_clISG_SG_SI_SI_EEDaS16_S17_SN_SS_EUlS16_E_NS1_11comp_targetILNS1_3genE4ELNS1_11target_archE910ELNS1_3gpuE8ELNS1_3repE0EEENS1_47radix_sort_onesweep_sort_config_static_selectorELNS0_4arch9wavefront6targetE0EEEvSN_: ; @_ZN7rocprim17ROCPRIM_400000_NS6detail17trampoline_kernelINS0_14default_configENS1_35radix_sort_onesweep_config_selectorIjN6thrust23THRUST_200600_302600_NS5tupleIffNS6_9null_typeES8_S8_S8_S8_S8_S8_S8_EEEEZZNS1_29radix_sort_onesweep_iterationIS3_Lb0ENS6_6detail15normal_iteratorINS6_10device_ptrIjEEEESG_NSD_INSE_IS9_EEEESI_jNS0_19identity_decomposerENS1_16block_id_wrapperIjLb0EEEEE10hipError_tT1_PNSt15iterator_traitsISN_E10value_typeET2_T3_PNSO_IST_E10value_typeET4_T5_PSY_SZ_PNS1_23onesweep_lookback_stateEbbT6_jjT7_P12ihipStream_tbENKUlT_T0_SN_SS_E_clISG_SG_SI_SI_EEDaS16_S17_SN_SS_EUlS16_E_NS1_11comp_targetILNS1_3genE4ELNS1_11target_archE910ELNS1_3gpuE8ELNS1_3repE0EEENS1_47radix_sort_onesweep_sort_config_static_selectorELNS0_4arch9wavefront6targetE0EEEvSN_
; %bb.0:
	.section	.rodata,"a",@progbits
	.p2align	6, 0x0
	.amdhsa_kernel _ZN7rocprim17ROCPRIM_400000_NS6detail17trampoline_kernelINS0_14default_configENS1_35radix_sort_onesweep_config_selectorIjN6thrust23THRUST_200600_302600_NS5tupleIffNS6_9null_typeES8_S8_S8_S8_S8_S8_S8_EEEEZZNS1_29radix_sort_onesweep_iterationIS3_Lb0ENS6_6detail15normal_iteratorINS6_10device_ptrIjEEEESG_NSD_INSE_IS9_EEEESI_jNS0_19identity_decomposerENS1_16block_id_wrapperIjLb0EEEEE10hipError_tT1_PNSt15iterator_traitsISN_E10value_typeET2_T3_PNSO_IST_E10value_typeET4_T5_PSY_SZ_PNS1_23onesweep_lookback_stateEbbT6_jjT7_P12ihipStream_tbENKUlT_T0_SN_SS_E_clISG_SG_SI_SI_EEDaS16_S17_SN_SS_EUlS16_E_NS1_11comp_targetILNS1_3genE4ELNS1_11target_archE910ELNS1_3gpuE8ELNS1_3repE0EEENS1_47radix_sort_onesweep_sort_config_static_selectorELNS0_4arch9wavefront6targetE0EEEvSN_
		.amdhsa_group_segment_fixed_size 0
		.amdhsa_private_segment_fixed_size 0
		.amdhsa_kernarg_size 88
		.amdhsa_user_sgpr_count 2
		.amdhsa_user_sgpr_dispatch_ptr 0
		.amdhsa_user_sgpr_queue_ptr 0
		.amdhsa_user_sgpr_kernarg_segment_ptr 1
		.amdhsa_user_sgpr_dispatch_id 0
		.amdhsa_user_sgpr_kernarg_preload_length 0
		.amdhsa_user_sgpr_kernarg_preload_offset 0
		.amdhsa_user_sgpr_private_segment_size 0
		.amdhsa_wavefront_size32 1
		.amdhsa_uses_dynamic_stack 0
		.amdhsa_enable_private_segment 0
		.amdhsa_system_sgpr_workgroup_id_x 1
		.amdhsa_system_sgpr_workgroup_id_y 0
		.amdhsa_system_sgpr_workgroup_id_z 0
		.amdhsa_system_sgpr_workgroup_info 0
		.amdhsa_system_vgpr_workitem_id 0
		.amdhsa_next_free_vgpr 1
		.amdhsa_next_free_sgpr 1
		.amdhsa_named_barrier_count 0
		.amdhsa_reserve_vcc 0
		.amdhsa_float_round_mode_32 0
		.amdhsa_float_round_mode_16_64 0
		.amdhsa_float_denorm_mode_32 3
		.amdhsa_float_denorm_mode_16_64 3
		.amdhsa_fp16_overflow 0
		.amdhsa_memory_ordered 1
		.amdhsa_forward_progress 1
		.amdhsa_inst_pref_size 0
		.amdhsa_round_robin_scheduling 0
		.amdhsa_exception_fp_ieee_invalid_op 0
		.amdhsa_exception_fp_denorm_src 0
		.amdhsa_exception_fp_ieee_div_zero 0
		.amdhsa_exception_fp_ieee_overflow 0
		.amdhsa_exception_fp_ieee_underflow 0
		.amdhsa_exception_fp_ieee_inexact 0
		.amdhsa_exception_int_div_zero 0
	.end_amdhsa_kernel
	.section	.text._ZN7rocprim17ROCPRIM_400000_NS6detail17trampoline_kernelINS0_14default_configENS1_35radix_sort_onesweep_config_selectorIjN6thrust23THRUST_200600_302600_NS5tupleIffNS6_9null_typeES8_S8_S8_S8_S8_S8_S8_EEEEZZNS1_29radix_sort_onesweep_iterationIS3_Lb0ENS6_6detail15normal_iteratorINS6_10device_ptrIjEEEESG_NSD_INSE_IS9_EEEESI_jNS0_19identity_decomposerENS1_16block_id_wrapperIjLb0EEEEE10hipError_tT1_PNSt15iterator_traitsISN_E10value_typeET2_T3_PNSO_IST_E10value_typeET4_T5_PSY_SZ_PNS1_23onesweep_lookback_stateEbbT6_jjT7_P12ihipStream_tbENKUlT_T0_SN_SS_E_clISG_SG_SI_SI_EEDaS16_S17_SN_SS_EUlS16_E_NS1_11comp_targetILNS1_3genE4ELNS1_11target_archE910ELNS1_3gpuE8ELNS1_3repE0EEENS1_47radix_sort_onesweep_sort_config_static_selectorELNS0_4arch9wavefront6targetE0EEEvSN_,"axG",@progbits,_ZN7rocprim17ROCPRIM_400000_NS6detail17trampoline_kernelINS0_14default_configENS1_35radix_sort_onesweep_config_selectorIjN6thrust23THRUST_200600_302600_NS5tupleIffNS6_9null_typeES8_S8_S8_S8_S8_S8_S8_EEEEZZNS1_29radix_sort_onesweep_iterationIS3_Lb0ENS6_6detail15normal_iteratorINS6_10device_ptrIjEEEESG_NSD_INSE_IS9_EEEESI_jNS0_19identity_decomposerENS1_16block_id_wrapperIjLb0EEEEE10hipError_tT1_PNSt15iterator_traitsISN_E10value_typeET2_T3_PNSO_IST_E10value_typeET4_T5_PSY_SZ_PNS1_23onesweep_lookback_stateEbbT6_jjT7_P12ihipStream_tbENKUlT_T0_SN_SS_E_clISG_SG_SI_SI_EEDaS16_S17_SN_SS_EUlS16_E_NS1_11comp_targetILNS1_3genE4ELNS1_11target_archE910ELNS1_3gpuE8ELNS1_3repE0EEENS1_47radix_sort_onesweep_sort_config_static_selectorELNS0_4arch9wavefront6targetE0EEEvSN_,comdat
.Lfunc_end206:
	.size	_ZN7rocprim17ROCPRIM_400000_NS6detail17trampoline_kernelINS0_14default_configENS1_35radix_sort_onesweep_config_selectorIjN6thrust23THRUST_200600_302600_NS5tupleIffNS6_9null_typeES8_S8_S8_S8_S8_S8_S8_EEEEZZNS1_29radix_sort_onesweep_iterationIS3_Lb0ENS6_6detail15normal_iteratorINS6_10device_ptrIjEEEESG_NSD_INSE_IS9_EEEESI_jNS0_19identity_decomposerENS1_16block_id_wrapperIjLb0EEEEE10hipError_tT1_PNSt15iterator_traitsISN_E10value_typeET2_T3_PNSO_IST_E10value_typeET4_T5_PSY_SZ_PNS1_23onesweep_lookback_stateEbbT6_jjT7_P12ihipStream_tbENKUlT_T0_SN_SS_E_clISG_SG_SI_SI_EEDaS16_S17_SN_SS_EUlS16_E_NS1_11comp_targetILNS1_3genE4ELNS1_11target_archE910ELNS1_3gpuE8ELNS1_3repE0EEENS1_47radix_sort_onesweep_sort_config_static_selectorELNS0_4arch9wavefront6targetE0EEEvSN_, .Lfunc_end206-_ZN7rocprim17ROCPRIM_400000_NS6detail17trampoline_kernelINS0_14default_configENS1_35radix_sort_onesweep_config_selectorIjN6thrust23THRUST_200600_302600_NS5tupleIffNS6_9null_typeES8_S8_S8_S8_S8_S8_S8_EEEEZZNS1_29radix_sort_onesweep_iterationIS3_Lb0ENS6_6detail15normal_iteratorINS6_10device_ptrIjEEEESG_NSD_INSE_IS9_EEEESI_jNS0_19identity_decomposerENS1_16block_id_wrapperIjLb0EEEEE10hipError_tT1_PNSt15iterator_traitsISN_E10value_typeET2_T3_PNSO_IST_E10value_typeET4_T5_PSY_SZ_PNS1_23onesweep_lookback_stateEbbT6_jjT7_P12ihipStream_tbENKUlT_T0_SN_SS_E_clISG_SG_SI_SI_EEDaS16_S17_SN_SS_EUlS16_E_NS1_11comp_targetILNS1_3genE4ELNS1_11target_archE910ELNS1_3gpuE8ELNS1_3repE0EEENS1_47radix_sort_onesweep_sort_config_static_selectorELNS0_4arch9wavefront6targetE0EEEvSN_
                                        ; -- End function
	.set _ZN7rocprim17ROCPRIM_400000_NS6detail17trampoline_kernelINS0_14default_configENS1_35radix_sort_onesweep_config_selectorIjN6thrust23THRUST_200600_302600_NS5tupleIffNS6_9null_typeES8_S8_S8_S8_S8_S8_S8_EEEEZZNS1_29radix_sort_onesweep_iterationIS3_Lb0ENS6_6detail15normal_iteratorINS6_10device_ptrIjEEEESG_NSD_INSE_IS9_EEEESI_jNS0_19identity_decomposerENS1_16block_id_wrapperIjLb0EEEEE10hipError_tT1_PNSt15iterator_traitsISN_E10value_typeET2_T3_PNSO_IST_E10value_typeET4_T5_PSY_SZ_PNS1_23onesweep_lookback_stateEbbT6_jjT7_P12ihipStream_tbENKUlT_T0_SN_SS_E_clISG_SG_SI_SI_EEDaS16_S17_SN_SS_EUlS16_E_NS1_11comp_targetILNS1_3genE4ELNS1_11target_archE910ELNS1_3gpuE8ELNS1_3repE0EEENS1_47radix_sort_onesweep_sort_config_static_selectorELNS0_4arch9wavefront6targetE0EEEvSN_.num_vgpr, 0
	.set _ZN7rocprim17ROCPRIM_400000_NS6detail17trampoline_kernelINS0_14default_configENS1_35radix_sort_onesweep_config_selectorIjN6thrust23THRUST_200600_302600_NS5tupleIffNS6_9null_typeES8_S8_S8_S8_S8_S8_S8_EEEEZZNS1_29radix_sort_onesweep_iterationIS3_Lb0ENS6_6detail15normal_iteratorINS6_10device_ptrIjEEEESG_NSD_INSE_IS9_EEEESI_jNS0_19identity_decomposerENS1_16block_id_wrapperIjLb0EEEEE10hipError_tT1_PNSt15iterator_traitsISN_E10value_typeET2_T3_PNSO_IST_E10value_typeET4_T5_PSY_SZ_PNS1_23onesweep_lookback_stateEbbT6_jjT7_P12ihipStream_tbENKUlT_T0_SN_SS_E_clISG_SG_SI_SI_EEDaS16_S17_SN_SS_EUlS16_E_NS1_11comp_targetILNS1_3genE4ELNS1_11target_archE910ELNS1_3gpuE8ELNS1_3repE0EEENS1_47radix_sort_onesweep_sort_config_static_selectorELNS0_4arch9wavefront6targetE0EEEvSN_.num_agpr, 0
	.set _ZN7rocprim17ROCPRIM_400000_NS6detail17trampoline_kernelINS0_14default_configENS1_35radix_sort_onesweep_config_selectorIjN6thrust23THRUST_200600_302600_NS5tupleIffNS6_9null_typeES8_S8_S8_S8_S8_S8_S8_EEEEZZNS1_29radix_sort_onesweep_iterationIS3_Lb0ENS6_6detail15normal_iteratorINS6_10device_ptrIjEEEESG_NSD_INSE_IS9_EEEESI_jNS0_19identity_decomposerENS1_16block_id_wrapperIjLb0EEEEE10hipError_tT1_PNSt15iterator_traitsISN_E10value_typeET2_T3_PNSO_IST_E10value_typeET4_T5_PSY_SZ_PNS1_23onesweep_lookback_stateEbbT6_jjT7_P12ihipStream_tbENKUlT_T0_SN_SS_E_clISG_SG_SI_SI_EEDaS16_S17_SN_SS_EUlS16_E_NS1_11comp_targetILNS1_3genE4ELNS1_11target_archE910ELNS1_3gpuE8ELNS1_3repE0EEENS1_47radix_sort_onesweep_sort_config_static_selectorELNS0_4arch9wavefront6targetE0EEEvSN_.numbered_sgpr, 0
	.set _ZN7rocprim17ROCPRIM_400000_NS6detail17trampoline_kernelINS0_14default_configENS1_35radix_sort_onesweep_config_selectorIjN6thrust23THRUST_200600_302600_NS5tupleIffNS6_9null_typeES8_S8_S8_S8_S8_S8_S8_EEEEZZNS1_29radix_sort_onesweep_iterationIS3_Lb0ENS6_6detail15normal_iteratorINS6_10device_ptrIjEEEESG_NSD_INSE_IS9_EEEESI_jNS0_19identity_decomposerENS1_16block_id_wrapperIjLb0EEEEE10hipError_tT1_PNSt15iterator_traitsISN_E10value_typeET2_T3_PNSO_IST_E10value_typeET4_T5_PSY_SZ_PNS1_23onesweep_lookback_stateEbbT6_jjT7_P12ihipStream_tbENKUlT_T0_SN_SS_E_clISG_SG_SI_SI_EEDaS16_S17_SN_SS_EUlS16_E_NS1_11comp_targetILNS1_3genE4ELNS1_11target_archE910ELNS1_3gpuE8ELNS1_3repE0EEENS1_47radix_sort_onesweep_sort_config_static_selectorELNS0_4arch9wavefront6targetE0EEEvSN_.num_named_barrier, 0
	.set _ZN7rocprim17ROCPRIM_400000_NS6detail17trampoline_kernelINS0_14default_configENS1_35radix_sort_onesweep_config_selectorIjN6thrust23THRUST_200600_302600_NS5tupleIffNS6_9null_typeES8_S8_S8_S8_S8_S8_S8_EEEEZZNS1_29radix_sort_onesweep_iterationIS3_Lb0ENS6_6detail15normal_iteratorINS6_10device_ptrIjEEEESG_NSD_INSE_IS9_EEEESI_jNS0_19identity_decomposerENS1_16block_id_wrapperIjLb0EEEEE10hipError_tT1_PNSt15iterator_traitsISN_E10value_typeET2_T3_PNSO_IST_E10value_typeET4_T5_PSY_SZ_PNS1_23onesweep_lookback_stateEbbT6_jjT7_P12ihipStream_tbENKUlT_T0_SN_SS_E_clISG_SG_SI_SI_EEDaS16_S17_SN_SS_EUlS16_E_NS1_11comp_targetILNS1_3genE4ELNS1_11target_archE910ELNS1_3gpuE8ELNS1_3repE0EEENS1_47radix_sort_onesweep_sort_config_static_selectorELNS0_4arch9wavefront6targetE0EEEvSN_.private_seg_size, 0
	.set _ZN7rocprim17ROCPRIM_400000_NS6detail17trampoline_kernelINS0_14default_configENS1_35radix_sort_onesweep_config_selectorIjN6thrust23THRUST_200600_302600_NS5tupleIffNS6_9null_typeES8_S8_S8_S8_S8_S8_S8_EEEEZZNS1_29radix_sort_onesweep_iterationIS3_Lb0ENS6_6detail15normal_iteratorINS6_10device_ptrIjEEEESG_NSD_INSE_IS9_EEEESI_jNS0_19identity_decomposerENS1_16block_id_wrapperIjLb0EEEEE10hipError_tT1_PNSt15iterator_traitsISN_E10value_typeET2_T3_PNSO_IST_E10value_typeET4_T5_PSY_SZ_PNS1_23onesweep_lookback_stateEbbT6_jjT7_P12ihipStream_tbENKUlT_T0_SN_SS_E_clISG_SG_SI_SI_EEDaS16_S17_SN_SS_EUlS16_E_NS1_11comp_targetILNS1_3genE4ELNS1_11target_archE910ELNS1_3gpuE8ELNS1_3repE0EEENS1_47radix_sort_onesweep_sort_config_static_selectorELNS0_4arch9wavefront6targetE0EEEvSN_.uses_vcc, 0
	.set _ZN7rocprim17ROCPRIM_400000_NS6detail17trampoline_kernelINS0_14default_configENS1_35radix_sort_onesweep_config_selectorIjN6thrust23THRUST_200600_302600_NS5tupleIffNS6_9null_typeES8_S8_S8_S8_S8_S8_S8_EEEEZZNS1_29radix_sort_onesweep_iterationIS3_Lb0ENS6_6detail15normal_iteratorINS6_10device_ptrIjEEEESG_NSD_INSE_IS9_EEEESI_jNS0_19identity_decomposerENS1_16block_id_wrapperIjLb0EEEEE10hipError_tT1_PNSt15iterator_traitsISN_E10value_typeET2_T3_PNSO_IST_E10value_typeET4_T5_PSY_SZ_PNS1_23onesweep_lookback_stateEbbT6_jjT7_P12ihipStream_tbENKUlT_T0_SN_SS_E_clISG_SG_SI_SI_EEDaS16_S17_SN_SS_EUlS16_E_NS1_11comp_targetILNS1_3genE4ELNS1_11target_archE910ELNS1_3gpuE8ELNS1_3repE0EEENS1_47radix_sort_onesweep_sort_config_static_selectorELNS0_4arch9wavefront6targetE0EEEvSN_.uses_flat_scratch, 0
	.set _ZN7rocprim17ROCPRIM_400000_NS6detail17trampoline_kernelINS0_14default_configENS1_35radix_sort_onesweep_config_selectorIjN6thrust23THRUST_200600_302600_NS5tupleIffNS6_9null_typeES8_S8_S8_S8_S8_S8_S8_EEEEZZNS1_29radix_sort_onesweep_iterationIS3_Lb0ENS6_6detail15normal_iteratorINS6_10device_ptrIjEEEESG_NSD_INSE_IS9_EEEESI_jNS0_19identity_decomposerENS1_16block_id_wrapperIjLb0EEEEE10hipError_tT1_PNSt15iterator_traitsISN_E10value_typeET2_T3_PNSO_IST_E10value_typeET4_T5_PSY_SZ_PNS1_23onesweep_lookback_stateEbbT6_jjT7_P12ihipStream_tbENKUlT_T0_SN_SS_E_clISG_SG_SI_SI_EEDaS16_S17_SN_SS_EUlS16_E_NS1_11comp_targetILNS1_3genE4ELNS1_11target_archE910ELNS1_3gpuE8ELNS1_3repE0EEENS1_47radix_sort_onesweep_sort_config_static_selectorELNS0_4arch9wavefront6targetE0EEEvSN_.has_dyn_sized_stack, 0
	.set _ZN7rocprim17ROCPRIM_400000_NS6detail17trampoline_kernelINS0_14default_configENS1_35radix_sort_onesweep_config_selectorIjN6thrust23THRUST_200600_302600_NS5tupleIffNS6_9null_typeES8_S8_S8_S8_S8_S8_S8_EEEEZZNS1_29radix_sort_onesweep_iterationIS3_Lb0ENS6_6detail15normal_iteratorINS6_10device_ptrIjEEEESG_NSD_INSE_IS9_EEEESI_jNS0_19identity_decomposerENS1_16block_id_wrapperIjLb0EEEEE10hipError_tT1_PNSt15iterator_traitsISN_E10value_typeET2_T3_PNSO_IST_E10value_typeET4_T5_PSY_SZ_PNS1_23onesweep_lookback_stateEbbT6_jjT7_P12ihipStream_tbENKUlT_T0_SN_SS_E_clISG_SG_SI_SI_EEDaS16_S17_SN_SS_EUlS16_E_NS1_11comp_targetILNS1_3genE4ELNS1_11target_archE910ELNS1_3gpuE8ELNS1_3repE0EEENS1_47radix_sort_onesweep_sort_config_static_selectorELNS0_4arch9wavefront6targetE0EEEvSN_.has_recursion, 0
	.set _ZN7rocprim17ROCPRIM_400000_NS6detail17trampoline_kernelINS0_14default_configENS1_35radix_sort_onesweep_config_selectorIjN6thrust23THRUST_200600_302600_NS5tupleIffNS6_9null_typeES8_S8_S8_S8_S8_S8_S8_EEEEZZNS1_29radix_sort_onesweep_iterationIS3_Lb0ENS6_6detail15normal_iteratorINS6_10device_ptrIjEEEESG_NSD_INSE_IS9_EEEESI_jNS0_19identity_decomposerENS1_16block_id_wrapperIjLb0EEEEE10hipError_tT1_PNSt15iterator_traitsISN_E10value_typeET2_T3_PNSO_IST_E10value_typeET4_T5_PSY_SZ_PNS1_23onesweep_lookback_stateEbbT6_jjT7_P12ihipStream_tbENKUlT_T0_SN_SS_E_clISG_SG_SI_SI_EEDaS16_S17_SN_SS_EUlS16_E_NS1_11comp_targetILNS1_3genE4ELNS1_11target_archE910ELNS1_3gpuE8ELNS1_3repE0EEENS1_47radix_sort_onesweep_sort_config_static_selectorELNS0_4arch9wavefront6targetE0EEEvSN_.has_indirect_call, 0
	.section	.AMDGPU.csdata,"",@progbits
; Kernel info:
; codeLenInByte = 0
; TotalNumSgprs: 0
; NumVgprs: 0
; ScratchSize: 0
; MemoryBound: 0
; FloatMode: 240
; IeeeMode: 1
; LDSByteSize: 0 bytes/workgroup (compile time only)
; SGPRBlocks: 0
; VGPRBlocks: 0
; NumSGPRsForWavesPerEU: 1
; NumVGPRsForWavesPerEU: 1
; NamedBarCnt: 0
; Occupancy: 16
; WaveLimiterHint : 0
; COMPUTE_PGM_RSRC2:SCRATCH_EN: 0
; COMPUTE_PGM_RSRC2:USER_SGPR: 2
; COMPUTE_PGM_RSRC2:TRAP_HANDLER: 0
; COMPUTE_PGM_RSRC2:TGID_X_EN: 1
; COMPUTE_PGM_RSRC2:TGID_Y_EN: 0
; COMPUTE_PGM_RSRC2:TGID_Z_EN: 0
; COMPUTE_PGM_RSRC2:TIDIG_COMP_CNT: 0
	.section	.text._ZN7rocprim17ROCPRIM_400000_NS6detail17trampoline_kernelINS0_14default_configENS1_35radix_sort_onesweep_config_selectorIjN6thrust23THRUST_200600_302600_NS5tupleIffNS6_9null_typeES8_S8_S8_S8_S8_S8_S8_EEEEZZNS1_29radix_sort_onesweep_iterationIS3_Lb0ENS6_6detail15normal_iteratorINS6_10device_ptrIjEEEESG_NSD_INSE_IS9_EEEESI_jNS0_19identity_decomposerENS1_16block_id_wrapperIjLb0EEEEE10hipError_tT1_PNSt15iterator_traitsISN_E10value_typeET2_T3_PNSO_IST_E10value_typeET4_T5_PSY_SZ_PNS1_23onesweep_lookback_stateEbbT6_jjT7_P12ihipStream_tbENKUlT_T0_SN_SS_E_clISG_SG_SI_SI_EEDaS16_S17_SN_SS_EUlS16_E_NS1_11comp_targetILNS1_3genE3ELNS1_11target_archE908ELNS1_3gpuE7ELNS1_3repE0EEENS1_47radix_sort_onesweep_sort_config_static_selectorELNS0_4arch9wavefront6targetE0EEEvSN_,"axG",@progbits,_ZN7rocprim17ROCPRIM_400000_NS6detail17trampoline_kernelINS0_14default_configENS1_35radix_sort_onesweep_config_selectorIjN6thrust23THRUST_200600_302600_NS5tupleIffNS6_9null_typeES8_S8_S8_S8_S8_S8_S8_EEEEZZNS1_29radix_sort_onesweep_iterationIS3_Lb0ENS6_6detail15normal_iteratorINS6_10device_ptrIjEEEESG_NSD_INSE_IS9_EEEESI_jNS0_19identity_decomposerENS1_16block_id_wrapperIjLb0EEEEE10hipError_tT1_PNSt15iterator_traitsISN_E10value_typeET2_T3_PNSO_IST_E10value_typeET4_T5_PSY_SZ_PNS1_23onesweep_lookback_stateEbbT6_jjT7_P12ihipStream_tbENKUlT_T0_SN_SS_E_clISG_SG_SI_SI_EEDaS16_S17_SN_SS_EUlS16_E_NS1_11comp_targetILNS1_3genE3ELNS1_11target_archE908ELNS1_3gpuE7ELNS1_3repE0EEENS1_47radix_sort_onesweep_sort_config_static_selectorELNS0_4arch9wavefront6targetE0EEEvSN_,comdat
	.protected	_ZN7rocprim17ROCPRIM_400000_NS6detail17trampoline_kernelINS0_14default_configENS1_35radix_sort_onesweep_config_selectorIjN6thrust23THRUST_200600_302600_NS5tupleIffNS6_9null_typeES8_S8_S8_S8_S8_S8_S8_EEEEZZNS1_29radix_sort_onesweep_iterationIS3_Lb0ENS6_6detail15normal_iteratorINS6_10device_ptrIjEEEESG_NSD_INSE_IS9_EEEESI_jNS0_19identity_decomposerENS1_16block_id_wrapperIjLb0EEEEE10hipError_tT1_PNSt15iterator_traitsISN_E10value_typeET2_T3_PNSO_IST_E10value_typeET4_T5_PSY_SZ_PNS1_23onesweep_lookback_stateEbbT6_jjT7_P12ihipStream_tbENKUlT_T0_SN_SS_E_clISG_SG_SI_SI_EEDaS16_S17_SN_SS_EUlS16_E_NS1_11comp_targetILNS1_3genE3ELNS1_11target_archE908ELNS1_3gpuE7ELNS1_3repE0EEENS1_47radix_sort_onesweep_sort_config_static_selectorELNS0_4arch9wavefront6targetE0EEEvSN_ ; -- Begin function _ZN7rocprim17ROCPRIM_400000_NS6detail17trampoline_kernelINS0_14default_configENS1_35radix_sort_onesweep_config_selectorIjN6thrust23THRUST_200600_302600_NS5tupleIffNS6_9null_typeES8_S8_S8_S8_S8_S8_S8_EEEEZZNS1_29radix_sort_onesweep_iterationIS3_Lb0ENS6_6detail15normal_iteratorINS6_10device_ptrIjEEEESG_NSD_INSE_IS9_EEEESI_jNS0_19identity_decomposerENS1_16block_id_wrapperIjLb0EEEEE10hipError_tT1_PNSt15iterator_traitsISN_E10value_typeET2_T3_PNSO_IST_E10value_typeET4_T5_PSY_SZ_PNS1_23onesweep_lookback_stateEbbT6_jjT7_P12ihipStream_tbENKUlT_T0_SN_SS_E_clISG_SG_SI_SI_EEDaS16_S17_SN_SS_EUlS16_E_NS1_11comp_targetILNS1_3genE3ELNS1_11target_archE908ELNS1_3gpuE7ELNS1_3repE0EEENS1_47radix_sort_onesweep_sort_config_static_selectorELNS0_4arch9wavefront6targetE0EEEvSN_
	.globl	_ZN7rocprim17ROCPRIM_400000_NS6detail17trampoline_kernelINS0_14default_configENS1_35radix_sort_onesweep_config_selectorIjN6thrust23THRUST_200600_302600_NS5tupleIffNS6_9null_typeES8_S8_S8_S8_S8_S8_S8_EEEEZZNS1_29radix_sort_onesweep_iterationIS3_Lb0ENS6_6detail15normal_iteratorINS6_10device_ptrIjEEEESG_NSD_INSE_IS9_EEEESI_jNS0_19identity_decomposerENS1_16block_id_wrapperIjLb0EEEEE10hipError_tT1_PNSt15iterator_traitsISN_E10value_typeET2_T3_PNSO_IST_E10value_typeET4_T5_PSY_SZ_PNS1_23onesweep_lookback_stateEbbT6_jjT7_P12ihipStream_tbENKUlT_T0_SN_SS_E_clISG_SG_SI_SI_EEDaS16_S17_SN_SS_EUlS16_E_NS1_11comp_targetILNS1_3genE3ELNS1_11target_archE908ELNS1_3gpuE7ELNS1_3repE0EEENS1_47radix_sort_onesweep_sort_config_static_selectorELNS0_4arch9wavefront6targetE0EEEvSN_
	.p2align	8
	.type	_ZN7rocprim17ROCPRIM_400000_NS6detail17trampoline_kernelINS0_14default_configENS1_35radix_sort_onesweep_config_selectorIjN6thrust23THRUST_200600_302600_NS5tupleIffNS6_9null_typeES8_S8_S8_S8_S8_S8_S8_EEEEZZNS1_29radix_sort_onesweep_iterationIS3_Lb0ENS6_6detail15normal_iteratorINS6_10device_ptrIjEEEESG_NSD_INSE_IS9_EEEESI_jNS0_19identity_decomposerENS1_16block_id_wrapperIjLb0EEEEE10hipError_tT1_PNSt15iterator_traitsISN_E10value_typeET2_T3_PNSO_IST_E10value_typeET4_T5_PSY_SZ_PNS1_23onesweep_lookback_stateEbbT6_jjT7_P12ihipStream_tbENKUlT_T0_SN_SS_E_clISG_SG_SI_SI_EEDaS16_S17_SN_SS_EUlS16_E_NS1_11comp_targetILNS1_3genE3ELNS1_11target_archE908ELNS1_3gpuE7ELNS1_3repE0EEENS1_47radix_sort_onesweep_sort_config_static_selectorELNS0_4arch9wavefront6targetE0EEEvSN_,@function
_ZN7rocprim17ROCPRIM_400000_NS6detail17trampoline_kernelINS0_14default_configENS1_35radix_sort_onesweep_config_selectorIjN6thrust23THRUST_200600_302600_NS5tupleIffNS6_9null_typeES8_S8_S8_S8_S8_S8_S8_EEEEZZNS1_29radix_sort_onesweep_iterationIS3_Lb0ENS6_6detail15normal_iteratorINS6_10device_ptrIjEEEESG_NSD_INSE_IS9_EEEESI_jNS0_19identity_decomposerENS1_16block_id_wrapperIjLb0EEEEE10hipError_tT1_PNSt15iterator_traitsISN_E10value_typeET2_T3_PNSO_IST_E10value_typeET4_T5_PSY_SZ_PNS1_23onesweep_lookback_stateEbbT6_jjT7_P12ihipStream_tbENKUlT_T0_SN_SS_E_clISG_SG_SI_SI_EEDaS16_S17_SN_SS_EUlS16_E_NS1_11comp_targetILNS1_3genE3ELNS1_11target_archE908ELNS1_3gpuE7ELNS1_3repE0EEENS1_47radix_sort_onesweep_sort_config_static_selectorELNS0_4arch9wavefront6targetE0EEEvSN_: ; @_ZN7rocprim17ROCPRIM_400000_NS6detail17trampoline_kernelINS0_14default_configENS1_35radix_sort_onesweep_config_selectorIjN6thrust23THRUST_200600_302600_NS5tupleIffNS6_9null_typeES8_S8_S8_S8_S8_S8_S8_EEEEZZNS1_29radix_sort_onesweep_iterationIS3_Lb0ENS6_6detail15normal_iteratorINS6_10device_ptrIjEEEESG_NSD_INSE_IS9_EEEESI_jNS0_19identity_decomposerENS1_16block_id_wrapperIjLb0EEEEE10hipError_tT1_PNSt15iterator_traitsISN_E10value_typeET2_T3_PNSO_IST_E10value_typeET4_T5_PSY_SZ_PNS1_23onesweep_lookback_stateEbbT6_jjT7_P12ihipStream_tbENKUlT_T0_SN_SS_E_clISG_SG_SI_SI_EEDaS16_S17_SN_SS_EUlS16_E_NS1_11comp_targetILNS1_3genE3ELNS1_11target_archE908ELNS1_3gpuE7ELNS1_3repE0EEENS1_47radix_sort_onesweep_sort_config_static_selectorELNS0_4arch9wavefront6targetE0EEEvSN_
; %bb.0:
	.section	.rodata,"a",@progbits
	.p2align	6, 0x0
	.amdhsa_kernel _ZN7rocprim17ROCPRIM_400000_NS6detail17trampoline_kernelINS0_14default_configENS1_35radix_sort_onesweep_config_selectorIjN6thrust23THRUST_200600_302600_NS5tupleIffNS6_9null_typeES8_S8_S8_S8_S8_S8_S8_EEEEZZNS1_29radix_sort_onesweep_iterationIS3_Lb0ENS6_6detail15normal_iteratorINS6_10device_ptrIjEEEESG_NSD_INSE_IS9_EEEESI_jNS0_19identity_decomposerENS1_16block_id_wrapperIjLb0EEEEE10hipError_tT1_PNSt15iterator_traitsISN_E10value_typeET2_T3_PNSO_IST_E10value_typeET4_T5_PSY_SZ_PNS1_23onesweep_lookback_stateEbbT6_jjT7_P12ihipStream_tbENKUlT_T0_SN_SS_E_clISG_SG_SI_SI_EEDaS16_S17_SN_SS_EUlS16_E_NS1_11comp_targetILNS1_3genE3ELNS1_11target_archE908ELNS1_3gpuE7ELNS1_3repE0EEENS1_47radix_sort_onesweep_sort_config_static_selectorELNS0_4arch9wavefront6targetE0EEEvSN_
		.amdhsa_group_segment_fixed_size 0
		.amdhsa_private_segment_fixed_size 0
		.amdhsa_kernarg_size 88
		.amdhsa_user_sgpr_count 2
		.amdhsa_user_sgpr_dispatch_ptr 0
		.amdhsa_user_sgpr_queue_ptr 0
		.amdhsa_user_sgpr_kernarg_segment_ptr 1
		.amdhsa_user_sgpr_dispatch_id 0
		.amdhsa_user_sgpr_kernarg_preload_length 0
		.amdhsa_user_sgpr_kernarg_preload_offset 0
		.amdhsa_user_sgpr_private_segment_size 0
		.amdhsa_wavefront_size32 1
		.amdhsa_uses_dynamic_stack 0
		.amdhsa_enable_private_segment 0
		.amdhsa_system_sgpr_workgroup_id_x 1
		.amdhsa_system_sgpr_workgroup_id_y 0
		.amdhsa_system_sgpr_workgroup_id_z 0
		.amdhsa_system_sgpr_workgroup_info 0
		.amdhsa_system_vgpr_workitem_id 0
		.amdhsa_next_free_vgpr 1
		.amdhsa_next_free_sgpr 1
		.amdhsa_named_barrier_count 0
		.amdhsa_reserve_vcc 0
		.amdhsa_float_round_mode_32 0
		.amdhsa_float_round_mode_16_64 0
		.amdhsa_float_denorm_mode_32 3
		.amdhsa_float_denorm_mode_16_64 3
		.amdhsa_fp16_overflow 0
		.amdhsa_memory_ordered 1
		.amdhsa_forward_progress 1
		.amdhsa_inst_pref_size 0
		.amdhsa_round_robin_scheduling 0
		.amdhsa_exception_fp_ieee_invalid_op 0
		.amdhsa_exception_fp_denorm_src 0
		.amdhsa_exception_fp_ieee_div_zero 0
		.amdhsa_exception_fp_ieee_overflow 0
		.amdhsa_exception_fp_ieee_underflow 0
		.amdhsa_exception_fp_ieee_inexact 0
		.amdhsa_exception_int_div_zero 0
	.end_amdhsa_kernel
	.section	.text._ZN7rocprim17ROCPRIM_400000_NS6detail17trampoline_kernelINS0_14default_configENS1_35radix_sort_onesweep_config_selectorIjN6thrust23THRUST_200600_302600_NS5tupleIffNS6_9null_typeES8_S8_S8_S8_S8_S8_S8_EEEEZZNS1_29radix_sort_onesweep_iterationIS3_Lb0ENS6_6detail15normal_iteratorINS6_10device_ptrIjEEEESG_NSD_INSE_IS9_EEEESI_jNS0_19identity_decomposerENS1_16block_id_wrapperIjLb0EEEEE10hipError_tT1_PNSt15iterator_traitsISN_E10value_typeET2_T3_PNSO_IST_E10value_typeET4_T5_PSY_SZ_PNS1_23onesweep_lookback_stateEbbT6_jjT7_P12ihipStream_tbENKUlT_T0_SN_SS_E_clISG_SG_SI_SI_EEDaS16_S17_SN_SS_EUlS16_E_NS1_11comp_targetILNS1_3genE3ELNS1_11target_archE908ELNS1_3gpuE7ELNS1_3repE0EEENS1_47radix_sort_onesweep_sort_config_static_selectorELNS0_4arch9wavefront6targetE0EEEvSN_,"axG",@progbits,_ZN7rocprim17ROCPRIM_400000_NS6detail17trampoline_kernelINS0_14default_configENS1_35radix_sort_onesweep_config_selectorIjN6thrust23THRUST_200600_302600_NS5tupleIffNS6_9null_typeES8_S8_S8_S8_S8_S8_S8_EEEEZZNS1_29radix_sort_onesweep_iterationIS3_Lb0ENS6_6detail15normal_iteratorINS6_10device_ptrIjEEEESG_NSD_INSE_IS9_EEEESI_jNS0_19identity_decomposerENS1_16block_id_wrapperIjLb0EEEEE10hipError_tT1_PNSt15iterator_traitsISN_E10value_typeET2_T3_PNSO_IST_E10value_typeET4_T5_PSY_SZ_PNS1_23onesweep_lookback_stateEbbT6_jjT7_P12ihipStream_tbENKUlT_T0_SN_SS_E_clISG_SG_SI_SI_EEDaS16_S17_SN_SS_EUlS16_E_NS1_11comp_targetILNS1_3genE3ELNS1_11target_archE908ELNS1_3gpuE7ELNS1_3repE0EEENS1_47radix_sort_onesweep_sort_config_static_selectorELNS0_4arch9wavefront6targetE0EEEvSN_,comdat
.Lfunc_end207:
	.size	_ZN7rocprim17ROCPRIM_400000_NS6detail17trampoline_kernelINS0_14default_configENS1_35radix_sort_onesweep_config_selectorIjN6thrust23THRUST_200600_302600_NS5tupleIffNS6_9null_typeES8_S8_S8_S8_S8_S8_S8_EEEEZZNS1_29radix_sort_onesweep_iterationIS3_Lb0ENS6_6detail15normal_iteratorINS6_10device_ptrIjEEEESG_NSD_INSE_IS9_EEEESI_jNS0_19identity_decomposerENS1_16block_id_wrapperIjLb0EEEEE10hipError_tT1_PNSt15iterator_traitsISN_E10value_typeET2_T3_PNSO_IST_E10value_typeET4_T5_PSY_SZ_PNS1_23onesweep_lookback_stateEbbT6_jjT7_P12ihipStream_tbENKUlT_T0_SN_SS_E_clISG_SG_SI_SI_EEDaS16_S17_SN_SS_EUlS16_E_NS1_11comp_targetILNS1_3genE3ELNS1_11target_archE908ELNS1_3gpuE7ELNS1_3repE0EEENS1_47radix_sort_onesweep_sort_config_static_selectorELNS0_4arch9wavefront6targetE0EEEvSN_, .Lfunc_end207-_ZN7rocprim17ROCPRIM_400000_NS6detail17trampoline_kernelINS0_14default_configENS1_35radix_sort_onesweep_config_selectorIjN6thrust23THRUST_200600_302600_NS5tupleIffNS6_9null_typeES8_S8_S8_S8_S8_S8_S8_EEEEZZNS1_29radix_sort_onesweep_iterationIS3_Lb0ENS6_6detail15normal_iteratorINS6_10device_ptrIjEEEESG_NSD_INSE_IS9_EEEESI_jNS0_19identity_decomposerENS1_16block_id_wrapperIjLb0EEEEE10hipError_tT1_PNSt15iterator_traitsISN_E10value_typeET2_T3_PNSO_IST_E10value_typeET4_T5_PSY_SZ_PNS1_23onesweep_lookback_stateEbbT6_jjT7_P12ihipStream_tbENKUlT_T0_SN_SS_E_clISG_SG_SI_SI_EEDaS16_S17_SN_SS_EUlS16_E_NS1_11comp_targetILNS1_3genE3ELNS1_11target_archE908ELNS1_3gpuE7ELNS1_3repE0EEENS1_47radix_sort_onesweep_sort_config_static_selectorELNS0_4arch9wavefront6targetE0EEEvSN_
                                        ; -- End function
	.set _ZN7rocprim17ROCPRIM_400000_NS6detail17trampoline_kernelINS0_14default_configENS1_35radix_sort_onesweep_config_selectorIjN6thrust23THRUST_200600_302600_NS5tupleIffNS6_9null_typeES8_S8_S8_S8_S8_S8_S8_EEEEZZNS1_29radix_sort_onesweep_iterationIS3_Lb0ENS6_6detail15normal_iteratorINS6_10device_ptrIjEEEESG_NSD_INSE_IS9_EEEESI_jNS0_19identity_decomposerENS1_16block_id_wrapperIjLb0EEEEE10hipError_tT1_PNSt15iterator_traitsISN_E10value_typeET2_T3_PNSO_IST_E10value_typeET4_T5_PSY_SZ_PNS1_23onesweep_lookback_stateEbbT6_jjT7_P12ihipStream_tbENKUlT_T0_SN_SS_E_clISG_SG_SI_SI_EEDaS16_S17_SN_SS_EUlS16_E_NS1_11comp_targetILNS1_3genE3ELNS1_11target_archE908ELNS1_3gpuE7ELNS1_3repE0EEENS1_47radix_sort_onesweep_sort_config_static_selectorELNS0_4arch9wavefront6targetE0EEEvSN_.num_vgpr, 0
	.set _ZN7rocprim17ROCPRIM_400000_NS6detail17trampoline_kernelINS0_14default_configENS1_35radix_sort_onesweep_config_selectorIjN6thrust23THRUST_200600_302600_NS5tupleIffNS6_9null_typeES8_S8_S8_S8_S8_S8_S8_EEEEZZNS1_29radix_sort_onesweep_iterationIS3_Lb0ENS6_6detail15normal_iteratorINS6_10device_ptrIjEEEESG_NSD_INSE_IS9_EEEESI_jNS0_19identity_decomposerENS1_16block_id_wrapperIjLb0EEEEE10hipError_tT1_PNSt15iterator_traitsISN_E10value_typeET2_T3_PNSO_IST_E10value_typeET4_T5_PSY_SZ_PNS1_23onesweep_lookback_stateEbbT6_jjT7_P12ihipStream_tbENKUlT_T0_SN_SS_E_clISG_SG_SI_SI_EEDaS16_S17_SN_SS_EUlS16_E_NS1_11comp_targetILNS1_3genE3ELNS1_11target_archE908ELNS1_3gpuE7ELNS1_3repE0EEENS1_47radix_sort_onesweep_sort_config_static_selectorELNS0_4arch9wavefront6targetE0EEEvSN_.num_agpr, 0
	.set _ZN7rocprim17ROCPRIM_400000_NS6detail17trampoline_kernelINS0_14default_configENS1_35radix_sort_onesweep_config_selectorIjN6thrust23THRUST_200600_302600_NS5tupleIffNS6_9null_typeES8_S8_S8_S8_S8_S8_S8_EEEEZZNS1_29radix_sort_onesweep_iterationIS3_Lb0ENS6_6detail15normal_iteratorINS6_10device_ptrIjEEEESG_NSD_INSE_IS9_EEEESI_jNS0_19identity_decomposerENS1_16block_id_wrapperIjLb0EEEEE10hipError_tT1_PNSt15iterator_traitsISN_E10value_typeET2_T3_PNSO_IST_E10value_typeET4_T5_PSY_SZ_PNS1_23onesweep_lookback_stateEbbT6_jjT7_P12ihipStream_tbENKUlT_T0_SN_SS_E_clISG_SG_SI_SI_EEDaS16_S17_SN_SS_EUlS16_E_NS1_11comp_targetILNS1_3genE3ELNS1_11target_archE908ELNS1_3gpuE7ELNS1_3repE0EEENS1_47radix_sort_onesweep_sort_config_static_selectorELNS0_4arch9wavefront6targetE0EEEvSN_.numbered_sgpr, 0
	.set _ZN7rocprim17ROCPRIM_400000_NS6detail17trampoline_kernelINS0_14default_configENS1_35radix_sort_onesweep_config_selectorIjN6thrust23THRUST_200600_302600_NS5tupleIffNS6_9null_typeES8_S8_S8_S8_S8_S8_S8_EEEEZZNS1_29radix_sort_onesweep_iterationIS3_Lb0ENS6_6detail15normal_iteratorINS6_10device_ptrIjEEEESG_NSD_INSE_IS9_EEEESI_jNS0_19identity_decomposerENS1_16block_id_wrapperIjLb0EEEEE10hipError_tT1_PNSt15iterator_traitsISN_E10value_typeET2_T3_PNSO_IST_E10value_typeET4_T5_PSY_SZ_PNS1_23onesweep_lookback_stateEbbT6_jjT7_P12ihipStream_tbENKUlT_T0_SN_SS_E_clISG_SG_SI_SI_EEDaS16_S17_SN_SS_EUlS16_E_NS1_11comp_targetILNS1_3genE3ELNS1_11target_archE908ELNS1_3gpuE7ELNS1_3repE0EEENS1_47radix_sort_onesweep_sort_config_static_selectorELNS0_4arch9wavefront6targetE0EEEvSN_.num_named_barrier, 0
	.set _ZN7rocprim17ROCPRIM_400000_NS6detail17trampoline_kernelINS0_14default_configENS1_35radix_sort_onesweep_config_selectorIjN6thrust23THRUST_200600_302600_NS5tupleIffNS6_9null_typeES8_S8_S8_S8_S8_S8_S8_EEEEZZNS1_29radix_sort_onesweep_iterationIS3_Lb0ENS6_6detail15normal_iteratorINS6_10device_ptrIjEEEESG_NSD_INSE_IS9_EEEESI_jNS0_19identity_decomposerENS1_16block_id_wrapperIjLb0EEEEE10hipError_tT1_PNSt15iterator_traitsISN_E10value_typeET2_T3_PNSO_IST_E10value_typeET4_T5_PSY_SZ_PNS1_23onesweep_lookback_stateEbbT6_jjT7_P12ihipStream_tbENKUlT_T0_SN_SS_E_clISG_SG_SI_SI_EEDaS16_S17_SN_SS_EUlS16_E_NS1_11comp_targetILNS1_3genE3ELNS1_11target_archE908ELNS1_3gpuE7ELNS1_3repE0EEENS1_47radix_sort_onesweep_sort_config_static_selectorELNS0_4arch9wavefront6targetE0EEEvSN_.private_seg_size, 0
	.set _ZN7rocprim17ROCPRIM_400000_NS6detail17trampoline_kernelINS0_14default_configENS1_35radix_sort_onesweep_config_selectorIjN6thrust23THRUST_200600_302600_NS5tupleIffNS6_9null_typeES8_S8_S8_S8_S8_S8_S8_EEEEZZNS1_29radix_sort_onesweep_iterationIS3_Lb0ENS6_6detail15normal_iteratorINS6_10device_ptrIjEEEESG_NSD_INSE_IS9_EEEESI_jNS0_19identity_decomposerENS1_16block_id_wrapperIjLb0EEEEE10hipError_tT1_PNSt15iterator_traitsISN_E10value_typeET2_T3_PNSO_IST_E10value_typeET4_T5_PSY_SZ_PNS1_23onesweep_lookback_stateEbbT6_jjT7_P12ihipStream_tbENKUlT_T0_SN_SS_E_clISG_SG_SI_SI_EEDaS16_S17_SN_SS_EUlS16_E_NS1_11comp_targetILNS1_3genE3ELNS1_11target_archE908ELNS1_3gpuE7ELNS1_3repE0EEENS1_47radix_sort_onesweep_sort_config_static_selectorELNS0_4arch9wavefront6targetE0EEEvSN_.uses_vcc, 0
	.set _ZN7rocprim17ROCPRIM_400000_NS6detail17trampoline_kernelINS0_14default_configENS1_35radix_sort_onesweep_config_selectorIjN6thrust23THRUST_200600_302600_NS5tupleIffNS6_9null_typeES8_S8_S8_S8_S8_S8_S8_EEEEZZNS1_29radix_sort_onesweep_iterationIS3_Lb0ENS6_6detail15normal_iteratorINS6_10device_ptrIjEEEESG_NSD_INSE_IS9_EEEESI_jNS0_19identity_decomposerENS1_16block_id_wrapperIjLb0EEEEE10hipError_tT1_PNSt15iterator_traitsISN_E10value_typeET2_T3_PNSO_IST_E10value_typeET4_T5_PSY_SZ_PNS1_23onesweep_lookback_stateEbbT6_jjT7_P12ihipStream_tbENKUlT_T0_SN_SS_E_clISG_SG_SI_SI_EEDaS16_S17_SN_SS_EUlS16_E_NS1_11comp_targetILNS1_3genE3ELNS1_11target_archE908ELNS1_3gpuE7ELNS1_3repE0EEENS1_47radix_sort_onesweep_sort_config_static_selectorELNS0_4arch9wavefront6targetE0EEEvSN_.uses_flat_scratch, 0
	.set _ZN7rocprim17ROCPRIM_400000_NS6detail17trampoline_kernelINS0_14default_configENS1_35radix_sort_onesweep_config_selectorIjN6thrust23THRUST_200600_302600_NS5tupleIffNS6_9null_typeES8_S8_S8_S8_S8_S8_S8_EEEEZZNS1_29radix_sort_onesweep_iterationIS3_Lb0ENS6_6detail15normal_iteratorINS6_10device_ptrIjEEEESG_NSD_INSE_IS9_EEEESI_jNS0_19identity_decomposerENS1_16block_id_wrapperIjLb0EEEEE10hipError_tT1_PNSt15iterator_traitsISN_E10value_typeET2_T3_PNSO_IST_E10value_typeET4_T5_PSY_SZ_PNS1_23onesweep_lookback_stateEbbT6_jjT7_P12ihipStream_tbENKUlT_T0_SN_SS_E_clISG_SG_SI_SI_EEDaS16_S17_SN_SS_EUlS16_E_NS1_11comp_targetILNS1_3genE3ELNS1_11target_archE908ELNS1_3gpuE7ELNS1_3repE0EEENS1_47radix_sort_onesweep_sort_config_static_selectorELNS0_4arch9wavefront6targetE0EEEvSN_.has_dyn_sized_stack, 0
	.set _ZN7rocprim17ROCPRIM_400000_NS6detail17trampoline_kernelINS0_14default_configENS1_35radix_sort_onesweep_config_selectorIjN6thrust23THRUST_200600_302600_NS5tupleIffNS6_9null_typeES8_S8_S8_S8_S8_S8_S8_EEEEZZNS1_29radix_sort_onesweep_iterationIS3_Lb0ENS6_6detail15normal_iteratorINS6_10device_ptrIjEEEESG_NSD_INSE_IS9_EEEESI_jNS0_19identity_decomposerENS1_16block_id_wrapperIjLb0EEEEE10hipError_tT1_PNSt15iterator_traitsISN_E10value_typeET2_T3_PNSO_IST_E10value_typeET4_T5_PSY_SZ_PNS1_23onesweep_lookback_stateEbbT6_jjT7_P12ihipStream_tbENKUlT_T0_SN_SS_E_clISG_SG_SI_SI_EEDaS16_S17_SN_SS_EUlS16_E_NS1_11comp_targetILNS1_3genE3ELNS1_11target_archE908ELNS1_3gpuE7ELNS1_3repE0EEENS1_47radix_sort_onesweep_sort_config_static_selectorELNS0_4arch9wavefront6targetE0EEEvSN_.has_recursion, 0
	.set _ZN7rocprim17ROCPRIM_400000_NS6detail17trampoline_kernelINS0_14default_configENS1_35radix_sort_onesweep_config_selectorIjN6thrust23THRUST_200600_302600_NS5tupleIffNS6_9null_typeES8_S8_S8_S8_S8_S8_S8_EEEEZZNS1_29radix_sort_onesweep_iterationIS3_Lb0ENS6_6detail15normal_iteratorINS6_10device_ptrIjEEEESG_NSD_INSE_IS9_EEEESI_jNS0_19identity_decomposerENS1_16block_id_wrapperIjLb0EEEEE10hipError_tT1_PNSt15iterator_traitsISN_E10value_typeET2_T3_PNSO_IST_E10value_typeET4_T5_PSY_SZ_PNS1_23onesweep_lookback_stateEbbT6_jjT7_P12ihipStream_tbENKUlT_T0_SN_SS_E_clISG_SG_SI_SI_EEDaS16_S17_SN_SS_EUlS16_E_NS1_11comp_targetILNS1_3genE3ELNS1_11target_archE908ELNS1_3gpuE7ELNS1_3repE0EEENS1_47radix_sort_onesweep_sort_config_static_selectorELNS0_4arch9wavefront6targetE0EEEvSN_.has_indirect_call, 0
	.section	.AMDGPU.csdata,"",@progbits
; Kernel info:
; codeLenInByte = 0
; TotalNumSgprs: 0
; NumVgprs: 0
; ScratchSize: 0
; MemoryBound: 0
; FloatMode: 240
; IeeeMode: 1
; LDSByteSize: 0 bytes/workgroup (compile time only)
; SGPRBlocks: 0
; VGPRBlocks: 0
; NumSGPRsForWavesPerEU: 1
; NumVGPRsForWavesPerEU: 1
; NamedBarCnt: 0
; Occupancy: 16
; WaveLimiterHint : 0
; COMPUTE_PGM_RSRC2:SCRATCH_EN: 0
; COMPUTE_PGM_RSRC2:USER_SGPR: 2
; COMPUTE_PGM_RSRC2:TRAP_HANDLER: 0
; COMPUTE_PGM_RSRC2:TGID_X_EN: 1
; COMPUTE_PGM_RSRC2:TGID_Y_EN: 0
; COMPUTE_PGM_RSRC2:TGID_Z_EN: 0
; COMPUTE_PGM_RSRC2:TIDIG_COMP_CNT: 0
	.section	.text._ZN7rocprim17ROCPRIM_400000_NS6detail17trampoline_kernelINS0_14default_configENS1_35radix_sort_onesweep_config_selectorIjN6thrust23THRUST_200600_302600_NS5tupleIffNS6_9null_typeES8_S8_S8_S8_S8_S8_S8_EEEEZZNS1_29radix_sort_onesweep_iterationIS3_Lb0ENS6_6detail15normal_iteratorINS6_10device_ptrIjEEEESG_NSD_INSE_IS9_EEEESI_jNS0_19identity_decomposerENS1_16block_id_wrapperIjLb0EEEEE10hipError_tT1_PNSt15iterator_traitsISN_E10value_typeET2_T3_PNSO_IST_E10value_typeET4_T5_PSY_SZ_PNS1_23onesweep_lookback_stateEbbT6_jjT7_P12ihipStream_tbENKUlT_T0_SN_SS_E_clISG_SG_SI_SI_EEDaS16_S17_SN_SS_EUlS16_E_NS1_11comp_targetILNS1_3genE10ELNS1_11target_archE1201ELNS1_3gpuE5ELNS1_3repE0EEENS1_47radix_sort_onesweep_sort_config_static_selectorELNS0_4arch9wavefront6targetE0EEEvSN_,"axG",@progbits,_ZN7rocprim17ROCPRIM_400000_NS6detail17trampoline_kernelINS0_14default_configENS1_35radix_sort_onesweep_config_selectorIjN6thrust23THRUST_200600_302600_NS5tupleIffNS6_9null_typeES8_S8_S8_S8_S8_S8_S8_EEEEZZNS1_29radix_sort_onesweep_iterationIS3_Lb0ENS6_6detail15normal_iteratorINS6_10device_ptrIjEEEESG_NSD_INSE_IS9_EEEESI_jNS0_19identity_decomposerENS1_16block_id_wrapperIjLb0EEEEE10hipError_tT1_PNSt15iterator_traitsISN_E10value_typeET2_T3_PNSO_IST_E10value_typeET4_T5_PSY_SZ_PNS1_23onesweep_lookback_stateEbbT6_jjT7_P12ihipStream_tbENKUlT_T0_SN_SS_E_clISG_SG_SI_SI_EEDaS16_S17_SN_SS_EUlS16_E_NS1_11comp_targetILNS1_3genE10ELNS1_11target_archE1201ELNS1_3gpuE5ELNS1_3repE0EEENS1_47radix_sort_onesweep_sort_config_static_selectorELNS0_4arch9wavefront6targetE0EEEvSN_,comdat
	.protected	_ZN7rocprim17ROCPRIM_400000_NS6detail17trampoline_kernelINS0_14default_configENS1_35radix_sort_onesweep_config_selectorIjN6thrust23THRUST_200600_302600_NS5tupleIffNS6_9null_typeES8_S8_S8_S8_S8_S8_S8_EEEEZZNS1_29radix_sort_onesweep_iterationIS3_Lb0ENS6_6detail15normal_iteratorINS6_10device_ptrIjEEEESG_NSD_INSE_IS9_EEEESI_jNS0_19identity_decomposerENS1_16block_id_wrapperIjLb0EEEEE10hipError_tT1_PNSt15iterator_traitsISN_E10value_typeET2_T3_PNSO_IST_E10value_typeET4_T5_PSY_SZ_PNS1_23onesweep_lookback_stateEbbT6_jjT7_P12ihipStream_tbENKUlT_T0_SN_SS_E_clISG_SG_SI_SI_EEDaS16_S17_SN_SS_EUlS16_E_NS1_11comp_targetILNS1_3genE10ELNS1_11target_archE1201ELNS1_3gpuE5ELNS1_3repE0EEENS1_47radix_sort_onesweep_sort_config_static_selectorELNS0_4arch9wavefront6targetE0EEEvSN_ ; -- Begin function _ZN7rocprim17ROCPRIM_400000_NS6detail17trampoline_kernelINS0_14default_configENS1_35radix_sort_onesweep_config_selectorIjN6thrust23THRUST_200600_302600_NS5tupleIffNS6_9null_typeES8_S8_S8_S8_S8_S8_S8_EEEEZZNS1_29radix_sort_onesweep_iterationIS3_Lb0ENS6_6detail15normal_iteratorINS6_10device_ptrIjEEEESG_NSD_INSE_IS9_EEEESI_jNS0_19identity_decomposerENS1_16block_id_wrapperIjLb0EEEEE10hipError_tT1_PNSt15iterator_traitsISN_E10value_typeET2_T3_PNSO_IST_E10value_typeET4_T5_PSY_SZ_PNS1_23onesweep_lookback_stateEbbT6_jjT7_P12ihipStream_tbENKUlT_T0_SN_SS_E_clISG_SG_SI_SI_EEDaS16_S17_SN_SS_EUlS16_E_NS1_11comp_targetILNS1_3genE10ELNS1_11target_archE1201ELNS1_3gpuE5ELNS1_3repE0EEENS1_47radix_sort_onesweep_sort_config_static_selectorELNS0_4arch9wavefront6targetE0EEEvSN_
	.globl	_ZN7rocprim17ROCPRIM_400000_NS6detail17trampoline_kernelINS0_14default_configENS1_35radix_sort_onesweep_config_selectorIjN6thrust23THRUST_200600_302600_NS5tupleIffNS6_9null_typeES8_S8_S8_S8_S8_S8_S8_EEEEZZNS1_29radix_sort_onesweep_iterationIS3_Lb0ENS6_6detail15normal_iteratorINS6_10device_ptrIjEEEESG_NSD_INSE_IS9_EEEESI_jNS0_19identity_decomposerENS1_16block_id_wrapperIjLb0EEEEE10hipError_tT1_PNSt15iterator_traitsISN_E10value_typeET2_T3_PNSO_IST_E10value_typeET4_T5_PSY_SZ_PNS1_23onesweep_lookback_stateEbbT6_jjT7_P12ihipStream_tbENKUlT_T0_SN_SS_E_clISG_SG_SI_SI_EEDaS16_S17_SN_SS_EUlS16_E_NS1_11comp_targetILNS1_3genE10ELNS1_11target_archE1201ELNS1_3gpuE5ELNS1_3repE0EEENS1_47radix_sort_onesweep_sort_config_static_selectorELNS0_4arch9wavefront6targetE0EEEvSN_
	.p2align	8
	.type	_ZN7rocprim17ROCPRIM_400000_NS6detail17trampoline_kernelINS0_14default_configENS1_35radix_sort_onesweep_config_selectorIjN6thrust23THRUST_200600_302600_NS5tupleIffNS6_9null_typeES8_S8_S8_S8_S8_S8_S8_EEEEZZNS1_29radix_sort_onesweep_iterationIS3_Lb0ENS6_6detail15normal_iteratorINS6_10device_ptrIjEEEESG_NSD_INSE_IS9_EEEESI_jNS0_19identity_decomposerENS1_16block_id_wrapperIjLb0EEEEE10hipError_tT1_PNSt15iterator_traitsISN_E10value_typeET2_T3_PNSO_IST_E10value_typeET4_T5_PSY_SZ_PNS1_23onesweep_lookback_stateEbbT6_jjT7_P12ihipStream_tbENKUlT_T0_SN_SS_E_clISG_SG_SI_SI_EEDaS16_S17_SN_SS_EUlS16_E_NS1_11comp_targetILNS1_3genE10ELNS1_11target_archE1201ELNS1_3gpuE5ELNS1_3repE0EEENS1_47radix_sort_onesweep_sort_config_static_selectorELNS0_4arch9wavefront6targetE0EEEvSN_,@function
_ZN7rocprim17ROCPRIM_400000_NS6detail17trampoline_kernelINS0_14default_configENS1_35radix_sort_onesweep_config_selectorIjN6thrust23THRUST_200600_302600_NS5tupleIffNS6_9null_typeES8_S8_S8_S8_S8_S8_S8_EEEEZZNS1_29radix_sort_onesweep_iterationIS3_Lb0ENS6_6detail15normal_iteratorINS6_10device_ptrIjEEEESG_NSD_INSE_IS9_EEEESI_jNS0_19identity_decomposerENS1_16block_id_wrapperIjLb0EEEEE10hipError_tT1_PNSt15iterator_traitsISN_E10value_typeET2_T3_PNSO_IST_E10value_typeET4_T5_PSY_SZ_PNS1_23onesweep_lookback_stateEbbT6_jjT7_P12ihipStream_tbENKUlT_T0_SN_SS_E_clISG_SG_SI_SI_EEDaS16_S17_SN_SS_EUlS16_E_NS1_11comp_targetILNS1_3genE10ELNS1_11target_archE1201ELNS1_3gpuE5ELNS1_3repE0EEENS1_47radix_sort_onesweep_sort_config_static_selectorELNS0_4arch9wavefront6targetE0EEEvSN_: ; @_ZN7rocprim17ROCPRIM_400000_NS6detail17trampoline_kernelINS0_14default_configENS1_35radix_sort_onesweep_config_selectorIjN6thrust23THRUST_200600_302600_NS5tupleIffNS6_9null_typeES8_S8_S8_S8_S8_S8_S8_EEEEZZNS1_29radix_sort_onesweep_iterationIS3_Lb0ENS6_6detail15normal_iteratorINS6_10device_ptrIjEEEESG_NSD_INSE_IS9_EEEESI_jNS0_19identity_decomposerENS1_16block_id_wrapperIjLb0EEEEE10hipError_tT1_PNSt15iterator_traitsISN_E10value_typeET2_T3_PNSO_IST_E10value_typeET4_T5_PSY_SZ_PNS1_23onesweep_lookback_stateEbbT6_jjT7_P12ihipStream_tbENKUlT_T0_SN_SS_E_clISG_SG_SI_SI_EEDaS16_S17_SN_SS_EUlS16_E_NS1_11comp_targetILNS1_3genE10ELNS1_11target_archE1201ELNS1_3gpuE5ELNS1_3repE0EEENS1_47radix_sort_onesweep_sort_config_static_selectorELNS0_4arch9wavefront6targetE0EEEvSN_
; %bb.0:
	.section	.rodata,"a",@progbits
	.p2align	6, 0x0
	.amdhsa_kernel _ZN7rocprim17ROCPRIM_400000_NS6detail17trampoline_kernelINS0_14default_configENS1_35radix_sort_onesweep_config_selectorIjN6thrust23THRUST_200600_302600_NS5tupleIffNS6_9null_typeES8_S8_S8_S8_S8_S8_S8_EEEEZZNS1_29radix_sort_onesweep_iterationIS3_Lb0ENS6_6detail15normal_iteratorINS6_10device_ptrIjEEEESG_NSD_INSE_IS9_EEEESI_jNS0_19identity_decomposerENS1_16block_id_wrapperIjLb0EEEEE10hipError_tT1_PNSt15iterator_traitsISN_E10value_typeET2_T3_PNSO_IST_E10value_typeET4_T5_PSY_SZ_PNS1_23onesweep_lookback_stateEbbT6_jjT7_P12ihipStream_tbENKUlT_T0_SN_SS_E_clISG_SG_SI_SI_EEDaS16_S17_SN_SS_EUlS16_E_NS1_11comp_targetILNS1_3genE10ELNS1_11target_archE1201ELNS1_3gpuE5ELNS1_3repE0EEENS1_47radix_sort_onesweep_sort_config_static_selectorELNS0_4arch9wavefront6targetE0EEEvSN_
		.amdhsa_group_segment_fixed_size 0
		.amdhsa_private_segment_fixed_size 0
		.amdhsa_kernarg_size 88
		.amdhsa_user_sgpr_count 2
		.amdhsa_user_sgpr_dispatch_ptr 0
		.amdhsa_user_sgpr_queue_ptr 0
		.amdhsa_user_sgpr_kernarg_segment_ptr 1
		.amdhsa_user_sgpr_dispatch_id 0
		.amdhsa_user_sgpr_kernarg_preload_length 0
		.amdhsa_user_sgpr_kernarg_preload_offset 0
		.amdhsa_user_sgpr_private_segment_size 0
		.amdhsa_wavefront_size32 1
		.amdhsa_uses_dynamic_stack 0
		.amdhsa_enable_private_segment 0
		.amdhsa_system_sgpr_workgroup_id_x 1
		.amdhsa_system_sgpr_workgroup_id_y 0
		.amdhsa_system_sgpr_workgroup_id_z 0
		.amdhsa_system_sgpr_workgroup_info 0
		.amdhsa_system_vgpr_workitem_id 0
		.amdhsa_next_free_vgpr 1
		.amdhsa_next_free_sgpr 1
		.amdhsa_named_barrier_count 0
		.amdhsa_reserve_vcc 0
		.amdhsa_float_round_mode_32 0
		.amdhsa_float_round_mode_16_64 0
		.amdhsa_float_denorm_mode_32 3
		.amdhsa_float_denorm_mode_16_64 3
		.amdhsa_fp16_overflow 0
		.amdhsa_memory_ordered 1
		.amdhsa_forward_progress 1
		.amdhsa_inst_pref_size 0
		.amdhsa_round_robin_scheduling 0
		.amdhsa_exception_fp_ieee_invalid_op 0
		.amdhsa_exception_fp_denorm_src 0
		.amdhsa_exception_fp_ieee_div_zero 0
		.amdhsa_exception_fp_ieee_overflow 0
		.amdhsa_exception_fp_ieee_underflow 0
		.amdhsa_exception_fp_ieee_inexact 0
		.amdhsa_exception_int_div_zero 0
	.end_amdhsa_kernel
	.section	.text._ZN7rocprim17ROCPRIM_400000_NS6detail17trampoline_kernelINS0_14default_configENS1_35radix_sort_onesweep_config_selectorIjN6thrust23THRUST_200600_302600_NS5tupleIffNS6_9null_typeES8_S8_S8_S8_S8_S8_S8_EEEEZZNS1_29radix_sort_onesweep_iterationIS3_Lb0ENS6_6detail15normal_iteratorINS6_10device_ptrIjEEEESG_NSD_INSE_IS9_EEEESI_jNS0_19identity_decomposerENS1_16block_id_wrapperIjLb0EEEEE10hipError_tT1_PNSt15iterator_traitsISN_E10value_typeET2_T3_PNSO_IST_E10value_typeET4_T5_PSY_SZ_PNS1_23onesweep_lookback_stateEbbT6_jjT7_P12ihipStream_tbENKUlT_T0_SN_SS_E_clISG_SG_SI_SI_EEDaS16_S17_SN_SS_EUlS16_E_NS1_11comp_targetILNS1_3genE10ELNS1_11target_archE1201ELNS1_3gpuE5ELNS1_3repE0EEENS1_47radix_sort_onesweep_sort_config_static_selectorELNS0_4arch9wavefront6targetE0EEEvSN_,"axG",@progbits,_ZN7rocprim17ROCPRIM_400000_NS6detail17trampoline_kernelINS0_14default_configENS1_35radix_sort_onesweep_config_selectorIjN6thrust23THRUST_200600_302600_NS5tupleIffNS6_9null_typeES8_S8_S8_S8_S8_S8_S8_EEEEZZNS1_29radix_sort_onesweep_iterationIS3_Lb0ENS6_6detail15normal_iteratorINS6_10device_ptrIjEEEESG_NSD_INSE_IS9_EEEESI_jNS0_19identity_decomposerENS1_16block_id_wrapperIjLb0EEEEE10hipError_tT1_PNSt15iterator_traitsISN_E10value_typeET2_T3_PNSO_IST_E10value_typeET4_T5_PSY_SZ_PNS1_23onesweep_lookback_stateEbbT6_jjT7_P12ihipStream_tbENKUlT_T0_SN_SS_E_clISG_SG_SI_SI_EEDaS16_S17_SN_SS_EUlS16_E_NS1_11comp_targetILNS1_3genE10ELNS1_11target_archE1201ELNS1_3gpuE5ELNS1_3repE0EEENS1_47radix_sort_onesweep_sort_config_static_selectorELNS0_4arch9wavefront6targetE0EEEvSN_,comdat
.Lfunc_end208:
	.size	_ZN7rocprim17ROCPRIM_400000_NS6detail17trampoline_kernelINS0_14default_configENS1_35radix_sort_onesweep_config_selectorIjN6thrust23THRUST_200600_302600_NS5tupleIffNS6_9null_typeES8_S8_S8_S8_S8_S8_S8_EEEEZZNS1_29radix_sort_onesweep_iterationIS3_Lb0ENS6_6detail15normal_iteratorINS6_10device_ptrIjEEEESG_NSD_INSE_IS9_EEEESI_jNS0_19identity_decomposerENS1_16block_id_wrapperIjLb0EEEEE10hipError_tT1_PNSt15iterator_traitsISN_E10value_typeET2_T3_PNSO_IST_E10value_typeET4_T5_PSY_SZ_PNS1_23onesweep_lookback_stateEbbT6_jjT7_P12ihipStream_tbENKUlT_T0_SN_SS_E_clISG_SG_SI_SI_EEDaS16_S17_SN_SS_EUlS16_E_NS1_11comp_targetILNS1_3genE10ELNS1_11target_archE1201ELNS1_3gpuE5ELNS1_3repE0EEENS1_47radix_sort_onesweep_sort_config_static_selectorELNS0_4arch9wavefront6targetE0EEEvSN_, .Lfunc_end208-_ZN7rocprim17ROCPRIM_400000_NS6detail17trampoline_kernelINS0_14default_configENS1_35radix_sort_onesweep_config_selectorIjN6thrust23THRUST_200600_302600_NS5tupleIffNS6_9null_typeES8_S8_S8_S8_S8_S8_S8_EEEEZZNS1_29radix_sort_onesweep_iterationIS3_Lb0ENS6_6detail15normal_iteratorINS6_10device_ptrIjEEEESG_NSD_INSE_IS9_EEEESI_jNS0_19identity_decomposerENS1_16block_id_wrapperIjLb0EEEEE10hipError_tT1_PNSt15iterator_traitsISN_E10value_typeET2_T3_PNSO_IST_E10value_typeET4_T5_PSY_SZ_PNS1_23onesweep_lookback_stateEbbT6_jjT7_P12ihipStream_tbENKUlT_T0_SN_SS_E_clISG_SG_SI_SI_EEDaS16_S17_SN_SS_EUlS16_E_NS1_11comp_targetILNS1_3genE10ELNS1_11target_archE1201ELNS1_3gpuE5ELNS1_3repE0EEENS1_47radix_sort_onesweep_sort_config_static_selectorELNS0_4arch9wavefront6targetE0EEEvSN_
                                        ; -- End function
	.set _ZN7rocprim17ROCPRIM_400000_NS6detail17trampoline_kernelINS0_14default_configENS1_35radix_sort_onesweep_config_selectorIjN6thrust23THRUST_200600_302600_NS5tupleIffNS6_9null_typeES8_S8_S8_S8_S8_S8_S8_EEEEZZNS1_29radix_sort_onesweep_iterationIS3_Lb0ENS6_6detail15normal_iteratorINS6_10device_ptrIjEEEESG_NSD_INSE_IS9_EEEESI_jNS0_19identity_decomposerENS1_16block_id_wrapperIjLb0EEEEE10hipError_tT1_PNSt15iterator_traitsISN_E10value_typeET2_T3_PNSO_IST_E10value_typeET4_T5_PSY_SZ_PNS1_23onesweep_lookback_stateEbbT6_jjT7_P12ihipStream_tbENKUlT_T0_SN_SS_E_clISG_SG_SI_SI_EEDaS16_S17_SN_SS_EUlS16_E_NS1_11comp_targetILNS1_3genE10ELNS1_11target_archE1201ELNS1_3gpuE5ELNS1_3repE0EEENS1_47radix_sort_onesweep_sort_config_static_selectorELNS0_4arch9wavefront6targetE0EEEvSN_.num_vgpr, 0
	.set _ZN7rocprim17ROCPRIM_400000_NS6detail17trampoline_kernelINS0_14default_configENS1_35radix_sort_onesweep_config_selectorIjN6thrust23THRUST_200600_302600_NS5tupleIffNS6_9null_typeES8_S8_S8_S8_S8_S8_S8_EEEEZZNS1_29radix_sort_onesweep_iterationIS3_Lb0ENS6_6detail15normal_iteratorINS6_10device_ptrIjEEEESG_NSD_INSE_IS9_EEEESI_jNS0_19identity_decomposerENS1_16block_id_wrapperIjLb0EEEEE10hipError_tT1_PNSt15iterator_traitsISN_E10value_typeET2_T3_PNSO_IST_E10value_typeET4_T5_PSY_SZ_PNS1_23onesweep_lookback_stateEbbT6_jjT7_P12ihipStream_tbENKUlT_T0_SN_SS_E_clISG_SG_SI_SI_EEDaS16_S17_SN_SS_EUlS16_E_NS1_11comp_targetILNS1_3genE10ELNS1_11target_archE1201ELNS1_3gpuE5ELNS1_3repE0EEENS1_47radix_sort_onesweep_sort_config_static_selectorELNS0_4arch9wavefront6targetE0EEEvSN_.num_agpr, 0
	.set _ZN7rocprim17ROCPRIM_400000_NS6detail17trampoline_kernelINS0_14default_configENS1_35radix_sort_onesweep_config_selectorIjN6thrust23THRUST_200600_302600_NS5tupleIffNS6_9null_typeES8_S8_S8_S8_S8_S8_S8_EEEEZZNS1_29radix_sort_onesweep_iterationIS3_Lb0ENS6_6detail15normal_iteratorINS6_10device_ptrIjEEEESG_NSD_INSE_IS9_EEEESI_jNS0_19identity_decomposerENS1_16block_id_wrapperIjLb0EEEEE10hipError_tT1_PNSt15iterator_traitsISN_E10value_typeET2_T3_PNSO_IST_E10value_typeET4_T5_PSY_SZ_PNS1_23onesweep_lookback_stateEbbT6_jjT7_P12ihipStream_tbENKUlT_T0_SN_SS_E_clISG_SG_SI_SI_EEDaS16_S17_SN_SS_EUlS16_E_NS1_11comp_targetILNS1_3genE10ELNS1_11target_archE1201ELNS1_3gpuE5ELNS1_3repE0EEENS1_47radix_sort_onesweep_sort_config_static_selectorELNS0_4arch9wavefront6targetE0EEEvSN_.numbered_sgpr, 0
	.set _ZN7rocprim17ROCPRIM_400000_NS6detail17trampoline_kernelINS0_14default_configENS1_35radix_sort_onesweep_config_selectorIjN6thrust23THRUST_200600_302600_NS5tupleIffNS6_9null_typeES8_S8_S8_S8_S8_S8_S8_EEEEZZNS1_29radix_sort_onesweep_iterationIS3_Lb0ENS6_6detail15normal_iteratorINS6_10device_ptrIjEEEESG_NSD_INSE_IS9_EEEESI_jNS0_19identity_decomposerENS1_16block_id_wrapperIjLb0EEEEE10hipError_tT1_PNSt15iterator_traitsISN_E10value_typeET2_T3_PNSO_IST_E10value_typeET4_T5_PSY_SZ_PNS1_23onesweep_lookback_stateEbbT6_jjT7_P12ihipStream_tbENKUlT_T0_SN_SS_E_clISG_SG_SI_SI_EEDaS16_S17_SN_SS_EUlS16_E_NS1_11comp_targetILNS1_3genE10ELNS1_11target_archE1201ELNS1_3gpuE5ELNS1_3repE0EEENS1_47radix_sort_onesweep_sort_config_static_selectorELNS0_4arch9wavefront6targetE0EEEvSN_.num_named_barrier, 0
	.set _ZN7rocprim17ROCPRIM_400000_NS6detail17trampoline_kernelINS0_14default_configENS1_35radix_sort_onesweep_config_selectorIjN6thrust23THRUST_200600_302600_NS5tupleIffNS6_9null_typeES8_S8_S8_S8_S8_S8_S8_EEEEZZNS1_29radix_sort_onesweep_iterationIS3_Lb0ENS6_6detail15normal_iteratorINS6_10device_ptrIjEEEESG_NSD_INSE_IS9_EEEESI_jNS0_19identity_decomposerENS1_16block_id_wrapperIjLb0EEEEE10hipError_tT1_PNSt15iterator_traitsISN_E10value_typeET2_T3_PNSO_IST_E10value_typeET4_T5_PSY_SZ_PNS1_23onesweep_lookback_stateEbbT6_jjT7_P12ihipStream_tbENKUlT_T0_SN_SS_E_clISG_SG_SI_SI_EEDaS16_S17_SN_SS_EUlS16_E_NS1_11comp_targetILNS1_3genE10ELNS1_11target_archE1201ELNS1_3gpuE5ELNS1_3repE0EEENS1_47radix_sort_onesweep_sort_config_static_selectorELNS0_4arch9wavefront6targetE0EEEvSN_.private_seg_size, 0
	.set _ZN7rocprim17ROCPRIM_400000_NS6detail17trampoline_kernelINS0_14default_configENS1_35radix_sort_onesweep_config_selectorIjN6thrust23THRUST_200600_302600_NS5tupleIffNS6_9null_typeES8_S8_S8_S8_S8_S8_S8_EEEEZZNS1_29radix_sort_onesweep_iterationIS3_Lb0ENS6_6detail15normal_iteratorINS6_10device_ptrIjEEEESG_NSD_INSE_IS9_EEEESI_jNS0_19identity_decomposerENS1_16block_id_wrapperIjLb0EEEEE10hipError_tT1_PNSt15iterator_traitsISN_E10value_typeET2_T3_PNSO_IST_E10value_typeET4_T5_PSY_SZ_PNS1_23onesweep_lookback_stateEbbT6_jjT7_P12ihipStream_tbENKUlT_T0_SN_SS_E_clISG_SG_SI_SI_EEDaS16_S17_SN_SS_EUlS16_E_NS1_11comp_targetILNS1_3genE10ELNS1_11target_archE1201ELNS1_3gpuE5ELNS1_3repE0EEENS1_47radix_sort_onesweep_sort_config_static_selectorELNS0_4arch9wavefront6targetE0EEEvSN_.uses_vcc, 0
	.set _ZN7rocprim17ROCPRIM_400000_NS6detail17trampoline_kernelINS0_14default_configENS1_35radix_sort_onesweep_config_selectorIjN6thrust23THRUST_200600_302600_NS5tupleIffNS6_9null_typeES8_S8_S8_S8_S8_S8_S8_EEEEZZNS1_29radix_sort_onesweep_iterationIS3_Lb0ENS6_6detail15normal_iteratorINS6_10device_ptrIjEEEESG_NSD_INSE_IS9_EEEESI_jNS0_19identity_decomposerENS1_16block_id_wrapperIjLb0EEEEE10hipError_tT1_PNSt15iterator_traitsISN_E10value_typeET2_T3_PNSO_IST_E10value_typeET4_T5_PSY_SZ_PNS1_23onesweep_lookback_stateEbbT6_jjT7_P12ihipStream_tbENKUlT_T0_SN_SS_E_clISG_SG_SI_SI_EEDaS16_S17_SN_SS_EUlS16_E_NS1_11comp_targetILNS1_3genE10ELNS1_11target_archE1201ELNS1_3gpuE5ELNS1_3repE0EEENS1_47radix_sort_onesweep_sort_config_static_selectorELNS0_4arch9wavefront6targetE0EEEvSN_.uses_flat_scratch, 0
	.set _ZN7rocprim17ROCPRIM_400000_NS6detail17trampoline_kernelINS0_14default_configENS1_35radix_sort_onesweep_config_selectorIjN6thrust23THRUST_200600_302600_NS5tupleIffNS6_9null_typeES8_S8_S8_S8_S8_S8_S8_EEEEZZNS1_29radix_sort_onesweep_iterationIS3_Lb0ENS6_6detail15normal_iteratorINS6_10device_ptrIjEEEESG_NSD_INSE_IS9_EEEESI_jNS0_19identity_decomposerENS1_16block_id_wrapperIjLb0EEEEE10hipError_tT1_PNSt15iterator_traitsISN_E10value_typeET2_T3_PNSO_IST_E10value_typeET4_T5_PSY_SZ_PNS1_23onesweep_lookback_stateEbbT6_jjT7_P12ihipStream_tbENKUlT_T0_SN_SS_E_clISG_SG_SI_SI_EEDaS16_S17_SN_SS_EUlS16_E_NS1_11comp_targetILNS1_3genE10ELNS1_11target_archE1201ELNS1_3gpuE5ELNS1_3repE0EEENS1_47radix_sort_onesweep_sort_config_static_selectorELNS0_4arch9wavefront6targetE0EEEvSN_.has_dyn_sized_stack, 0
	.set _ZN7rocprim17ROCPRIM_400000_NS6detail17trampoline_kernelINS0_14default_configENS1_35radix_sort_onesweep_config_selectorIjN6thrust23THRUST_200600_302600_NS5tupleIffNS6_9null_typeES8_S8_S8_S8_S8_S8_S8_EEEEZZNS1_29radix_sort_onesweep_iterationIS3_Lb0ENS6_6detail15normal_iteratorINS6_10device_ptrIjEEEESG_NSD_INSE_IS9_EEEESI_jNS0_19identity_decomposerENS1_16block_id_wrapperIjLb0EEEEE10hipError_tT1_PNSt15iterator_traitsISN_E10value_typeET2_T3_PNSO_IST_E10value_typeET4_T5_PSY_SZ_PNS1_23onesweep_lookback_stateEbbT6_jjT7_P12ihipStream_tbENKUlT_T0_SN_SS_E_clISG_SG_SI_SI_EEDaS16_S17_SN_SS_EUlS16_E_NS1_11comp_targetILNS1_3genE10ELNS1_11target_archE1201ELNS1_3gpuE5ELNS1_3repE0EEENS1_47radix_sort_onesweep_sort_config_static_selectorELNS0_4arch9wavefront6targetE0EEEvSN_.has_recursion, 0
	.set _ZN7rocprim17ROCPRIM_400000_NS6detail17trampoline_kernelINS0_14default_configENS1_35radix_sort_onesweep_config_selectorIjN6thrust23THRUST_200600_302600_NS5tupleIffNS6_9null_typeES8_S8_S8_S8_S8_S8_S8_EEEEZZNS1_29radix_sort_onesweep_iterationIS3_Lb0ENS6_6detail15normal_iteratorINS6_10device_ptrIjEEEESG_NSD_INSE_IS9_EEEESI_jNS0_19identity_decomposerENS1_16block_id_wrapperIjLb0EEEEE10hipError_tT1_PNSt15iterator_traitsISN_E10value_typeET2_T3_PNSO_IST_E10value_typeET4_T5_PSY_SZ_PNS1_23onesweep_lookback_stateEbbT6_jjT7_P12ihipStream_tbENKUlT_T0_SN_SS_E_clISG_SG_SI_SI_EEDaS16_S17_SN_SS_EUlS16_E_NS1_11comp_targetILNS1_3genE10ELNS1_11target_archE1201ELNS1_3gpuE5ELNS1_3repE0EEENS1_47radix_sort_onesweep_sort_config_static_selectorELNS0_4arch9wavefront6targetE0EEEvSN_.has_indirect_call, 0
	.section	.AMDGPU.csdata,"",@progbits
; Kernel info:
; codeLenInByte = 0
; TotalNumSgprs: 0
; NumVgprs: 0
; ScratchSize: 0
; MemoryBound: 0
; FloatMode: 240
; IeeeMode: 1
; LDSByteSize: 0 bytes/workgroup (compile time only)
; SGPRBlocks: 0
; VGPRBlocks: 0
; NumSGPRsForWavesPerEU: 1
; NumVGPRsForWavesPerEU: 1
; NamedBarCnt: 0
; Occupancy: 16
; WaveLimiterHint : 0
; COMPUTE_PGM_RSRC2:SCRATCH_EN: 0
; COMPUTE_PGM_RSRC2:USER_SGPR: 2
; COMPUTE_PGM_RSRC2:TRAP_HANDLER: 0
; COMPUTE_PGM_RSRC2:TGID_X_EN: 1
; COMPUTE_PGM_RSRC2:TGID_Y_EN: 0
; COMPUTE_PGM_RSRC2:TGID_Z_EN: 0
; COMPUTE_PGM_RSRC2:TIDIG_COMP_CNT: 0
	.section	.text._ZN7rocprim17ROCPRIM_400000_NS6detail17trampoline_kernelINS0_14default_configENS1_35radix_sort_onesweep_config_selectorIjN6thrust23THRUST_200600_302600_NS5tupleIffNS6_9null_typeES8_S8_S8_S8_S8_S8_S8_EEEEZZNS1_29radix_sort_onesweep_iterationIS3_Lb0ENS6_6detail15normal_iteratorINS6_10device_ptrIjEEEESG_NSD_INSE_IS9_EEEESI_jNS0_19identity_decomposerENS1_16block_id_wrapperIjLb0EEEEE10hipError_tT1_PNSt15iterator_traitsISN_E10value_typeET2_T3_PNSO_IST_E10value_typeET4_T5_PSY_SZ_PNS1_23onesweep_lookback_stateEbbT6_jjT7_P12ihipStream_tbENKUlT_T0_SN_SS_E_clISG_SG_SI_SI_EEDaS16_S17_SN_SS_EUlS16_E_NS1_11comp_targetILNS1_3genE9ELNS1_11target_archE1100ELNS1_3gpuE3ELNS1_3repE0EEENS1_47radix_sort_onesweep_sort_config_static_selectorELNS0_4arch9wavefront6targetE0EEEvSN_,"axG",@progbits,_ZN7rocprim17ROCPRIM_400000_NS6detail17trampoline_kernelINS0_14default_configENS1_35radix_sort_onesweep_config_selectorIjN6thrust23THRUST_200600_302600_NS5tupleIffNS6_9null_typeES8_S8_S8_S8_S8_S8_S8_EEEEZZNS1_29radix_sort_onesweep_iterationIS3_Lb0ENS6_6detail15normal_iteratorINS6_10device_ptrIjEEEESG_NSD_INSE_IS9_EEEESI_jNS0_19identity_decomposerENS1_16block_id_wrapperIjLb0EEEEE10hipError_tT1_PNSt15iterator_traitsISN_E10value_typeET2_T3_PNSO_IST_E10value_typeET4_T5_PSY_SZ_PNS1_23onesweep_lookback_stateEbbT6_jjT7_P12ihipStream_tbENKUlT_T0_SN_SS_E_clISG_SG_SI_SI_EEDaS16_S17_SN_SS_EUlS16_E_NS1_11comp_targetILNS1_3genE9ELNS1_11target_archE1100ELNS1_3gpuE3ELNS1_3repE0EEENS1_47radix_sort_onesweep_sort_config_static_selectorELNS0_4arch9wavefront6targetE0EEEvSN_,comdat
	.protected	_ZN7rocprim17ROCPRIM_400000_NS6detail17trampoline_kernelINS0_14default_configENS1_35radix_sort_onesweep_config_selectorIjN6thrust23THRUST_200600_302600_NS5tupleIffNS6_9null_typeES8_S8_S8_S8_S8_S8_S8_EEEEZZNS1_29radix_sort_onesweep_iterationIS3_Lb0ENS6_6detail15normal_iteratorINS6_10device_ptrIjEEEESG_NSD_INSE_IS9_EEEESI_jNS0_19identity_decomposerENS1_16block_id_wrapperIjLb0EEEEE10hipError_tT1_PNSt15iterator_traitsISN_E10value_typeET2_T3_PNSO_IST_E10value_typeET4_T5_PSY_SZ_PNS1_23onesweep_lookback_stateEbbT6_jjT7_P12ihipStream_tbENKUlT_T0_SN_SS_E_clISG_SG_SI_SI_EEDaS16_S17_SN_SS_EUlS16_E_NS1_11comp_targetILNS1_3genE9ELNS1_11target_archE1100ELNS1_3gpuE3ELNS1_3repE0EEENS1_47radix_sort_onesweep_sort_config_static_selectorELNS0_4arch9wavefront6targetE0EEEvSN_ ; -- Begin function _ZN7rocprim17ROCPRIM_400000_NS6detail17trampoline_kernelINS0_14default_configENS1_35radix_sort_onesweep_config_selectorIjN6thrust23THRUST_200600_302600_NS5tupleIffNS6_9null_typeES8_S8_S8_S8_S8_S8_S8_EEEEZZNS1_29radix_sort_onesweep_iterationIS3_Lb0ENS6_6detail15normal_iteratorINS6_10device_ptrIjEEEESG_NSD_INSE_IS9_EEEESI_jNS0_19identity_decomposerENS1_16block_id_wrapperIjLb0EEEEE10hipError_tT1_PNSt15iterator_traitsISN_E10value_typeET2_T3_PNSO_IST_E10value_typeET4_T5_PSY_SZ_PNS1_23onesweep_lookback_stateEbbT6_jjT7_P12ihipStream_tbENKUlT_T0_SN_SS_E_clISG_SG_SI_SI_EEDaS16_S17_SN_SS_EUlS16_E_NS1_11comp_targetILNS1_3genE9ELNS1_11target_archE1100ELNS1_3gpuE3ELNS1_3repE0EEENS1_47radix_sort_onesweep_sort_config_static_selectorELNS0_4arch9wavefront6targetE0EEEvSN_
	.globl	_ZN7rocprim17ROCPRIM_400000_NS6detail17trampoline_kernelINS0_14default_configENS1_35radix_sort_onesweep_config_selectorIjN6thrust23THRUST_200600_302600_NS5tupleIffNS6_9null_typeES8_S8_S8_S8_S8_S8_S8_EEEEZZNS1_29radix_sort_onesweep_iterationIS3_Lb0ENS6_6detail15normal_iteratorINS6_10device_ptrIjEEEESG_NSD_INSE_IS9_EEEESI_jNS0_19identity_decomposerENS1_16block_id_wrapperIjLb0EEEEE10hipError_tT1_PNSt15iterator_traitsISN_E10value_typeET2_T3_PNSO_IST_E10value_typeET4_T5_PSY_SZ_PNS1_23onesweep_lookback_stateEbbT6_jjT7_P12ihipStream_tbENKUlT_T0_SN_SS_E_clISG_SG_SI_SI_EEDaS16_S17_SN_SS_EUlS16_E_NS1_11comp_targetILNS1_3genE9ELNS1_11target_archE1100ELNS1_3gpuE3ELNS1_3repE0EEENS1_47radix_sort_onesweep_sort_config_static_selectorELNS0_4arch9wavefront6targetE0EEEvSN_
	.p2align	8
	.type	_ZN7rocprim17ROCPRIM_400000_NS6detail17trampoline_kernelINS0_14default_configENS1_35radix_sort_onesweep_config_selectorIjN6thrust23THRUST_200600_302600_NS5tupleIffNS6_9null_typeES8_S8_S8_S8_S8_S8_S8_EEEEZZNS1_29radix_sort_onesweep_iterationIS3_Lb0ENS6_6detail15normal_iteratorINS6_10device_ptrIjEEEESG_NSD_INSE_IS9_EEEESI_jNS0_19identity_decomposerENS1_16block_id_wrapperIjLb0EEEEE10hipError_tT1_PNSt15iterator_traitsISN_E10value_typeET2_T3_PNSO_IST_E10value_typeET4_T5_PSY_SZ_PNS1_23onesweep_lookback_stateEbbT6_jjT7_P12ihipStream_tbENKUlT_T0_SN_SS_E_clISG_SG_SI_SI_EEDaS16_S17_SN_SS_EUlS16_E_NS1_11comp_targetILNS1_3genE9ELNS1_11target_archE1100ELNS1_3gpuE3ELNS1_3repE0EEENS1_47radix_sort_onesweep_sort_config_static_selectorELNS0_4arch9wavefront6targetE0EEEvSN_,@function
_ZN7rocprim17ROCPRIM_400000_NS6detail17trampoline_kernelINS0_14default_configENS1_35radix_sort_onesweep_config_selectorIjN6thrust23THRUST_200600_302600_NS5tupleIffNS6_9null_typeES8_S8_S8_S8_S8_S8_S8_EEEEZZNS1_29radix_sort_onesweep_iterationIS3_Lb0ENS6_6detail15normal_iteratorINS6_10device_ptrIjEEEESG_NSD_INSE_IS9_EEEESI_jNS0_19identity_decomposerENS1_16block_id_wrapperIjLb0EEEEE10hipError_tT1_PNSt15iterator_traitsISN_E10value_typeET2_T3_PNSO_IST_E10value_typeET4_T5_PSY_SZ_PNS1_23onesweep_lookback_stateEbbT6_jjT7_P12ihipStream_tbENKUlT_T0_SN_SS_E_clISG_SG_SI_SI_EEDaS16_S17_SN_SS_EUlS16_E_NS1_11comp_targetILNS1_3genE9ELNS1_11target_archE1100ELNS1_3gpuE3ELNS1_3repE0EEENS1_47radix_sort_onesweep_sort_config_static_selectorELNS0_4arch9wavefront6targetE0EEEvSN_: ; @_ZN7rocprim17ROCPRIM_400000_NS6detail17trampoline_kernelINS0_14default_configENS1_35radix_sort_onesweep_config_selectorIjN6thrust23THRUST_200600_302600_NS5tupleIffNS6_9null_typeES8_S8_S8_S8_S8_S8_S8_EEEEZZNS1_29radix_sort_onesweep_iterationIS3_Lb0ENS6_6detail15normal_iteratorINS6_10device_ptrIjEEEESG_NSD_INSE_IS9_EEEESI_jNS0_19identity_decomposerENS1_16block_id_wrapperIjLb0EEEEE10hipError_tT1_PNSt15iterator_traitsISN_E10value_typeET2_T3_PNSO_IST_E10value_typeET4_T5_PSY_SZ_PNS1_23onesweep_lookback_stateEbbT6_jjT7_P12ihipStream_tbENKUlT_T0_SN_SS_E_clISG_SG_SI_SI_EEDaS16_S17_SN_SS_EUlS16_E_NS1_11comp_targetILNS1_3genE9ELNS1_11target_archE1100ELNS1_3gpuE3ELNS1_3repE0EEENS1_47radix_sort_onesweep_sort_config_static_selectorELNS0_4arch9wavefront6targetE0EEEvSN_
; %bb.0:
	.section	.rodata,"a",@progbits
	.p2align	6, 0x0
	.amdhsa_kernel _ZN7rocprim17ROCPRIM_400000_NS6detail17trampoline_kernelINS0_14default_configENS1_35radix_sort_onesweep_config_selectorIjN6thrust23THRUST_200600_302600_NS5tupleIffNS6_9null_typeES8_S8_S8_S8_S8_S8_S8_EEEEZZNS1_29radix_sort_onesweep_iterationIS3_Lb0ENS6_6detail15normal_iteratorINS6_10device_ptrIjEEEESG_NSD_INSE_IS9_EEEESI_jNS0_19identity_decomposerENS1_16block_id_wrapperIjLb0EEEEE10hipError_tT1_PNSt15iterator_traitsISN_E10value_typeET2_T3_PNSO_IST_E10value_typeET4_T5_PSY_SZ_PNS1_23onesweep_lookback_stateEbbT6_jjT7_P12ihipStream_tbENKUlT_T0_SN_SS_E_clISG_SG_SI_SI_EEDaS16_S17_SN_SS_EUlS16_E_NS1_11comp_targetILNS1_3genE9ELNS1_11target_archE1100ELNS1_3gpuE3ELNS1_3repE0EEENS1_47radix_sort_onesweep_sort_config_static_selectorELNS0_4arch9wavefront6targetE0EEEvSN_
		.amdhsa_group_segment_fixed_size 0
		.amdhsa_private_segment_fixed_size 0
		.amdhsa_kernarg_size 88
		.amdhsa_user_sgpr_count 2
		.amdhsa_user_sgpr_dispatch_ptr 0
		.amdhsa_user_sgpr_queue_ptr 0
		.amdhsa_user_sgpr_kernarg_segment_ptr 1
		.amdhsa_user_sgpr_dispatch_id 0
		.amdhsa_user_sgpr_kernarg_preload_length 0
		.amdhsa_user_sgpr_kernarg_preload_offset 0
		.amdhsa_user_sgpr_private_segment_size 0
		.amdhsa_wavefront_size32 1
		.amdhsa_uses_dynamic_stack 0
		.amdhsa_enable_private_segment 0
		.amdhsa_system_sgpr_workgroup_id_x 1
		.amdhsa_system_sgpr_workgroup_id_y 0
		.amdhsa_system_sgpr_workgroup_id_z 0
		.amdhsa_system_sgpr_workgroup_info 0
		.amdhsa_system_vgpr_workitem_id 0
		.amdhsa_next_free_vgpr 1
		.amdhsa_next_free_sgpr 1
		.amdhsa_named_barrier_count 0
		.amdhsa_reserve_vcc 0
		.amdhsa_float_round_mode_32 0
		.amdhsa_float_round_mode_16_64 0
		.amdhsa_float_denorm_mode_32 3
		.amdhsa_float_denorm_mode_16_64 3
		.amdhsa_fp16_overflow 0
		.amdhsa_memory_ordered 1
		.amdhsa_forward_progress 1
		.amdhsa_inst_pref_size 0
		.amdhsa_round_robin_scheduling 0
		.amdhsa_exception_fp_ieee_invalid_op 0
		.amdhsa_exception_fp_denorm_src 0
		.amdhsa_exception_fp_ieee_div_zero 0
		.amdhsa_exception_fp_ieee_overflow 0
		.amdhsa_exception_fp_ieee_underflow 0
		.amdhsa_exception_fp_ieee_inexact 0
		.amdhsa_exception_int_div_zero 0
	.end_amdhsa_kernel
	.section	.text._ZN7rocprim17ROCPRIM_400000_NS6detail17trampoline_kernelINS0_14default_configENS1_35radix_sort_onesweep_config_selectorIjN6thrust23THRUST_200600_302600_NS5tupleIffNS6_9null_typeES8_S8_S8_S8_S8_S8_S8_EEEEZZNS1_29radix_sort_onesweep_iterationIS3_Lb0ENS6_6detail15normal_iteratorINS6_10device_ptrIjEEEESG_NSD_INSE_IS9_EEEESI_jNS0_19identity_decomposerENS1_16block_id_wrapperIjLb0EEEEE10hipError_tT1_PNSt15iterator_traitsISN_E10value_typeET2_T3_PNSO_IST_E10value_typeET4_T5_PSY_SZ_PNS1_23onesweep_lookback_stateEbbT6_jjT7_P12ihipStream_tbENKUlT_T0_SN_SS_E_clISG_SG_SI_SI_EEDaS16_S17_SN_SS_EUlS16_E_NS1_11comp_targetILNS1_3genE9ELNS1_11target_archE1100ELNS1_3gpuE3ELNS1_3repE0EEENS1_47radix_sort_onesweep_sort_config_static_selectorELNS0_4arch9wavefront6targetE0EEEvSN_,"axG",@progbits,_ZN7rocprim17ROCPRIM_400000_NS6detail17trampoline_kernelINS0_14default_configENS1_35radix_sort_onesweep_config_selectorIjN6thrust23THRUST_200600_302600_NS5tupleIffNS6_9null_typeES8_S8_S8_S8_S8_S8_S8_EEEEZZNS1_29radix_sort_onesweep_iterationIS3_Lb0ENS6_6detail15normal_iteratorINS6_10device_ptrIjEEEESG_NSD_INSE_IS9_EEEESI_jNS0_19identity_decomposerENS1_16block_id_wrapperIjLb0EEEEE10hipError_tT1_PNSt15iterator_traitsISN_E10value_typeET2_T3_PNSO_IST_E10value_typeET4_T5_PSY_SZ_PNS1_23onesweep_lookback_stateEbbT6_jjT7_P12ihipStream_tbENKUlT_T0_SN_SS_E_clISG_SG_SI_SI_EEDaS16_S17_SN_SS_EUlS16_E_NS1_11comp_targetILNS1_3genE9ELNS1_11target_archE1100ELNS1_3gpuE3ELNS1_3repE0EEENS1_47radix_sort_onesweep_sort_config_static_selectorELNS0_4arch9wavefront6targetE0EEEvSN_,comdat
.Lfunc_end209:
	.size	_ZN7rocprim17ROCPRIM_400000_NS6detail17trampoline_kernelINS0_14default_configENS1_35radix_sort_onesweep_config_selectorIjN6thrust23THRUST_200600_302600_NS5tupleIffNS6_9null_typeES8_S8_S8_S8_S8_S8_S8_EEEEZZNS1_29radix_sort_onesweep_iterationIS3_Lb0ENS6_6detail15normal_iteratorINS6_10device_ptrIjEEEESG_NSD_INSE_IS9_EEEESI_jNS0_19identity_decomposerENS1_16block_id_wrapperIjLb0EEEEE10hipError_tT1_PNSt15iterator_traitsISN_E10value_typeET2_T3_PNSO_IST_E10value_typeET4_T5_PSY_SZ_PNS1_23onesweep_lookback_stateEbbT6_jjT7_P12ihipStream_tbENKUlT_T0_SN_SS_E_clISG_SG_SI_SI_EEDaS16_S17_SN_SS_EUlS16_E_NS1_11comp_targetILNS1_3genE9ELNS1_11target_archE1100ELNS1_3gpuE3ELNS1_3repE0EEENS1_47radix_sort_onesweep_sort_config_static_selectorELNS0_4arch9wavefront6targetE0EEEvSN_, .Lfunc_end209-_ZN7rocprim17ROCPRIM_400000_NS6detail17trampoline_kernelINS0_14default_configENS1_35radix_sort_onesweep_config_selectorIjN6thrust23THRUST_200600_302600_NS5tupleIffNS6_9null_typeES8_S8_S8_S8_S8_S8_S8_EEEEZZNS1_29radix_sort_onesweep_iterationIS3_Lb0ENS6_6detail15normal_iteratorINS6_10device_ptrIjEEEESG_NSD_INSE_IS9_EEEESI_jNS0_19identity_decomposerENS1_16block_id_wrapperIjLb0EEEEE10hipError_tT1_PNSt15iterator_traitsISN_E10value_typeET2_T3_PNSO_IST_E10value_typeET4_T5_PSY_SZ_PNS1_23onesweep_lookback_stateEbbT6_jjT7_P12ihipStream_tbENKUlT_T0_SN_SS_E_clISG_SG_SI_SI_EEDaS16_S17_SN_SS_EUlS16_E_NS1_11comp_targetILNS1_3genE9ELNS1_11target_archE1100ELNS1_3gpuE3ELNS1_3repE0EEENS1_47radix_sort_onesweep_sort_config_static_selectorELNS0_4arch9wavefront6targetE0EEEvSN_
                                        ; -- End function
	.set _ZN7rocprim17ROCPRIM_400000_NS6detail17trampoline_kernelINS0_14default_configENS1_35radix_sort_onesweep_config_selectorIjN6thrust23THRUST_200600_302600_NS5tupleIffNS6_9null_typeES8_S8_S8_S8_S8_S8_S8_EEEEZZNS1_29radix_sort_onesweep_iterationIS3_Lb0ENS6_6detail15normal_iteratorINS6_10device_ptrIjEEEESG_NSD_INSE_IS9_EEEESI_jNS0_19identity_decomposerENS1_16block_id_wrapperIjLb0EEEEE10hipError_tT1_PNSt15iterator_traitsISN_E10value_typeET2_T3_PNSO_IST_E10value_typeET4_T5_PSY_SZ_PNS1_23onesweep_lookback_stateEbbT6_jjT7_P12ihipStream_tbENKUlT_T0_SN_SS_E_clISG_SG_SI_SI_EEDaS16_S17_SN_SS_EUlS16_E_NS1_11comp_targetILNS1_3genE9ELNS1_11target_archE1100ELNS1_3gpuE3ELNS1_3repE0EEENS1_47radix_sort_onesweep_sort_config_static_selectorELNS0_4arch9wavefront6targetE0EEEvSN_.num_vgpr, 0
	.set _ZN7rocprim17ROCPRIM_400000_NS6detail17trampoline_kernelINS0_14default_configENS1_35radix_sort_onesweep_config_selectorIjN6thrust23THRUST_200600_302600_NS5tupleIffNS6_9null_typeES8_S8_S8_S8_S8_S8_S8_EEEEZZNS1_29radix_sort_onesweep_iterationIS3_Lb0ENS6_6detail15normal_iteratorINS6_10device_ptrIjEEEESG_NSD_INSE_IS9_EEEESI_jNS0_19identity_decomposerENS1_16block_id_wrapperIjLb0EEEEE10hipError_tT1_PNSt15iterator_traitsISN_E10value_typeET2_T3_PNSO_IST_E10value_typeET4_T5_PSY_SZ_PNS1_23onesweep_lookback_stateEbbT6_jjT7_P12ihipStream_tbENKUlT_T0_SN_SS_E_clISG_SG_SI_SI_EEDaS16_S17_SN_SS_EUlS16_E_NS1_11comp_targetILNS1_3genE9ELNS1_11target_archE1100ELNS1_3gpuE3ELNS1_3repE0EEENS1_47radix_sort_onesweep_sort_config_static_selectorELNS0_4arch9wavefront6targetE0EEEvSN_.num_agpr, 0
	.set _ZN7rocprim17ROCPRIM_400000_NS6detail17trampoline_kernelINS0_14default_configENS1_35radix_sort_onesweep_config_selectorIjN6thrust23THRUST_200600_302600_NS5tupleIffNS6_9null_typeES8_S8_S8_S8_S8_S8_S8_EEEEZZNS1_29radix_sort_onesweep_iterationIS3_Lb0ENS6_6detail15normal_iteratorINS6_10device_ptrIjEEEESG_NSD_INSE_IS9_EEEESI_jNS0_19identity_decomposerENS1_16block_id_wrapperIjLb0EEEEE10hipError_tT1_PNSt15iterator_traitsISN_E10value_typeET2_T3_PNSO_IST_E10value_typeET4_T5_PSY_SZ_PNS1_23onesweep_lookback_stateEbbT6_jjT7_P12ihipStream_tbENKUlT_T0_SN_SS_E_clISG_SG_SI_SI_EEDaS16_S17_SN_SS_EUlS16_E_NS1_11comp_targetILNS1_3genE9ELNS1_11target_archE1100ELNS1_3gpuE3ELNS1_3repE0EEENS1_47radix_sort_onesweep_sort_config_static_selectorELNS0_4arch9wavefront6targetE0EEEvSN_.numbered_sgpr, 0
	.set _ZN7rocprim17ROCPRIM_400000_NS6detail17trampoline_kernelINS0_14default_configENS1_35radix_sort_onesweep_config_selectorIjN6thrust23THRUST_200600_302600_NS5tupleIffNS6_9null_typeES8_S8_S8_S8_S8_S8_S8_EEEEZZNS1_29radix_sort_onesweep_iterationIS3_Lb0ENS6_6detail15normal_iteratorINS6_10device_ptrIjEEEESG_NSD_INSE_IS9_EEEESI_jNS0_19identity_decomposerENS1_16block_id_wrapperIjLb0EEEEE10hipError_tT1_PNSt15iterator_traitsISN_E10value_typeET2_T3_PNSO_IST_E10value_typeET4_T5_PSY_SZ_PNS1_23onesweep_lookback_stateEbbT6_jjT7_P12ihipStream_tbENKUlT_T0_SN_SS_E_clISG_SG_SI_SI_EEDaS16_S17_SN_SS_EUlS16_E_NS1_11comp_targetILNS1_3genE9ELNS1_11target_archE1100ELNS1_3gpuE3ELNS1_3repE0EEENS1_47radix_sort_onesweep_sort_config_static_selectorELNS0_4arch9wavefront6targetE0EEEvSN_.num_named_barrier, 0
	.set _ZN7rocprim17ROCPRIM_400000_NS6detail17trampoline_kernelINS0_14default_configENS1_35radix_sort_onesweep_config_selectorIjN6thrust23THRUST_200600_302600_NS5tupleIffNS6_9null_typeES8_S8_S8_S8_S8_S8_S8_EEEEZZNS1_29radix_sort_onesweep_iterationIS3_Lb0ENS6_6detail15normal_iteratorINS6_10device_ptrIjEEEESG_NSD_INSE_IS9_EEEESI_jNS0_19identity_decomposerENS1_16block_id_wrapperIjLb0EEEEE10hipError_tT1_PNSt15iterator_traitsISN_E10value_typeET2_T3_PNSO_IST_E10value_typeET4_T5_PSY_SZ_PNS1_23onesweep_lookback_stateEbbT6_jjT7_P12ihipStream_tbENKUlT_T0_SN_SS_E_clISG_SG_SI_SI_EEDaS16_S17_SN_SS_EUlS16_E_NS1_11comp_targetILNS1_3genE9ELNS1_11target_archE1100ELNS1_3gpuE3ELNS1_3repE0EEENS1_47radix_sort_onesweep_sort_config_static_selectorELNS0_4arch9wavefront6targetE0EEEvSN_.private_seg_size, 0
	.set _ZN7rocprim17ROCPRIM_400000_NS6detail17trampoline_kernelINS0_14default_configENS1_35radix_sort_onesweep_config_selectorIjN6thrust23THRUST_200600_302600_NS5tupleIffNS6_9null_typeES8_S8_S8_S8_S8_S8_S8_EEEEZZNS1_29radix_sort_onesweep_iterationIS3_Lb0ENS6_6detail15normal_iteratorINS6_10device_ptrIjEEEESG_NSD_INSE_IS9_EEEESI_jNS0_19identity_decomposerENS1_16block_id_wrapperIjLb0EEEEE10hipError_tT1_PNSt15iterator_traitsISN_E10value_typeET2_T3_PNSO_IST_E10value_typeET4_T5_PSY_SZ_PNS1_23onesweep_lookback_stateEbbT6_jjT7_P12ihipStream_tbENKUlT_T0_SN_SS_E_clISG_SG_SI_SI_EEDaS16_S17_SN_SS_EUlS16_E_NS1_11comp_targetILNS1_3genE9ELNS1_11target_archE1100ELNS1_3gpuE3ELNS1_3repE0EEENS1_47radix_sort_onesweep_sort_config_static_selectorELNS0_4arch9wavefront6targetE0EEEvSN_.uses_vcc, 0
	.set _ZN7rocprim17ROCPRIM_400000_NS6detail17trampoline_kernelINS0_14default_configENS1_35radix_sort_onesweep_config_selectorIjN6thrust23THRUST_200600_302600_NS5tupleIffNS6_9null_typeES8_S8_S8_S8_S8_S8_S8_EEEEZZNS1_29radix_sort_onesweep_iterationIS3_Lb0ENS6_6detail15normal_iteratorINS6_10device_ptrIjEEEESG_NSD_INSE_IS9_EEEESI_jNS0_19identity_decomposerENS1_16block_id_wrapperIjLb0EEEEE10hipError_tT1_PNSt15iterator_traitsISN_E10value_typeET2_T3_PNSO_IST_E10value_typeET4_T5_PSY_SZ_PNS1_23onesweep_lookback_stateEbbT6_jjT7_P12ihipStream_tbENKUlT_T0_SN_SS_E_clISG_SG_SI_SI_EEDaS16_S17_SN_SS_EUlS16_E_NS1_11comp_targetILNS1_3genE9ELNS1_11target_archE1100ELNS1_3gpuE3ELNS1_3repE0EEENS1_47radix_sort_onesweep_sort_config_static_selectorELNS0_4arch9wavefront6targetE0EEEvSN_.uses_flat_scratch, 0
	.set _ZN7rocprim17ROCPRIM_400000_NS6detail17trampoline_kernelINS0_14default_configENS1_35radix_sort_onesweep_config_selectorIjN6thrust23THRUST_200600_302600_NS5tupleIffNS6_9null_typeES8_S8_S8_S8_S8_S8_S8_EEEEZZNS1_29radix_sort_onesweep_iterationIS3_Lb0ENS6_6detail15normal_iteratorINS6_10device_ptrIjEEEESG_NSD_INSE_IS9_EEEESI_jNS0_19identity_decomposerENS1_16block_id_wrapperIjLb0EEEEE10hipError_tT1_PNSt15iterator_traitsISN_E10value_typeET2_T3_PNSO_IST_E10value_typeET4_T5_PSY_SZ_PNS1_23onesweep_lookback_stateEbbT6_jjT7_P12ihipStream_tbENKUlT_T0_SN_SS_E_clISG_SG_SI_SI_EEDaS16_S17_SN_SS_EUlS16_E_NS1_11comp_targetILNS1_3genE9ELNS1_11target_archE1100ELNS1_3gpuE3ELNS1_3repE0EEENS1_47radix_sort_onesweep_sort_config_static_selectorELNS0_4arch9wavefront6targetE0EEEvSN_.has_dyn_sized_stack, 0
	.set _ZN7rocprim17ROCPRIM_400000_NS6detail17trampoline_kernelINS0_14default_configENS1_35radix_sort_onesweep_config_selectorIjN6thrust23THRUST_200600_302600_NS5tupleIffNS6_9null_typeES8_S8_S8_S8_S8_S8_S8_EEEEZZNS1_29radix_sort_onesweep_iterationIS3_Lb0ENS6_6detail15normal_iteratorINS6_10device_ptrIjEEEESG_NSD_INSE_IS9_EEEESI_jNS0_19identity_decomposerENS1_16block_id_wrapperIjLb0EEEEE10hipError_tT1_PNSt15iterator_traitsISN_E10value_typeET2_T3_PNSO_IST_E10value_typeET4_T5_PSY_SZ_PNS1_23onesweep_lookback_stateEbbT6_jjT7_P12ihipStream_tbENKUlT_T0_SN_SS_E_clISG_SG_SI_SI_EEDaS16_S17_SN_SS_EUlS16_E_NS1_11comp_targetILNS1_3genE9ELNS1_11target_archE1100ELNS1_3gpuE3ELNS1_3repE0EEENS1_47radix_sort_onesweep_sort_config_static_selectorELNS0_4arch9wavefront6targetE0EEEvSN_.has_recursion, 0
	.set _ZN7rocprim17ROCPRIM_400000_NS6detail17trampoline_kernelINS0_14default_configENS1_35radix_sort_onesweep_config_selectorIjN6thrust23THRUST_200600_302600_NS5tupleIffNS6_9null_typeES8_S8_S8_S8_S8_S8_S8_EEEEZZNS1_29radix_sort_onesweep_iterationIS3_Lb0ENS6_6detail15normal_iteratorINS6_10device_ptrIjEEEESG_NSD_INSE_IS9_EEEESI_jNS0_19identity_decomposerENS1_16block_id_wrapperIjLb0EEEEE10hipError_tT1_PNSt15iterator_traitsISN_E10value_typeET2_T3_PNSO_IST_E10value_typeET4_T5_PSY_SZ_PNS1_23onesweep_lookback_stateEbbT6_jjT7_P12ihipStream_tbENKUlT_T0_SN_SS_E_clISG_SG_SI_SI_EEDaS16_S17_SN_SS_EUlS16_E_NS1_11comp_targetILNS1_3genE9ELNS1_11target_archE1100ELNS1_3gpuE3ELNS1_3repE0EEENS1_47radix_sort_onesweep_sort_config_static_selectorELNS0_4arch9wavefront6targetE0EEEvSN_.has_indirect_call, 0
	.section	.AMDGPU.csdata,"",@progbits
; Kernel info:
; codeLenInByte = 0
; TotalNumSgprs: 0
; NumVgprs: 0
; ScratchSize: 0
; MemoryBound: 0
; FloatMode: 240
; IeeeMode: 1
; LDSByteSize: 0 bytes/workgroup (compile time only)
; SGPRBlocks: 0
; VGPRBlocks: 0
; NumSGPRsForWavesPerEU: 1
; NumVGPRsForWavesPerEU: 1
; NamedBarCnt: 0
; Occupancy: 16
; WaveLimiterHint : 0
; COMPUTE_PGM_RSRC2:SCRATCH_EN: 0
; COMPUTE_PGM_RSRC2:USER_SGPR: 2
; COMPUTE_PGM_RSRC2:TRAP_HANDLER: 0
; COMPUTE_PGM_RSRC2:TGID_X_EN: 1
; COMPUTE_PGM_RSRC2:TGID_Y_EN: 0
; COMPUTE_PGM_RSRC2:TGID_Z_EN: 0
; COMPUTE_PGM_RSRC2:TIDIG_COMP_CNT: 0
	.section	.text._ZN7rocprim17ROCPRIM_400000_NS6detail17trampoline_kernelINS0_14default_configENS1_35radix_sort_onesweep_config_selectorIjN6thrust23THRUST_200600_302600_NS5tupleIffNS6_9null_typeES8_S8_S8_S8_S8_S8_S8_EEEEZZNS1_29radix_sort_onesweep_iterationIS3_Lb0ENS6_6detail15normal_iteratorINS6_10device_ptrIjEEEESG_NSD_INSE_IS9_EEEESI_jNS0_19identity_decomposerENS1_16block_id_wrapperIjLb0EEEEE10hipError_tT1_PNSt15iterator_traitsISN_E10value_typeET2_T3_PNSO_IST_E10value_typeET4_T5_PSY_SZ_PNS1_23onesweep_lookback_stateEbbT6_jjT7_P12ihipStream_tbENKUlT_T0_SN_SS_E_clISG_SG_SI_SI_EEDaS16_S17_SN_SS_EUlS16_E_NS1_11comp_targetILNS1_3genE8ELNS1_11target_archE1030ELNS1_3gpuE2ELNS1_3repE0EEENS1_47radix_sort_onesweep_sort_config_static_selectorELNS0_4arch9wavefront6targetE0EEEvSN_,"axG",@progbits,_ZN7rocprim17ROCPRIM_400000_NS6detail17trampoline_kernelINS0_14default_configENS1_35radix_sort_onesweep_config_selectorIjN6thrust23THRUST_200600_302600_NS5tupleIffNS6_9null_typeES8_S8_S8_S8_S8_S8_S8_EEEEZZNS1_29radix_sort_onesweep_iterationIS3_Lb0ENS6_6detail15normal_iteratorINS6_10device_ptrIjEEEESG_NSD_INSE_IS9_EEEESI_jNS0_19identity_decomposerENS1_16block_id_wrapperIjLb0EEEEE10hipError_tT1_PNSt15iterator_traitsISN_E10value_typeET2_T3_PNSO_IST_E10value_typeET4_T5_PSY_SZ_PNS1_23onesweep_lookback_stateEbbT6_jjT7_P12ihipStream_tbENKUlT_T0_SN_SS_E_clISG_SG_SI_SI_EEDaS16_S17_SN_SS_EUlS16_E_NS1_11comp_targetILNS1_3genE8ELNS1_11target_archE1030ELNS1_3gpuE2ELNS1_3repE0EEENS1_47radix_sort_onesweep_sort_config_static_selectorELNS0_4arch9wavefront6targetE0EEEvSN_,comdat
	.protected	_ZN7rocprim17ROCPRIM_400000_NS6detail17trampoline_kernelINS0_14default_configENS1_35radix_sort_onesweep_config_selectorIjN6thrust23THRUST_200600_302600_NS5tupleIffNS6_9null_typeES8_S8_S8_S8_S8_S8_S8_EEEEZZNS1_29radix_sort_onesweep_iterationIS3_Lb0ENS6_6detail15normal_iteratorINS6_10device_ptrIjEEEESG_NSD_INSE_IS9_EEEESI_jNS0_19identity_decomposerENS1_16block_id_wrapperIjLb0EEEEE10hipError_tT1_PNSt15iterator_traitsISN_E10value_typeET2_T3_PNSO_IST_E10value_typeET4_T5_PSY_SZ_PNS1_23onesweep_lookback_stateEbbT6_jjT7_P12ihipStream_tbENKUlT_T0_SN_SS_E_clISG_SG_SI_SI_EEDaS16_S17_SN_SS_EUlS16_E_NS1_11comp_targetILNS1_3genE8ELNS1_11target_archE1030ELNS1_3gpuE2ELNS1_3repE0EEENS1_47radix_sort_onesweep_sort_config_static_selectorELNS0_4arch9wavefront6targetE0EEEvSN_ ; -- Begin function _ZN7rocprim17ROCPRIM_400000_NS6detail17trampoline_kernelINS0_14default_configENS1_35radix_sort_onesweep_config_selectorIjN6thrust23THRUST_200600_302600_NS5tupleIffNS6_9null_typeES8_S8_S8_S8_S8_S8_S8_EEEEZZNS1_29radix_sort_onesweep_iterationIS3_Lb0ENS6_6detail15normal_iteratorINS6_10device_ptrIjEEEESG_NSD_INSE_IS9_EEEESI_jNS0_19identity_decomposerENS1_16block_id_wrapperIjLb0EEEEE10hipError_tT1_PNSt15iterator_traitsISN_E10value_typeET2_T3_PNSO_IST_E10value_typeET4_T5_PSY_SZ_PNS1_23onesweep_lookback_stateEbbT6_jjT7_P12ihipStream_tbENKUlT_T0_SN_SS_E_clISG_SG_SI_SI_EEDaS16_S17_SN_SS_EUlS16_E_NS1_11comp_targetILNS1_3genE8ELNS1_11target_archE1030ELNS1_3gpuE2ELNS1_3repE0EEENS1_47radix_sort_onesweep_sort_config_static_selectorELNS0_4arch9wavefront6targetE0EEEvSN_
	.globl	_ZN7rocprim17ROCPRIM_400000_NS6detail17trampoline_kernelINS0_14default_configENS1_35radix_sort_onesweep_config_selectorIjN6thrust23THRUST_200600_302600_NS5tupleIffNS6_9null_typeES8_S8_S8_S8_S8_S8_S8_EEEEZZNS1_29radix_sort_onesweep_iterationIS3_Lb0ENS6_6detail15normal_iteratorINS6_10device_ptrIjEEEESG_NSD_INSE_IS9_EEEESI_jNS0_19identity_decomposerENS1_16block_id_wrapperIjLb0EEEEE10hipError_tT1_PNSt15iterator_traitsISN_E10value_typeET2_T3_PNSO_IST_E10value_typeET4_T5_PSY_SZ_PNS1_23onesweep_lookback_stateEbbT6_jjT7_P12ihipStream_tbENKUlT_T0_SN_SS_E_clISG_SG_SI_SI_EEDaS16_S17_SN_SS_EUlS16_E_NS1_11comp_targetILNS1_3genE8ELNS1_11target_archE1030ELNS1_3gpuE2ELNS1_3repE0EEENS1_47radix_sort_onesweep_sort_config_static_selectorELNS0_4arch9wavefront6targetE0EEEvSN_
	.p2align	8
	.type	_ZN7rocprim17ROCPRIM_400000_NS6detail17trampoline_kernelINS0_14default_configENS1_35radix_sort_onesweep_config_selectorIjN6thrust23THRUST_200600_302600_NS5tupleIffNS6_9null_typeES8_S8_S8_S8_S8_S8_S8_EEEEZZNS1_29radix_sort_onesweep_iterationIS3_Lb0ENS6_6detail15normal_iteratorINS6_10device_ptrIjEEEESG_NSD_INSE_IS9_EEEESI_jNS0_19identity_decomposerENS1_16block_id_wrapperIjLb0EEEEE10hipError_tT1_PNSt15iterator_traitsISN_E10value_typeET2_T3_PNSO_IST_E10value_typeET4_T5_PSY_SZ_PNS1_23onesweep_lookback_stateEbbT6_jjT7_P12ihipStream_tbENKUlT_T0_SN_SS_E_clISG_SG_SI_SI_EEDaS16_S17_SN_SS_EUlS16_E_NS1_11comp_targetILNS1_3genE8ELNS1_11target_archE1030ELNS1_3gpuE2ELNS1_3repE0EEENS1_47radix_sort_onesweep_sort_config_static_selectorELNS0_4arch9wavefront6targetE0EEEvSN_,@function
_ZN7rocprim17ROCPRIM_400000_NS6detail17trampoline_kernelINS0_14default_configENS1_35radix_sort_onesweep_config_selectorIjN6thrust23THRUST_200600_302600_NS5tupleIffNS6_9null_typeES8_S8_S8_S8_S8_S8_S8_EEEEZZNS1_29radix_sort_onesweep_iterationIS3_Lb0ENS6_6detail15normal_iteratorINS6_10device_ptrIjEEEESG_NSD_INSE_IS9_EEEESI_jNS0_19identity_decomposerENS1_16block_id_wrapperIjLb0EEEEE10hipError_tT1_PNSt15iterator_traitsISN_E10value_typeET2_T3_PNSO_IST_E10value_typeET4_T5_PSY_SZ_PNS1_23onesweep_lookback_stateEbbT6_jjT7_P12ihipStream_tbENKUlT_T0_SN_SS_E_clISG_SG_SI_SI_EEDaS16_S17_SN_SS_EUlS16_E_NS1_11comp_targetILNS1_3genE8ELNS1_11target_archE1030ELNS1_3gpuE2ELNS1_3repE0EEENS1_47radix_sort_onesweep_sort_config_static_selectorELNS0_4arch9wavefront6targetE0EEEvSN_: ; @_ZN7rocprim17ROCPRIM_400000_NS6detail17trampoline_kernelINS0_14default_configENS1_35radix_sort_onesweep_config_selectorIjN6thrust23THRUST_200600_302600_NS5tupleIffNS6_9null_typeES8_S8_S8_S8_S8_S8_S8_EEEEZZNS1_29radix_sort_onesweep_iterationIS3_Lb0ENS6_6detail15normal_iteratorINS6_10device_ptrIjEEEESG_NSD_INSE_IS9_EEEESI_jNS0_19identity_decomposerENS1_16block_id_wrapperIjLb0EEEEE10hipError_tT1_PNSt15iterator_traitsISN_E10value_typeET2_T3_PNSO_IST_E10value_typeET4_T5_PSY_SZ_PNS1_23onesweep_lookback_stateEbbT6_jjT7_P12ihipStream_tbENKUlT_T0_SN_SS_E_clISG_SG_SI_SI_EEDaS16_S17_SN_SS_EUlS16_E_NS1_11comp_targetILNS1_3genE8ELNS1_11target_archE1030ELNS1_3gpuE2ELNS1_3repE0EEENS1_47radix_sort_onesweep_sort_config_static_selectorELNS0_4arch9wavefront6targetE0EEEvSN_
; %bb.0:
	.section	.rodata,"a",@progbits
	.p2align	6, 0x0
	.amdhsa_kernel _ZN7rocprim17ROCPRIM_400000_NS6detail17trampoline_kernelINS0_14default_configENS1_35radix_sort_onesweep_config_selectorIjN6thrust23THRUST_200600_302600_NS5tupleIffNS6_9null_typeES8_S8_S8_S8_S8_S8_S8_EEEEZZNS1_29radix_sort_onesweep_iterationIS3_Lb0ENS6_6detail15normal_iteratorINS6_10device_ptrIjEEEESG_NSD_INSE_IS9_EEEESI_jNS0_19identity_decomposerENS1_16block_id_wrapperIjLb0EEEEE10hipError_tT1_PNSt15iterator_traitsISN_E10value_typeET2_T3_PNSO_IST_E10value_typeET4_T5_PSY_SZ_PNS1_23onesweep_lookback_stateEbbT6_jjT7_P12ihipStream_tbENKUlT_T0_SN_SS_E_clISG_SG_SI_SI_EEDaS16_S17_SN_SS_EUlS16_E_NS1_11comp_targetILNS1_3genE8ELNS1_11target_archE1030ELNS1_3gpuE2ELNS1_3repE0EEENS1_47radix_sort_onesweep_sort_config_static_selectorELNS0_4arch9wavefront6targetE0EEEvSN_
		.amdhsa_group_segment_fixed_size 0
		.amdhsa_private_segment_fixed_size 0
		.amdhsa_kernarg_size 88
		.amdhsa_user_sgpr_count 2
		.amdhsa_user_sgpr_dispatch_ptr 0
		.amdhsa_user_sgpr_queue_ptr 0
		.amdhsa_user_sgpr_kernarg_segment_ptr 1
		.amdhsa_user_sgpr_dispatch_id 0
		.amdhsa_user_sgpr_kernarg_preload_length 0
		.amdhsa_user_sgpr_kernarg_preload_offset 0
		.amdhsa_user_sgpr_private_segment_size 0
		.amdhsa_wavefront_size32 1
		.amdhsa_uses_dynamic_stack 0
		.amdhsa_enable_private_segment 0
		.amdhsa_system_sgpr_workgroup_id_x 1
		.amdhsa_system_sgpr_workgroup_id_y 0
		.amdhsa_system_sgpr_workgroup_id_z 0
		.amdhsa_system_sgpr_workgroup_info 0
		.amdhsa_system_vgpr_workitem_id 0
		.amdhsa_next_free_vgpr 1
		.amdhsa_next_free_sgpr 1
		.amdhsa_named_barrier_count 0
		.amdhsa_reserve_vcc 0
		.amdhsa_float_round_mode_32 0
		.amdhsa_float_round_mode_16_64 0
		.amdhsa_float_denorm_mode_32 3
		.amdhsa_float_denorm_mode_16_64 3
		.amdhsa_fp16_overflow 0
		.amdhsa_memory_ordered 1
		.amdhsa_forward_progress 1
		.amdhsa_inst_pref_size 0
		.amdhsa_round_robin_scheduling 0
		.amdhsa_exception_fp_ieee_invalid_op 0
		.amdhsa_exception_fp_denorm_src 0
		.amdhsa_exception_fp_ieee_div_zero 0
		.amdhsa_exception_fp_ieee_overflow 0
		.amdhsa_exception_fp_ieee_underflow 0
		.amdhsa_exception_fp_ieee_inexact 0
		.amdhsa_exception_int_div_zero 0
	.end_amdhsa_kernel
	.section	.text._ZN7rocprim17ROCPRIM_400000_NS6detail17trampoline_kernelINS0_14default_configENS1_35radix_sort_onesweep_config_selectorIjN6thrust23THRUST_200600_302600_NS5tupleIffNS6_9null_typeES8_S8_S8_S8_S8_S8_S8_EEEEZZNS1_29radix_sort_onesweep_iterationIS3_Lb0ENS6_6detail15normal_iteratorINS6_10device_ptrIjEEEESG_NSD_INSE_IS9_EEEESI_jNS0_19identity_decomposerENS1_16block_id_wrapperIjLb0EEEEE10hipError_tT1_PNSt15iterator_traitsISN_E10value_typeET2_T3_PNSO_IST_E10value_typeET4_T5_PSY_SZ_PNS1_23onesweep_lookback_stateEbbT6_jjT7_P12ihipStream_tbENKUlT_T0_SN_SS_E_clISG_SG_SI_SI_EEDaS16_S17_SN_SS_EUlS16_E_NS1_11comp_targetILNS1_3genE8ELNS1_11target_archE1030ELNS1_3gpuE2ELNS1_3repE0EEENS1_47radix_sort_onesweep_sort_config_static_selectorELNS0_4arch9wavefront6targetE0EEEvSN_,"axG",@progbits,_ZN7rocprim17ROCPRIM_400000_NS6detail17trampoline_kernelINS0_14default_configENS1_35radix_sort_onesweep_config_selectorIjN6thrust23THRUST_200600_302600_NS5tupleIffNS6_9null_typeES8_S8_S8_S8_S8_S8_S8_EEEEZZNS1_29radix_sort_onesweep_iterationIS3_Lb0ENS6_6detail15normal_iteratorINS6_10device_ptrIjEEEESG_NSD_INSE_IS9_EEEESI_jNS0_19identity_decomposerENS1_16block_id_wrapperIjLb0EEEEE10hipError_tT1_PNSt15iterator_traitsISN_E10value_typeET2_T3_PNSO_IST_E10value_typeET4_T5_PSY_SZ_PNS1_23onesweep_lookback_stateEbbT6_jjT7_P12ihipStream_tbENKUlT_T0_SN_SS_E_clISG_SG_SI_SI_EEDaS16_S17_SN_SS_EUlS16_E_NS1_11comp_targetILNS1_3genE8ELNS1_11target_archE1030ELNS1_3gpuE2ELNS1_3repE0EEENS1_47radix_sort_onesweep_sort_config_static_selectorELNS0_4arch9wavefront6targetE0EEEvSN_,comdat
.Lfunc_end210:
	.size	_ZN7rocprim17ROCPRIM_400000_NS6detail17trampoline_kernelINS0_14default_configENS1_35radix_sort_onesweep_config_selectorIjN6thrust23THRUST_200600_302600_NS5tupleIffNS6_9null_typeES8_S8_S8_S8_S8_S8_S8_EEEEZZNS1_29radix_sort_onesweep_iterationIS3_Lb0ENS6_6detail15normal_iteratorINS6_10device_ptrIjEEEESG_NSD_INSE_IS9_EEEESI_jNS0_19identity_decomposerENS1_16block_id_wrapperIjLb0EEEEE10hipError_tT1_PNSt15iterator_traitsISN_E10value_typeET2_T3_PNSO_IST_E10value_typeET4_T5_PSY_SZ_PNS1_23onesweep_lookback_stateEbbT6_jjT7_P12ihipStream_tbENKUlT_T0_SN_SS_E_clISG_SG_SI_SI_EEDaS16_S17_SN_SS_EUlS16_E_NS1_11comp_targetILNS1_3genE8ELNS1_11target_archE1030ELNS1_3gpuE2ELNS1_3repE0EEENS1_47radix_sort_onesweep_sort_config_static_selectorELNS0_4arch9wavefront6targetE0EEEvSN_, .Lfunc_end210-_ZN7rocprim17ROCPRIM_400000_NS6detail17trampoline_kernelINS0_14default_configENS1_35radix_sort_onesweep_config_selectorIjN6thrust23THRUST_200600_302600_NS5tupleIffNS6_9null_typeES8_S8_S8_S8_S8_S8_S8_EEEEZZNS1_29radix_sort_onesweep_iterationIS3_Lb0ENS6_6detail15normal_iteratorINS6_10device_ptrIjEEEESG_NSD_INSE_IS9_EEEESI_jNS0_19identity_decomposerENS1_16block_id_wrapperIjLb0EEEEE10hipError_tT1_PNSt15iterator_traitsISN_E10value_typeET2_T3_PNSO_IST_E10value_typeET4_T5_PSY_SZ_PNS1_23onesweep_lookback_stateEbbT6_jjT7_P12ihipStream_tbENKUlT_T0_SN_SS_E_clISG_SG_SI_SI_EEDaS16_S17_SN_SS_EUlS16_E_NS1_11comp_targetILNS1_3genE8ELNS1_11target_archE1030ELNS1_3gpuE2ELNS1_3repE0EEENS1_47radix_sort_onesweep_sort_config_static_selectorELNS0_4arch9wavefront6targetE0EEEvSN_
                                        ; -- End function
	.set _ZN7rocprim17ROCPRIM_400000_NS6detail17trampoline_kernelINS0_14default_configENS1_35radix_sort_onesweep_config_selectorIjN6thrust23THRUST_200600_302600_NS5tupleIffNS6_9null_typeES8_S8_S8_S8_S8_S8_S8_EEEEZZNS1_29radix_sort_onesweep_iterationIS3_Lb0ENS6_6detail15normal_iteratorINS6_10device_ptrIjEEEESG_NSD_INSE_IS9_EEEESI_jNS0_19identity_decomposerENS1_16block_id_wrapperIjLb0EEEEE10hipError_tT1_PNSt15iterator_traitsISN_E10value_typeET2_T3_PNSO_IST_E10value_typeET4_T5_PSY_SZ_PNS1_23onesweep_lookback_stateEbbT6_jjT7_P12ihipStream_tbENKUlT_T0_SN_SS_E_clISG_SG_SI_SI_EEDaS16_S17_SN_SS_EUlS16_E_NS1_11comp_targetILNS1_3genE8ELNS1_11target_archE1030ELNS1_3gpuE2ELNS1_3repE0EEENS1_47radix_sort_onesweep_sort_config_static_selectorELNS0_4arch9wavefront6targetE0EEEvSN_.num_vgpr, 0
	.set _ZN7rocprim17ROCPRIM_400000_NS6detail17trampoline_kernelINS0_14default_configENS1_35radix_sort_onesweep_config_selectorIjN6thrust23THRUST_200600_302600_NS5tupleIffNS6_9null_typeES8_S8_S8_S8_S8_S8_S8_EEEEZZNS1_29radix_sort_onesweep_iterationIS3_Lb0ENS6_6detail15normal_iteratorINS6_10device_ptrIjEEEESG_NSD_INSE_IS9_EEEESI_jNS0_19identity_decomposerENS1_16block_id_wrapperIjLb0EEEEE10hipError_tT1_PNSt15iterator_traitsISN_E10value_typeET2_T3_PNSO_IST_E10value_typeET4_T5_PSY_SZ_PNS1_23onesweep_lookback_stateEbbT6_jjT7_P12ihipStream_tbENKUlT_T0_SN_SS_E_clISG_SG_SI_SI_EEDaS16_S17_SN_SS_EUlS16_E_NS1_11comp_targetILNS1_3genE8ELNS1_11target_archE1030ELNS1_3gpuE2ELNS1_3repE0EEENS1_47radix_sort_onesweep_sort_config_static_selectorELNS0_4arch9wavefront6targetE0EEEvSN_.num_agpr, 0
	.set _ZN7rocprim17ROCPRIM_400000_NS6detail17trampoline_kernelINS0_14default_configENS1_35radix_sort_onesweep_config_selectorIjN6thrust23THRUST_200600_302600_NS5tupleIffNS6_9null_typeES8_S8_S8_S8_S8_S8_S8_EEEEZZNS1_29radix_sort_onesweep_iterationIS3_Lb0ENS6_6detail15normal_iteratorINS6_10device_ptrIjEEEESG_NSD_INSE_IS9_EEEESI_jNS0_19identity_decomposerENS1_16block_id_wrapperIjLb0EEEEE10hipError_tT1_PNSt15iterator_traitsISN_E10value_typeET2_T3_PNSO_IST_E10value_typeET4_T5_PSY_SZ_PNS1_23onesweep_lookback_stateEbbT6_jjT7_P12ihipStream_tbENKUlT_T0_SN_SS_E_clISG_SG_SI_SI_EEDaS16_S17_SN_SS_EUlS16_E_NS1_11comp_targetILNS1_3genE8ELNS1_11target_archE1030ELNS1_3gpuE2ELNS1_3repE0EEENS1_47radix_sort_onesweep_sort_config_static_selectorELNS0_4arch9wavefront6targetE0EEEvSN_.numbered_sgpr, 0
	.set _ZN7rocprim17ROCPRIM_400000_NS6detail17trampoline_kernelINS0_14default_configENS1_35radix_sort_onesweep_config_selectorIjN6thrust23THRUST_200600_302600_NS5tupleIffNS6_9null_typeES8_S8_S8_S8_S8_S8_S8_EEEEZZNS1_29radix_sort_onesweep_iterationIS3_Lb0ENS6_6detail15normal_iteratorINS6_10device_ptrIjEEEESG_NSD_INSE_IS9_EEEESI_jNS0_19identity_decomposerENS1_16block_id_wrapperIjLb0EEEEE10hipError_tT1_PNSt15iterator_traitsISN_E10value_typeET2_T3_PNSO_IST_E10value_typeET4_T5_PSY_SZ_PNS1_23onesweep_lookback_stateEbbT6_jjT7_P12ihipStream_tbENKUlT_T0_SN_SS_E_clISG_SG_SI_SI_EEDaS16_S17_SN_SS_EUlS16_E_NS1_11comp_targetILNS1_3genE8ELNS1_11target_archE1030ELNS1_3gpuE2ELNS1_3repE0EEENS1_47radix_sort_onesweep_sort_config_static_selectorELNS0_4arch9wavefront6targetE0EEEvSN_.num_named_barrier, 0
	.set _ZN7rocprim17ROCPRIM_400000_NS6detail17trampoline_kernelINS0_14default_configENS1_35radix_sort_onesweep_config_selectorIjN6thrust23THRUST_200600_302600_NS5tupleIffNS6_9null_typeES8_S8_S8_S8_S8_S8_S8_EEEEZZNS1_29radix_sort_onesweep_iterationIS3_Lb0ENS6_6detail15normal_iteratorINS6_10device_ptrIjEEEESG_NSD_INSE_IS9_EEEESI_jNS0_19identity_decomposerENS1_16block_id_wrapperIjLb0EEEEE10hipError_tT1_PNSt15iterator_traitsISN_E10value_typeET2_T3_PNSO_IST_E10value_typeET4_T5_PSY_SZ_PNS1_23onesweep_lookback_stateEbbT6_jjT7_P12ihipStream_tbENKUlT_T0_SN_SS_E_clISG_SG_SI_SI_EEDaS16_S17_SN_SS_EUlS16_E_NS1_11comp_targetILNS1_3genE8ELNS1_11target_archE1030ELNS1_3gpuE2ELNS1_3repE0EEENS1_47radix_sort_onesweep_sort_config_static_selectorELNS0_4arch9wavefront6targetE0EEEvSN_.private_seg_size, 0
	.set _ZN7rocprim17ROCPRIM_400000_NS6detail17trampoline_kernelINS0_14default_configENS1_35radix_sort_onesweep_config_selectorIjN6thrust23THRUST_200600_302600_NS5tupleIffNS6_9null_typeES8_S8_S8_S8_S8_S8_S8_EEEEZZNS1_29radix_sort_onesweep_iterationIS3_Lb0ENS6_6detail15normal_iteratorINS6_10device_ptrIjEEEESG_NSD_INSE_IS9_EEEESI_jNS0_19identity_decomposerENS1_16block_id_wrapperIjLb0EEEEE10hipError_tT1_PNSt15iterator_traitsISN_E10value_typeET2_T3_PNSO_IST_E10value_typeET4_T5_PSY_SZ_PNS1_23onesweep_lookback_stateEbbT6_jjT7_P12ihipStream_tbENKUlT_T0_SN_SS_E_clISG_SG_SI_SI_EEDaS16_S17_SN_SS_EUlS16_E_NS1_11comp_targetILNS1_3genE8ELNS1_11target_archE1030ELNS1_3gpuE2ELNS1_3repE0EEENS1_47radix_sort_onesweep_sort_config_static_selectorELNS0_4arch9wavefront6targetE0EEEvSN_.uses_vcc, 0
	.set _ZN7rocprim17ROCPRIM_400000_NS6detail17trampoline_kernelINS0_14default_configENS1_35radix_sort_onesweep_config_selectorIjN6thrust23THRUST_200600_302600_NS5tupleIffNS6_9null_typeES8_S8_S8_S8_S8_S8_S8_EEEEZZNS1_29radix_sort_onesweep_iterationIS3_Lb0ENS6_6detail15normal_iteratorINS6_10device_ptrIjEEEESG_NSD_INSE_IS9_EEEESI_jNS0_19identity_decomposerENS1_16block_id_wrapperIjLb0EEEEE10hipError_tT1_PNSt15iterator_traitsISN_E10value_typeET2_T3_PNSO_IST_E10value_typeET4_T5_PSY_SZ_PNS1_23onesweep_lookback_stateEbbT6_jjT7_P12ihipStream_tbENKUlT_T0_SN_SS_E_clISG_SG_SI_SI_EEDaS16_S17_SN_SS_EUlS16_E_NS1_11comp_targetILNS1_3genE8ELNS1_11target_archE1030ELNS1_3gpuE2ELNS1_3repE0EEENS1_47radix_sort_onesweep_sort_config_static_selectorELNS0_4arch9wavefront6targetE0EEEvSN_.uses_flat_scratch, 0
	.set _ZN7rocprim17ROCPRIM_400000_NS6detail17trampoline_kernelINS0_14default_configENS1_35radix_sort_onesweep_config_selectorIjN6thrust23THRUST_200600_302600_NS5tupleIffNS6_9null_typeES8_S8_S8_S8_S8_S8_S8_EEEEZZNS1_29radix_sort_onesweep_iterationIS3_Lb0ENS6_6detail15normal_iteratorINS6_10device_ptrIjEEEESG_NSD_INSE_IS9_EEEESI_jNS0_19identity_decomposerENS1_16block_id_wrapperIjLb0EEEEE10hipError_tT1_PNSt15iterator_traitsISN_E10value_typeET2_T3_PNSO_IST_E10value_typeET4_T5_PSY_SZ_PNS1_23onesweep_lookback_stateEbbT6_jjT7_P12ihipStream_tbENKUlT_T0_SN_SS_E_clISG_SG_SI_SI_EEDaS16_S17_SN_SS_EUlS16_E_NS1_11comp_targetILNS1_3genE8ELNS1_11target_archE1030ELNS1_3gpuE2ELNS1_3repE0EEENS1_47radix_sort_onesweep_sort_config_static_selectorELNS0_4arch9wavefront6targetE0EEEvSN_.has_dyn_sized_stack, 0
	.set _ZN7rocprim17ROCPRIM_400000_NS6detail17trampoline_kernelINS0_14default_configENS1_35radix_sort_onesweep_config_selectorIjN6thrust23THRUST_200600_302600_NS5tupleIffNS6_9null_typeES8_S8_S8_S8_S8_S8_S8_EEEEZZNS1_29radix_sort_onesweep_iterationIS3_Lb0ENS6_6detail15normal_iteratorINS6_10device_ptrIjEEEESG_NSD_INSE_IS9_EEEESI_jNS0_19identity_decomposerENS1_16block_id_wrapperIjLb0EEEEE10hipError_tT1_PNSt15iterator_traitsISN_E10value_typeET2_T3_PNSO_IST_E10value_typeET4_T5_PSY_SZ_PNS1_23onesweep_lookback_stateEbbT6_jjT7_P12ihipStream_tbENKUlT_T0_SN_SS_E_clISG_SG_SI_SI_EEDaS16_S17_SN_SS_EUlS16_E_NS1_11comp_targetILNS1_3genE8ELNS1_11target_archE1030ELNS1_3gpuE2ELNS1_3repE0EEENS1_47radix_sort_onesweep_sort_config_static_selectorELNS0_4arch9wavefront6targetE0EEEvSN_.has_recursion, 0
	.set _ZN7rocprim17ROCPRIM_400000_NS6detail17trampoline_kernelINS0_14default_configENS1_35radix_sort_onesweep_config_selectorIjN6thrust23THRUST_200600_302600_NS5tupleIffNS6_9null_typeES8_S8_S8_S8_S8_S8_S8_EEEEZZNS1_29radix_sort_onesweep_iterationIS3_Lb0ENS6_6detail15normal_iteratorINS6_10device_ptrIjEEEESG_NSD_INSE_IS9_EEEESI_jNS0_19identity_decomposerENS1_16block_id_wrapperIjLb0EEEEE10hipError_tT1_PNSt15iterator_traitsISN_E10value_typeET2_T3_PNSO_IST_E10value_typeET4_T5_PSY_SZ_PNS1_23onesweep_lookback_stateEbbT6_jjT7_P12ihipStream_tbENKUlT_T0_SN_SS_E_clISG_SG_SI_SI_EEDaS16_S17_SN_SS_EUlS16_E_NS1_11comp_targetILNS1_3genE8ELNS1_11target_archE1030ELNS1_3gpuE2ELNS1_3repE0EEENS1_47radix_sort_onesweep_sort_config_static_selectorELNS0_4arch9wavefront6targetE0EEEvSN_.has_indirect_call, 0
	.section	.AMDGPU.csdata,"",@progbits
; Kernel info:
; codeLenInByte = 0
; TotalNumSgprs: 0
; NumVgprs: 0
; ScratchSize: 0
; MemoryBound: 0
; FloatMode: 240
; IeeeMode: 1
; LDSByteSize: 0 bytes/workgroup (compile time only)
; SGPRBlocks: 0
; VGPRBlocks: 0
; NumSGPRsForWavesPerEU: 1
; NumVGPRsForWavesPerEU: 1
; NamedBarCnt: 0
; Occupancy: 16
; WaveLimiterHint : 0
; COMPUTE_PGM_RSRC2:SCRATCH_EN: 0
; COMPUTE_PGM_RSRC2:USER_SGPR: 2
; COMPUTE_PGM_RSRC2:TRAP_HANDLER: 0
; COMPUTE_PGM_RSRC2:TGID_X_EN: 1
; COMPUTE_PGM_RSRC2:TGID_Y_EN: 0
; COMPUTE_PGM_RSRC2:TGID_Z_EN: 0
; COMPUTE_PGM_RSRC2:TIDIG_COMP_CNT: 0
	.section	.text._ZN7rocprim17ROCPRIM_400000_NS6detail17trampoline_kernelINS0_14default_configENS1_35radix_sort_onesweep_config_selectorIjN6thrust23THRUST_200600_302600_NS5tupleIffNS6_9null_typeES8_S8_S8_S8_S8_S8_S8_EEEEZZNS1_29radix_sort_onesweep_iterationIS3_Lb0ENS6_6detail15normal_iteratorINS6_10device_ptrIjEEEESG_NSD_INSE_IS9_EEEESI_jNS0_19identity_decomposerENS1_16block_id_wrapperIjLb0EEEEE10hipError_tT1_PNSt15iterator_traitsISN_E10value_typeET2_T3_PNSO_IST_E10value_typeET4_T5_PSY_SZ_PNS1_23onesweep_lookback_stateEbbT6_jjT7_P12ihipStream_tbENKUlT_T0_SN_SS_E_clISG_PjSI_PS9_EEDaS16_S17_SN_SS_EUlS16_E_NS1_11comp_targetILNS1_3genE0ELNS1_11target_archE4294967295ELNS1_3gpuE0ELNS1_3repE0EEENS1_47radix_sort_onesweep_sort_config_static_selectorELNS0_4arch9wavefront6targetE0EEEvSN_,"axG",@progbits,_ZN7rocprim17ROCPRIM_400000_NS6detail17trampoline_kernelINS0_14default_configENS1_35radix_sort_onesweep_config_selectorIjN6thrust23THRUST_200600_302600_NS5tupleIffNS6_9null_typeES8_S8_S8_S8_S8_S8_S8_EEEEZZNS1_29radix_sort_onesweep_iterationIS3_Lb0ENS6_6detail15normal_iteratorINS6_10device_ptrIjEEEESG_NSD_INSE_IS9_EEEESI_jNS0_19identity_decomposerENS1_16block_id_wrapperIjLb0EEEEE10hipError_tT1_PNSt15iterator_traitsISN_E10value_typeET2_T3_PNSO_IST_E10value_typeET4_T5_PSY_SZ_PNS1_23onesweep_lookback_stateEbbT6_jjT7_P12ihipStream_tbENKUlT_T0_SN_SS_E_clISG_PjSI_PS9_EEDaS16_S17_SN_SS_EUlS16_E_NS1_11comp_targetILNS1_3genE0ELNS1_11target_archE4294967295ELNS1_3gpuE0ELNS1_3repE0EEENS1_47radix_sort_onesweep_sort_config_static_selectorELNS0_4arch9wavefront6targetE0EEEvSN_,comdat
	.protected	_ZN7rocprim17ROCPRIM_400000_NS6detail17trampoline_kernelINS0_14default_configENS1_35radix_sort_onesweep_config_selectorIjN6thrust23THRUST_200600_302600_NS5tupleIffNS6_9null_typeES8_S8_S8_S8_S8_S8_S8_EEEEZZNS1_29radix_sort_onesweep_iterationIS3_Lb0ENS6_6detail15normal_iteratorINS6_10device_ptrIjEEEESG_NSD_INSE_IS9_EEEESI_jNS0_19identity_decomposerENS1_16block_id_wrapperIjLb0EEEEE10hipError_tT1_PNSt15iterator_traitsISN_E10value_typeET2_T3_PNSO_IST_E10value_typeET4_T5_PSY_SZ_PNS1_23onesweep_lookback_stateEbbT6_jjT7_P12ihipStream_tbENKUlT_T0_SN_SS_E_clISG_PjSI_PS9_EEDaS16_S17_SN_SS_EUlS16_E_NS1_11comp_targetILNS1_3genE0ELNS1_11target_archE4294967295ELNS1_3gpuE0ELNS1_3repE0EEENS1_47radix_sort_onesweep_sort_config_static_selectorELNS0_4arch9wavefront6targetE0EEEvSN_ ; -- Begin function _ZN7rocprim17ROCPRIM_400000_NS6detail17trampoline_kernelINS0_14default_configENS1_35radix_sort_onesweep_config_selectorIjN6thrust23THRUST_200600_302600_NS5tupleIffNS6_9null_typeES8_S8_S8_S8_S8_S8_S8_EEEEZZNS1_29radix_sort_onesweep_iterationIS3_Lb0ENS6_6detail15normal_iteratorINS6_10device_ptrIjEEEESG_NSD_INSE_IS9_EEEESI_jNS0_19identity_decomposerENS1_16block_id_wrapperIjLb0EEEEE10hipError_tT1_PNSt15iterator_traitsISN_E10value_typeET2_T3_PNSO_IST_E10value_typeET4_T5_PSY_SZ_PNS1_23onesweep_lookback_stateEbbT6_jjT7_P12ihipStream_tbENKUlT_T0_SN_SS_E_clISG_PjSI_PS9_EEDaS16_S17_SN_SS_EUlS16_E_NS1_11comp_targetILNS1_3genE0ELNS1_11target_archE4294967295ELNS1_3gpuE0ELNS1_3repE0EEENS1_47radix_sort_onesweep_sort_config_static_selectorELNS0_4arch9wavefront6targetE0EEEvSN_
	.globl	_ZN7rocprim17ROCPRIM_400000_NS6detail17trampoline_kernelINS0_14default_configENS1_35radix_sort_onesweep_config_selectorIjN6thrust23THRUST_200600_302600_NS5tupleIffNS6_9null_typeES8_S8_S8_S8_S8_S8_S8_EEEEZZNS1_29radix_sort_onesweep_iterationIS3_Lb0ENS6_6detail15normal_iteratorINS6_10device_ptrIjEEEESG_NSD_INSE_IS9_EEEESI_jNS0_19identity_decomposerENS1_16block_id_wrapperIjLb0EEEEE10hipError_tT1_PNSt15iterator_traitsISN_E10value_typeET2_T3_PNSO_IST_E10value_typeET4_T5_PSY_SZ_PNS1_23onesweep_lookback_stateEbbT6_jjT7_P12ihipStream_tbENKUlT_T0_SN_SS_E_clISG_PjSI_PS9_EEDaS16_S17_SN_SS_EUlS16_E_NS1_11comp_targetILNS1_3genE0ELNS1_11target_archE4294967295ELNS1_3gpuE0ELNS1_3repE0EEENS1_47radix_sort_onesweep_sort_config_static_selectorELNS0_4arch9wavefront6targetE0EEEvSN_
	.p2align	8
	.type	_ZN7rocprim17ROCPRIM_400000_NS6detail17trampoline_kernelINS0_14default_configENS1_35radix_sort_onesweep_config_selectorIjN6thrust23THRUST_200600_302600_NS5tupleIffNS6_9null_typeES8_S8_S8_S8_S8_S8_S8_EEEEZZNS1_29radix_sort_onesweep_iterationIS3_Lb0ENS6_6detail15normal_iteratorINS6_10device_ptrIjEEEESG_NSD_INSE_IS9_EEEESI_jNS0_19identity_decomposerENS1_16block_id_wrapperIjLb0EEEEE10hipError_tT1_PNSt15iterator_traitsISN_E10value_typeET2_T3_PNSO_IST_E10value_typeET4_T5_PSY_SZ_PNS1_23onesweep_lookback_stateEbbT6_jjT7_P12ihipStream_tbENKUlT_T0_SN_SS_E_clISG_PjSI_PS9_EEDaS16_S17_SN_SS_EUlS16_E_NS1_11comp_targetILNS1_3genE0ELNS1_11target_archE4294967295ELNS1_3gpuE0ELNS1_3repE0EEENS1_47radix_sort_onesweep_sort_config_static_selectorELNS0_4arch9wavefront6targetE0EEEvSN_,@function
_ZN7rocprim17ROCPRIM_400000_NS6detail17trampoline_kernelINS0_14default_configENS1_35radix_sort_onesweep_config_selectorIjN6thrust23THRUST_200600_302600_NS5tupleIffNS6_9null_typeES8_S8_S8_S8_S8_S8_S8_EEEEZZNS1_29radix_sort_onesweep_iterationIS3_Lb0ENS6_6detail15normal_iteratorINS6_10device_ptrIjEEEESG_NSD_INSE_IS9_EEEESI_jNS0_19identity_decomposerENS1_16block_id_wrapperIjLb0EEEEE10hipError_tT1_PNSt15iterator_traitsISN_E10value_typeET2_T3_PNSO_IST_E10value_typeET4_T5_PSY_SZ_PNS1_23onesweep_lookback_stateEbbT6_jjT7_P12ihipStream_tbENKUlT_T0_SN_SS_E_clISG_PjSI_PS9_EEDaS16_S17_SN_SS_EUlS16_E_NS1_11comp_targetILNS1_3genE0ELNS1_11target_archE4294967295ELNS1_3gpuE0ELNS1_3repE0EEENS1_47radix_sort_onesweep_sort_config_static_selectorELNS0_4arch9wavefront6targetE0EEEvSN_: ; @_ZN7rocprim17ROCPRIM_400000_NS6detail17trampoline_kernelINS0_14default_configENS1_35radix_sort_onesweep_config_selectorIjN6thrust23THRUST_200600_302600_NS5tupleIffNS6_9null_typeES8_S8_S8_S8_S8_S8_S8_EEEEZZNS1_29radix_sort_onesweep_iterationIS3_Lb0ENS6_6detail15normal_iteratorINS6_10device_ptrIjEEEESG_NSD_INSE_IS9_EEEESI_jNS0_19identity_decomposerENS1_16block_id_wrapperIjLb0EEEEE10hipError_tT1_PNSt15iterator_traitsISN_E10value_typeET2_T3_PNSO_IST_E10value_typeET4_T5_PSY_SZ_PNS1_23onesweep_lookback_stateEbbT6_jjT7_P12ihipStream_tbENKUlT_T0_SN_SS_E_clISG_PjSI_PS9_EEDaS16_S17_SN_SS_EUlS16_E_NS1_11comp_targetILNS1_3genE0ELNS1_11target_archE4294967295ELNS1_3gpuE0ELNS1_3repE0EEENS1_47radix_sort_onesweep_sort_config_static_selectorELNS0_4arch9wavefront6targetE0EEEvSN_
; %bb.0:
	s_load_b64 s[4:5], s[0:1], 0x4
	s_clause 0x1
	s_load_b256 s[20:27], s[2:3], 0x0
	s_load_b96 s[36:38], s[2:3], 0x44
	v_and_b32_e32 v18, 0x3ff, v0
	s_clause 0x1
	s_load_b128 s[28:31], s[2:3], 0x28
	s_load_b64 s[18:19], s[2:3], 0x38
	v_bfe_u32 v21, v0, 10, 10
	s_wait_xcnt 0x0
	s_bfe_u32 s1, ttmp6, 0x4000c
	v_bfe_u32 v22, v0, 20, 10
	s_add_co_i32 s1, s1, 1
	s_and_b32 s0, ttmp6, 15
	s_mul_i32 s1, ttmp9, s1
	v_mbcnt_lo_u32_b32 v20, -1, 0
	s_add_co_i32 s0, s0, s1
	v_lshlrev_b32_e32 v23, 3, v18
	s_mov_b32 s41, 0
	s_add_nc_u64 s[34:35], s[2:3], 0x58
	s_wait_kmcnt 0x0
	s_lshr_b32 s4, s4, 16
	v_mul_u32_u24_e32 v0, s5, v21
	s_mul_i32 s4, s4, s5
	s_delay_alu instid0(SALU_CYCLE_1) | instskip(SKIP_1) | instid1(SALU_CYCLE_1)
	v_mul_lo_u32 v1, s4, v18
	s_getreg_b32 s4, hwreg(HW_REG_IB_STS2, 6, 4)
	s_cmp_eq_u32 s4, 0
	s_cselect_b32 s17, ttmp9, s0
	s_mov_b32 s0, -1
	s_cmp_ge_u32 s17, s38
	s_delay_alu instid0(VALU_DEP_1)
	v_add3_u32 v19, v1, v0, v22
	s_cbranch_scc0 .LBB211_98
; %bb.1:
	s_load_b32 s4, s[2:3], 0x20
	s_lshl_b32 s40, s17, 12
	v_dual_mov_b32 v1, 0 :: v_dual_lshlrev_b32 v0, 2, v20
	s_lshl_b64 s[0:1], s[40:41], 2
	v_and_b32_e32 v8, 0x1f00, v23
	s_add_nc_u64 s[0:1], s[20:21], s[0:1]
	v_dual_mov_b32 v9, -1 :: v_dual_mov_b32 v10, -1
	v_add_nc_u64_e32 v[4:5], s[0:1], v[0:1]
	s_delay_alu instid0(VALU_DEP_3) | instskip(SKIP_1) | instid1(VALU_DEP_1)
	v_dual_lshlrev_b32 v0, 2, v8 :: v_dual_bitop2_b32 v2, v20, v8 bitop3:0x54
	s_lshl_b32 s0, s38, 12
	v_add_nc_u64_e32 v[0:1], v[4:5], v[0:1]
	s_wait_kmcnt 0x0
	s_sub_co_i32 s33, s4, s0
	s_delay_alu instid0(SALU_CYCLE_1)
	v_cmp_gt_u32_e64 s8, s33, v2
	s_and_saveexec_b32 s0, s8
	s_cbranch_execz .LBB211_3
; %bb.2:
	global_load_b32 v10, v[0:1], off
.LBB211_3:
	s_wait_xcnt 0x0
	s_or_b32 exec_lo, exec_lo, s0
	v_or_b32_e32 v3, 32, v2
	s_delay_alu instid0(VALU_DEP_1)
	v_cmp_gt_u32_e64 s7, s33, v3
	s_and_saveexec_b32 s0, s7
	s_cbranch_execz .LBB211_5
; %bb.4:
	global_load_b32 v9, v[0:1], off offset:128
.LBB211_5:
	s_wait_xcnt 0x0
	s_or_b32 exec_lo, exec_lo, s0
	v_dual_mov_b32 v11, -1 :: v_dual_bitop2_b32 v3, 64, v2 bitop3:0x54
	v_mov_b32_e32 v12, -1
	s_delay_alu instid0(VALU_DEP_2)
	v_cmp_gt_u32_e64 s6, s33, v3
	s_and_saveexec_b32 s0, s6
	s_cbranch_execz .LBB211_7
; %bb.6:
	global_load_b32 v12, v[0:1], off offset:256
.LBB211_7:
	s_wait_xcnt 0x0
	s_or_b32 exec_lo, exec_lo, s0
	v_or_b32_e32 v3, 0x60, v2
	s_delay_alu instid0(VALU_DEP_1)
	v_cmp_gt_u32_e64 s5, s33, v3
	s_and_saveexec_b32 s0, s5
	s_cbranch_execz .LBB211_9
; %bb.8:
	global_load_b32 v11, v[0:1], off offset:384
.LBB211_9:
	s_wait_xcnt 0x0
	s_or_b32 exec_lo, exec_lo, s0
	v_or_b32_e32 v3, 0x80, v2
	v_dual_mov_b32 v13, -1 :: v_dual_mov_b32 v14, -1
	s_delay_alu instid0(VALU_DEP_2)
	v_cmp_gt_u32_e64 s4, s33, v3
	s_and_saveexec_b32 s0, s4
	s_cbranch_execz .LBB211_11
; %bb.10:
	global_load_b32 v14, v[0:1], off offset:512
.LBB211_11:
	s_wait_xcnt 0x0
	s_or_b32 exec_lo, exec_lo, s0
	v_or_b32_e32 v3, 0xa0, v2
	s_delay_alu instid0(VALU_DEP_1)
	v_cmp_gt_u32_e64 s1, s33, v3
	s_and_saveexec_b32 s0, s1
	s_cbranch_execz .LBB211_13
; %bb.12:
	global_load_b32 v13, v[0:1], off offset:640
.LBB211_13:
	s_wait_xcnt 0x0
	s_or_b32 exec_lo, exec_lo, s0
	v_or_b32_e32 v3, 0xc0, v2
	v_dual_mov_b32 v15, -1 :: v_dual_mov_b32 v16, -1
	s_delay_alu instid0(VALU_DEP_2)
	v_cmp_gt_u32_e64 s0, s33, v3
	s_and_saveexec_b32 s9, s0
	s_cbranch_execz .LBB211_15
; %bb.14:
	global_load_b32 v16, v[0:1], off offset:768
.LBB211_15:
	s_wait_xcnt 0x0
	s_or_b32 exec_lo, exec_lo, s9
	v_or_b32_e32 v2, 0xe0, v2
	s_delay_alu instid0(VALU_DEP_1)
	v_cmp_gt_u32_e32 vcc_lo, s33, v2
	s_and_saveexec_b32 s9, vcc_lo
	s_cbranch_execz .LBB211_17
; %bb.16:
	global_load_b32 v15, v[0:1], off offset:896
.LBB211_17:
	s_wait_xcnt 0x0
	s_or_b32 exec_lo, exec_lo, s9
	s_clause 0x1
	s_load_b32 s38, s[2:3], 0x58
	s_load_u16 s9, s[2:3], 0x66
	s_wait_loadcnt 0x0
	v_lshrrev_b32_e32 v0, s36, v10
	s_mov_b32 s11, 0
	s_wait_kmcnt 0x0
	s_cmp_lt_u32 s17, s38
	v_mad_u32_u24 v1, v22, s9, v21
	s_cselect_b32 s10, 12, 18
	s_lshl_b32 s39, -1, s37
	s_add_nc_u64 s[10:11], s[34:35], s[10:11]
	v_bitop3_b32 v2, v0, 1, s39 bitop3:0x40
	v_bitop3_b32 v0, v0, s39, v0 bitop3:0x30
	s_load_u16 s42, s[10:11], 0x0
	s_delay_alu instid0(VALU_DEP_2) | instskip(NEXT) | instid1(VALU_DEP_1)
	v_add_co_u32 v2, s9, v2, -1
	v_cndmask_b32_e64 v3, 0, 1, s9
	s_delay_alu instid0(VALU_DEP_3) | instskip(SKIP_1) | instid1(VALU_DEP_3)
	v_dual_lshlrev_b32 v4, 30, v0 :: v_dual_lshlrev_b32 v5, 29, v0
	v_dual_lshlrev_b32 v6, 28, v0 :: v_dual_lshlrev_b32 v7, 27, v0
	v_cmp_ne_u32_e64 s9, 0, v3
	s_delay_alu instid0(VALU_DEP_3) | instskip(SKIP_1) | instid1(VALU_DEP_3)
	v_not_b32_e32 v3, v4
	v_dual_lshlrev_b32 v17, 26, v0 :: v_dual_lshlrev_b32 v24, 25, v0
	v_dual_lshlrev_b32 v25, 24, v0 :: v_dual_bitop2_b32 v2, s9, v2 bitop3:0x14
	s_wait_xcnt 0x0
	v_cmp_gt_i32_e64 s10, 0, v4
	v_cmp_gt_i32_e64 s11, 0, v5
	v_not_b32_e32 v4, v5
	v_not_b32_e32 v5, v6
	v_ashrrev_i32_e32 v3, 31, v3
	v_cmp_gt_i32_e64 s12, 0, v6
	v_cmp_gt_i32_e64 s13, 0, v7
	v_not_b32_e32 v6, v7
	v_cmp_gt_i32_e64 s14, 0, v17
	v_not_b32_e32 v7, v17
	;; [unrolled: 2-line block ×3, first 2 shown]
	v_not_b32_e32 v24, v25
	v_dual_ashrrev_i32 v4, 31, v4 :: v_dual_ashrrev_i32 v5, 31, v5
	v_dual_ashrrev_i32 v6, 31, v6 :: v_dual_bitop2_b32 v3, s10, v3 bitop3:0x14
	v_cmp_gt_i32_e64 s16, 0, v25
	s_delay_alu instid0(VALU_DEP_3) | instskip(NEXT) | instid1(VALU_DEP_4)
	v_dual_ashrrev_i32 v7, 31, v7 :: v_dual_bitop2_b32 v4, s11, v4 bitop3:0x14
	v_xor_b32_e32 v5, s12, v5
	s_delay_alu instid0(VALU_DEP_4) | instskip(SKIP_1) | instid1(VALU_DEP_4)
	v_bitop3_b32 v2, v2, v3, exec_lo bitop3:0x80
	v_dual_ashrrev_i32 v3, 31, v17 :: v_dual_bitop2_b32 v6, s13, v6 bitop3:0x14
	v_dual_ashrrev_i32 v17, 31, v24 :: v_dual_bitop2_b32 v7, s14, v7 bitop3:0x14
	s_delay_alu instid0(VALU_DEP_3) | instskip(SKIP_2) | instid1(VALU_DEP_4)
	v_bitop3_b32 v2, v2, v5, v4 bitop3:0x80
	v_mov_b32_e32 v4, 0
	v_mul_u32_u24_e32 v24, 36, v18
	v_xor_b32_e32 v5, s16, v17
	s_wait_kmcnt 0x0
	v_mad_u32 v17, v1, s42, v18
	v_bitop3_b32 v1, v2, v7, v6 bitop3:0x80
	v_mul_lo_u32 v2, 0x44, v0
	v_xor_b32_e32 v3, s15, v3
	s_not_b32 s14, s39
	ds_store_2addr_b32 v24, v4, v4 offset0:16 offset1:17
	ds_store_2addr_b32 v24, v4, v4 offset0:18 offset1:19
	;; [unrolled: 1-line block ×4, first 2 shown]
	ds_store_b32 v24, v4 offset:96
	s_wait_dscnt 0x0
	s_barrier_signal -1
	s_barrier_wait -1
	v_lshrrev_b32_e32 v0, 3, v17
	; wave barrier
	s_delay_alu instid0(VALU_DEP_1) | instskip(NEXT) | instid1(VALU_DEP_1)
	v_and_b32_e32 v0, 0x1ffffffc, v0
	v_add_nc_u32_e32 v25, v0, v2
	v_bitop3_b32 v1, v1, v5, v3 bitop3:0x80
	s_delay_alu instid0(VALU_DEP_1) | instskip(SKIP_1) | instid1(VALU_DEP_2)
	v_mbcnt_lo_u32_b32 v17, v1, 0
	v_cmp_ne_u32_e64 s10, 0, v1
	v_cmp_eq_u32_e64 s9, 0, v17
	s_and_b32 s10, s10, s9
	s_delay_alu instid0(SALU_CYCLE_1)
	s_and_saveexec_b32 s9, s10
; %bb.18:
	v_bcnt_u32_b32 v1, v1, 0
	ds_store_b32 v25, v1 offset:64
; %bb.19:
	s_or_b32 exec_lo, exec_lo, s9
	v_lshrrev_b32_e32 v1, s36, v9
	; wave barrier
	s_delay_alu instid0(VALU_DEP_1) | instskip(NEXT) | instid1(VALU_DEP_1)
	v_and_b32_e32 v2, s14, v1
	v_lshlrev_b32_e32 v5, 30, v2
	v_bitop3_b32 v1, v1, 1, s14 bitop3:0x80
	s_delay_alu instid0(VALU_DEP_2) | instskip(NEXT) | instid1(VALU_DEP_2)
	v_cmp_gt_i32_e64 s10, 0, v5
	v_add_co_u32 v1, s9, v1, -1
	s_delay_alu instid0(VALU_DEP_1) | instskip(NEXT) | instid1(VALU_DEP_1)
	v_cndmask_b32_e64 v4, 0, 1, s9
	v_cmp_ne_u32_e64 s9, 0, v4
	v_not_b32_e32 v4, v5
	s_delay_alu instid0(VALU_DEP_1) | instskip(SKIP_3) | instid1(VALU_DEP_4)
	v_dual_ashrrev_i32 v4, 31, v4 :: v_dual_lshlrev_b32 v6, 29, v2
	v_dual_lshlrev_b32 v7, 28, v2 :: v_dual_lshlrev_b32 v26, 27, v2
	v_lshlrev_b32_e32 v27, 26, v2
	v_mul_lo_u32 v3, 0x44, v2
	v_cmp_gt_i32_e64 s11, 0, v6
	v_not_b32_e32 v5, v6
	v_not_b32_e32 v6, v7
	v_cmp_gt_i32_e64 s12, 0, v7
	v_xor_b32_e32 v1, s9, v1
	s_delay_alu instid0(VALU_DEP_4) | instskip(NEXT) | instid1(VALU_DEP_4)
	v_dual_ashrrev_i32 v5, 31, v5 :: v_dual_bitop2_b32 v4, s10, v4 bitop3:0x14
	v_ashrrev_i32_e32 v6, 31, v6
	v_dual_lshlrev_b32 v28, 25, v2 :: v_dual_lshlrev_b32 v2, 24, v2
	v_not_b32_e32 v7, v26
	v_not_b32_e32 v29, v27
	v_xor_b32_e32 v5, s11, v5
	v_xor_b32_e32 v6, s12, v6
	v_bitop3_b32 v1, v1, v4, exec_lo bitop3:0x80
	v_cmp_gt_i32_e64 s9, 0, v26
	v_ashrrev_i32_e32 v4, 31, v7
	v_cmp_gt_i32_e64 s10, 0, v27
	v_ashrrev_i32_e32 v7, 31, v29
	v_bitop3_b32 v1, v1, v6, v5 bitop3:0x80
	v_not_b32_e32 v5, v28
	v_not_b32_e32 v6, v2
	v_xor_b32_e32 v4, s9, v4
	v_xor_b32_e32 v7, s10, v7
	v_cmp_gt_i32_e64 s9, 0, v28
	v_ashrrev_i32_e32 v5, 31, v5
	v_cmp_gt_i32_e64 s10, 0, v2
	v_dual_ashrrev_i32 v2, 31, v6 :: v_dual_add_nc_u32 v28, v0, v3
	v_bitop3_b32 v1, v1, v7, v4 bitop3:0x80
	s_delay_alu instid0(VALU_DEP_4) | instskip(NEXT) | instid1(VALU_DEP_3)
	v_xor_b32_e32 v3, s9, v5
	v_xor_b32_e32 v2, s10, v2
	ds_load_b32 v26, v28 offset:64
	; wave barrier
	v_bitop3_b32 v1, v1, v2, v3 bitop3:0x80
	s_delay_alu instid0(VALU_DEP_1) | instskip(SKIP_1) | instid1(VALU_DEP_2)
	v_mbcnt_lo_u32_b32 v27, v1, 0
	v_cmp_ne_u32_e64 s10, 0, v1
	v_cmp_eq_u32_e64 s9, 0, v27
	s_and_b32 s10, s10, s9
	s_delay_alu instid0(SALU_CYCLE_1)
	s_and_saveexec_b32 s9, s10
	s_cbranch_execz .LBB211_21
; %bb.20:
	s_wait_dscnt 0x0
	v_bcnt_u32_b32 v1, v1, v26
	ds_store_b32 v28, v1 offset:64
.LBB211_21:
	s_or_b32 exec_lo, exec_lo, s9
	v_lshrrev_b32_e32 v1, s36, v12
	; wave barrier
	s_delay_alu instid0(VALU_DEP_1) | instskip(NEXT) | instid1(VALU_DEP_1)
	v_and_b32_e32 v2, s14, v1
	v_lshlrev_b32_e32 v5, 30, v2
	v_bitop3_b32 v1, v1, 1, s14 bitop3:0x80
	s_delay_alu instid0(VALU_DEP_2) | instskip(NEXT) | instid1(VALU_DEP_2)
	v_cmp_gt_i32_e64 s10, 0, v5
	v_add_co_u32 v1, s9, v1, -1
	s_delay_alu instid0(VALU_DEP_1) | instskip(NEXT) | instid1(VALU_DEP_1)
	v_cndmask_b32_e64 v4, 0, 1, s9
	v_cmp_ne_u32_e64 s9, 0, v4
	v_not_b32_e32 v4, v5
	s_delay_alu instid0(VALU_DEP_1) | instskip(SKIP_3) | instid1(VALU_DEP_4)
	v_dual_ashrrev_i32 v4, 31, v4 :: v_dual_lshlrev_b32 v6, 29, v2
	v_dual_lshlrev_b32 v7, 28, v2 :: v_dual_lshlrev_b32 v29, 27, v2
	v_lshlrev_b32_e32 v30, 26, v2
	v_mul_lo_u32 v3, 0x44, v2
	v_cmp_gt_i32_e64 s11, 0, v6
	v_not_b32_e32 v5, v6
	v_not_b32_e32 v6, v7
	v_cmp_gt_i32_e64 s12, 0, v7
	v_xor_b32_e32 v1, s9, v1
	s_delay_alu instid0(VALU_DEP_4) | instskip(NEXT) | instid1(VALU_DEP_4)
	v_dual_ashrrev_i32 v5, 31, v5 :: v_dual_bitop2_b32 v4, s10, v4 bitop3:0x14
	v_ashrrev_i32_e32 v6, 31, v6
	v_dual_lshlrev_b32 v31, 25, v2 :: v_dual_lshlrev_b32 v2, 24, v2
	v_not_b32_e32 v7, v29
	v_not_b32_e32 v32, v30
	v_xor_b32_e32 v5, s11, v5
	v_xor_b32_e32 v6, s12, v6
	v_bitop3_b32 v1, v1, v4, exec_lo bitop3:0x80
	v_cmp_gt_i32_e64 s9, 0, v29
	v_ashrrev_i32_e32 v4, 31, v7
	v_cmp_gt_i32_e64 s10, 0, v30
	v_ashrrev_i32_e32 v7, 31, v32
	v_bitop3_b32 v1, v1, v6, v5 bitop3:0x80
	v_not_b32_e32 v5, v31
	v_not_b32_e32 v6, v2
	v_xor_b32_e32 v4, s9, v4
	v_xor_b32_e32 v7, s10, v7
	v_cmp_gt_i32_e64 s9, 0, v31
	v_ashrrev_i32_e32 v5, 31, v5
	v_cmp_gt_i32_e64 s10, 0, v2
	v_dual_ashrrev_i32 v2, 31, v6 :: v_dual_add_nc_u32 v31, v0, v3
	v_bitop3_b32 v1, v1, v7, v4 bitop3:0x80
	s_delay_alu instid0(VALU_DEP_4) | instskip(NEXT) | instid1(VALU_DEP_3)
	v_xor_b32_e32 v3, s9, v5
	v_xor_b32_e32 v2, s10, v2
	ds_load_b32 v29, v31 offset:64
	; wave barrier
	v_bitop3_b32 v1, v1, v2, v3 bitop3:0x80
	s_delay_alu instid0(VALU_DEP_1) | instskip(SKIP_1) | instid1(VALU_DEP_2)
	v_mbcnt_lo_u32_b32 v30, v1, 0
	v_cmp_ne_u32_e64 s10, 0, v1
	v_cmp_eq_u32_e64 s9, 0, v30
	s_and_b32 s10, s10, s9
	s_delay_alu instid0(SALU_CYCLE_1)
	s_and_saveexec_b32 s9, s10
	s_cbranch_execz .LBB211_23
; %bb.22:
	s_wait_dscnt 0x0
	v_bcnt_u32_b32 v1, v1, v29
	ds_store_b32 v31, v1 offset:64
.LBB211_23:
	s_or_b32 exec_lo, exec_lo, s9
	v_lshrrev_b32_e32 v1, s36, v11
	; wave barrier
	s_delay_alu instid0(VALU_DEP_1) | instskip(NEXT) | instid1(VALU_DEP_1)
	v_and_b32_e32 v2, s14, v1
	v_lshlrev_b32_e32 v5, 30, v2
	v_bitop3_b32 v1, v1, 1, s14 bitop3:0x80
	s_delay_alu instid0(VALU_DEP_2) | instskip(NEXT) | instid1(VALU_DEP_2)
	v_cmp_gt_i32_e64 s10, 0, v5
	v_add_co_u32 v1, s9, v1, -1
	s_delay_alu instid0(VALU_DEP_1) | instskip(NEXT) | instid1(VALU_DEP_1)
	v_cndmask_b32_e64 v4, 0, 1, s9
	v_cmp_ne_u32_e64 s9, 0, v4
	v_not_b32_e32 v4, v5
	s_delay_alu instid0(VALU_DEP_1) | instskip(SKIP_3) | instid1(VALU_DEP_4)
	v_dual_ashrrev_i32 v4, 31, v4 :: v_dual_lshlrev_b32 v6, 29, v2
	v_dual_lshlrev_b32 v7, 28, v2 :: v_dual_lshlrev_b32 v32, 27, v2
	v_lshlrev_b32_e32 v33, 26, v2
	v_mul_lo_u32 v3, 0x44, v2
	v_cmp_gt_i32_e64 s11, 0, v6
	v_not_b32_e32 v5, v6
	v_not_b32_e32 v6, v7
	v_cmp_gt_i32_e64 s12, 0, v7
	v_xor_b32_e32 v1, s9, v1
	s_delay_alu instid0(VALU_DEP_4) | instskip(NEXT) | instid1(VALU_DEP_4)
	v_dual_ashrrev_i32 v5, 31, v5 :: v_dual_bitop2_b32 v4, s10, v4 bitop3:0x14
	v_ashrrev_i32_e32 v6, 31, v6
	v_dual_lshlrev_b32 v34, 25, v2 :: v_dual_lshlrev_b32 v2, 24, v2
	v_not_b32_e32 v7, v32
	v_not_b32_e32 v35, v33
	v_xor_b32_e32 v5, s11, v5
	v_xor_b32_e32 v6, s12, v6
	v_bitop3_b32 v1, v1, v4, exec_lo bitop3:0x80
	v_cmp_gt_i32_e64 s9, 0, v32
	v_ashrrev_i32_e32 v4, 31, v7
	v_cmp_gt_i32_e64 s10, 0, v33
	v_ashrrev_i32_e32 v7, 31, v35
	v_bitop3_b32 v1, v1, v6, v5 bitop3:0x80
	v_not_b32_e32 v5, v34
	v_not_b32_e32 v6, v2
	v_xor_b32_e32 v4, s9, v4
	v_xor_b32_e32 v7, s10, v7
	v_cmp_gt_i32_e64 s9, 0, v34
	v_ashrrev_i32_e32 v5, 31, v5
	v_cmp_gt_i32_e64 s10, 0, v2
	v_dual_ashrrev_i32 v2, 31, v6 :: v_dual_add_nc_u32 v34, v0, v3
	v_bitop3_b32 v1, v1, v7, v4 bitop3:0x80
	s_delay_alu instid0(VALU_DEP_4) | instskip(NEXT) | instid1(VALU_DEP_3)
	v_xor_b32_e32 v3, s9, v5
	v_xor_b32_e32 v2, s10, v2
	ds_load_b32 v32, v34 offset:64
	; wave barrier
	v_bitop3_b32 v1, v1, v2, v3 bitop3:0x80
	s_delay_alu instid0(VALU_DEP_1) | instskip(SKIP_1) | instid1(VALU_DEP_2)
	v_mbcnt_lo_u32_b32 v33, v1, 0
	v_cmp_ne_u32_e64 s10, 0, v1
	v_cmp_eq_u32_e64 s9, 0, v33
	s_and_b32 s10, s10, s9
	s_delay_alu instid0(SALU_CYCLE_1)
	s_and_saveexec_b32 s9, s10
	s_cbranch_execz .LBB211_25
; %bb.24:
	s_wait_dscnt 0x0
	v_bcnt_u32_b32 v1, v1, v32
	ds_store_b32 v34, v1 offset:64
.LBB211_25:
	s_or_b32 exec_lo, exec_lo, s9
	v_lshrrev_b32_e32 v1, s36, v14
	; wave barrier
	s_delay_alu instid0(VALU_DEP_1) | instskip(SKIP_1) | instid1(VALU_DEP_2)
	v_and_b32_e32 v2, s14, v1
	v_bitop3_b32 v1, v1, 1, s14 bitop3:0x80
	v_dual_lshlrev_b32 v5, 30, v2 :: v_dual_lshlrev_b32 v6, 29, v2
	s_delay_alu instid0(VALU_DEP_2) | instskip(NEXT) | instid1(VALU_DEP_1)
	v_add_co_u32 v1, s9, v1, -1
	v_cndmask_b32_e64 v4, 0, 1, s9
	v_lshlrev_b32_e32 v7, 28, v2
	s_delay_alu instid0(VALU_DEP_4) | instskip(SKIP_1) | instid1(VALU_DEP_4)
	v_cmp_gt_i32_e64 s10, 0, v5
	v_cmp_gt_i32_e64 s11, 0, v6
	v_cmp_ne_u32_e64 s9, 0, v4
	v_not_b32_e32 v4, v5
	v_not_b32_e32 v5, v6
	;; [unrolled: 1-line block ×3, first 2 shown]
	s_delay_alu instid0(VALU_DEP_3) | instskip(NEXT) | instid1(VALU_DEP_2)
	v_dual_ashrrev_i32 v4, 31, v4 :: v_dual_bitop2_b32 v1, s9, v1 bitop3:0x14
	v_dual_ashrrev_i32 v5, 31, v5 :: v_dual_ashrrev_i32 v6, 31, v6
	v_mul_lo_u32 v3, 0x44, v2
	v_dual_lshlrev_b32 v35, 27, v2 :: v_dual_lshlrev_b32 v36, 26, v2
	v_dual_lshlrev_b32 v37, 25, v2 :: v_dual_lshlrev_b32 v2, 24, v2
	v_cmp_gt_i32_e64 s12, 0, v7
	v_xor_b32_e32 v4, s10, v4
	s_delay_alu instid0(VALU_DEP_4)
	v_not_b32_e32 v7, v35
	v_not_b32_e32 v38, v36
	v_xor_b32_e32 v5, s11, v5
	v_xor_b32_e32 v6, s12, v6
	v_bitop3_b32 v1, v1, v4, exec_lo bitop3:0x80
	v_cmp_gt_i32_e64 s9, 0, v35
	v_ashrrev_i32_e32 v4, 31, v7
	v_cmp_gt_i32_e64 s10, 0, v36
	v_ashrrev_i32_e32 v7, 31, v38
	v_bitop3_b32 v1, v1, v6, v5 bitop3:0x80
	v_not_b32_e32 v5, v37
	v_not_b32_e32 v6, v2
	v_xor_b32_e32 v4, s9, v4
	v_xor_b32_e32 v7, s10, v7
	v_cmp_gt_i32_e64 s9, 0, v37
	v_ashrrev_i32_e32 v5, 31, v5
	v_cmp_gt_i32_e64 s10, 0, v2
	v_dual_ashrrev_i32 v2, 31, v6 :: v_dual_add_nc_u32 v37, v0, v3
	v_bitop3_b32 v1, v1, v7, v4 bitop3:0x80
	s_delay_alu instid0(VALU_DEP_4) | instskip(NEXT) | instid1(VALU_DEP_3)
	v_xor_b32_e32 v3, s9, v5
	v_xor_b32_e32 v2, s10, v2
	ds_load_b32 v35, v37 offset:64
	; wave barrier
	v_bitop3_b32 v1, v1, v2, v3 bitop3:0x80
	s_delay_alu instid0(VALU_DEP_1) | instskip(SKIP_1) | instid1(VALU_DEP_2)
	v_mbcnt_lo_u32_b32 v36, v1, 0
	v_cmp_ne_u32_e64 s10, 0, v1
	v_cmp_eq_u32_e64 s9, 0, v36
	s_and_b32 s10, s10, s9
	s_delay_alu instid0(SALU_CYCLE_1)
	s_and_saveexec_b32 s9, s10
	s_cbranch_execz .LBB211_27
; %bb.26:
	s_wait_dscnt 0x0
	v_bcnt_u32_b32 v1, v1, v35
	ds_store_b32 v37, v1 offset:64
.LBB211_27:
	s_or_b32 exec_lo, exec_lo, s9
	v_lshrrev_b32_e32 v1, s36, v13
	; wave barrier
	s_delay_alu instid0(VALU_DEP_1) | instskip(NEXT) | instid1(VALU_DEP_1)
	v_and_b32_e32 v2, s14, v1
	v_lshlrev_b32_e32 v5, 30, v2
	v_bitop3_b32 v1, v1, 1, s14 bitop3:0x80
	s_delay_alu instid0(VALU_DEP_2) | instskip(NEXT) | instid1(VALU_DEP_2)
	v_cmp_gt_i32_e64 s10, 0, v5
	v_add_co_u32 v1, s9, v1, -1
	s_delay_alu instid0(VALU_DEP_1) | instskip(NEXT) | instid1(VALU_DEP_1)
	v_cndmask_b32_e64 v4, 0, 1, s9
	v_cmp_ne_u32_e64 s9, 0, v4
	v_not_b32_e32 v4, v5
	s_delay_alu instid0(VALU_DEP_1) | instskip(SKIP_3) | instid1(VALU_DEP_4)
	v_dual_ashrrev_i32 v4, 31, v4 :: v_dual_lshlrev_b32 v6, 29, v2
	v_dual_lshlrev_b32 v7, 28, v2 :: v_dual_lshlrev_b32 v38, 27, v2
	v_lshlrev_b32_e32 v39, 26, v2
	v_mul_lo_u32 v3, 0x44, v2
	v_cmp_gt_i32_e64 s11, 0, v6
	v_not_b32_e32 v5, v6
	v_not_b32_e32 v6, v7
	v_cmp_gt_i32_e64 s12, 0, v7
	v_xor_b32_e32 v1, s9, v1
	s_delay_alu instid0(VALU_DEP_4) | instskip(NEXT) | instid1(VALU_DEP_4)
	v_dual_ashrrev_i32 v5, 31, v5 :: v_dual_bitop2_b32 v4, s10, v4 bitop3:0x14
	v_ashrrev_i32_e32 v6, 31, v6
	v_dual_lshlrev_b32 v40, 25, v2 :: v_dual_lshlrev_b32 v2, 24, v2
	v_not_b32_e32 v7, v38
	v_not_b32_e32 v41, v39
	v_xor_b32_e32 v5, s11, v5
	v_xor_b32_e32 v6, s12, v6
	v_bitop3_b32 v1, v1, v4, exec_lo bitop3:0x80
	v_cmp_gt_i32_e64 s9, 0, v38
	v_ashrrev_i32_e32 v4, 31, v7
	v_cmp_gt_i32_e64 s10, 0, v39
	v_ashrrev_i32_e32 v7, 31, v41
	v_bitop3_b32 v1, v1, v6, v5 bitop3:0x80
	v_not_b32_e32 v5, v40
	v_not_b32_e32 v6, v2
	v_xor_b32_e32 v4, s9, v4
	v_xor_b32_e32 v7, s10, v7
	v_cmp_gt_i32_e64 s9, 0, v40
	v_ashrrev_i32_e32 v5, 31, v5
	v_cmp_gt_i32_e64 s10, 0, v2
	v_dual_ashrrev_i32 v2, 31, v6 :: v_dual_add_nc_u32 v40, v0, v3
	v_bitop3_b32 v1, v1, v7, v4 bitop3:0x80
	s_delay_alu instid0(VALU_DEP_4) | instskip(NEXT) | instid1(VALU_DEP_3)
	v_xor_b32_e32 v3, s9, v5
	v_xor_b32_e32 v2, s10, v2
	ds_load_b32 v38, v40 offset:64
	; wave barrier
	v_bitop3_b32 v1, v1, v2, v3 bitop3:0x80
	s_delay_alu instid0(VALU_DEP_1) | instskip(SKIP_1) | instid1(VALU_DEP_2)
	v_mbcnt_lo_u32_b32 v39, v1, 0
	v_cmp_ne_u32_e64 s10, 0, v1
	v_cmp_eq_u32_e64 s9, 0, v39
	s_and_b32 s10, s10, s9
	s_delay_alu instid0(SALU_CYCLE_1)
	s_and_saveexec_b32 s9, s10
	s_cbranch_execz .LBB211_29
; %bb.28:
	s_wait_dscnt 0x0
	v_bcnt_u32_b32 v1, v1, v38
	ds_store_b32 v40, v1 offset:64
.LBB211_29:
	s_or_b32 exec_lo, exec_lo, s9
	v_lshrrev_b32_e32 v1, s36, v16
	; wave barrier
	s_delay_alu instid0(VALU_DEP_1) | instskip(NEXT) | instid1(VALU_DEP_1)
	v_and_b32_e32 v2, s14, v1
	v_lshlrev_b32_e32 v5, 30, v2
	v_bitop3_b32 v1, v1, 1, s14 bitop3:0x80
	s_delay_alu instid0(VALU_DEP_2) | instskip(NEXT) | instid1(VALU_DEP_2)
	v_cmp_gt_i32_e64 s10, 0, v5
	v_add_co_u32 v1, s9, v1, -1
	s_delay_alu instid0(VALU_DEP_1) | instskip(NEXT) | instid1(VALU_DEP_1)
	v_cndmask_b32_e64 v4, 0, 1, s9
	v_cmp_ne_u32_e64 s9, 0, v4
	v_not_b32_e32 v4, v5
	s_delay_alu instid0(VALU_DEP_1) | instskip(SKIP_3) | instid1(VALU_DEP_4)
	v_dual_ashrrev_i32 v4, 31, v4 :: v_dual_lshlrev_b32 v6, 29, v2
	v_dual_lshlrev_b32 v7, 28, v2 :: v_dual_lshlrev_b32 v41, 27, v2
	v_lshlrev_b32_e32 v42, 26, v2
	v_mul_lo_u32 v3, 0x44, v2
	v_cmp_gt_i32_e64 s11, 0, v6
	v_not_b32_e32 v5, v6
	v_not_b32_e32 v6, v7
	v_cmp_gt_i32_e64 s12, 0, v7
	v_xor_b32_e32 v1, s9, v1
	s_delay_alu instid0(VALU_DEP_4) | instskip(NEXT) | instid1(VALU_DEP_4)
	v_dual_ashrrev_i32 v5, 31, v5 :: v_dual_bitop2_b32 v4, s10, v4 bitop3:0x14
	v_ashrrev_i32_e32 v6, 31, v6
	v_dual_lshlrev_b32 v43, 25, v2 :: v_dual_lshlrev_b32 v2, 24, v2
	v_not_b32_e32 v7, v41
	v_not_b32_e32 v44, v42
	v_xor_b32_e32 v5, s11, v5
	v_xor_b32_e32 v6, s12, v6
	v_bitop3_b32 v1, v1, v4, exec_lo bitop3:0x80
	v_cmp_gt_i32_e64 s9, 0, v41
	v_ashrrev_i32_e32 v4, 31, v7
	v_cmp_gt_i32_e64 s10, 0, v42
	v_ashrrev_i32_e32 v7, 31, v44
	v_bitop3_b32 v1, v1, v6, v5 bitop3:0x80
	v_not_b32_e32 v5, v43
	v_not_b32_e32 v6, v2
	v_xor_b32_e32 v4, s9, v4
	v_xor_b32_e32 v7, s10, v7
	v_cmp_gt_i32_e64 s9, 0, v43
	v_ashrrev_i32_e32 v5, 31, v5
	v_cmp_gt_i32_e64 s10, 0, v2
	v_dual_ashrrev_i32 v2, 31, v6 :: v_dual_add_nc_u32 v43, v0, v3
	v_bitop3_b32 v1, v1, v7, v4 bitop3:0x80
	s_delay_alu instid0(VALU_DEP_4) | instskip(NEXT) | instid1(VALU_DEP_3)
	v_xor_b32_e32 v3, s9, v5
	v_xor_b32_e32 v2, s10, v2
	ds_load_b32 v41, v43 offset:64
	; wave barrier
	v_bitop3_b32 v1, v1, v2, v3 bitop3:0x80
	s_delay_alu instid0(VALU_DEP_1) | instskip(SKIP_1) | instid1(VALU_DEP_2)
	v_mbcnt_lo_u32_b32 v42, v1, 0
	v_cmp_ne_u32_e64 s10, 0, v1
	v_cmp_eq_u32_e64 s9, 0, v42
	s_and_b32 s10, s10, s9
	s_delay_alu instid0(SALU_CYCLE_1)
	s_and_saveexec_b32 s9, s10
	s_cbranch_execz .LBB211_31
; %bb.30:
	s_wait_dscnt 0x0
	v_bcnt_u32_b32 v1, v1, v41
	ds_store_b32 v43, v1 offset:64
.LBB211_31:
	s_or_b32 exec_lo, exec_lo, s9
	v_lshrrev_b32_e32 v1, s36, v15
	; wave barrier
	s_delay_alu instid0(VALU_DEP_1) | instskip(NEXT) | instid1(VALU_DEP_1)
	v_and_b32_e32 v2, s14, v1
	v_lshlrev_b32_e32 v5, 30, v2
	v_bitop3_b32 v1, v1, 1, s14 bitop3:0x80
	s_delay_alu instid0(VALU_DEP_2) | instskip(NEXT) | instid1(VALU_DEP_2)
	v_cmp_gt_i32_e64 s10, 0, v5
	v_add_co_u32 v1, s9, v1, -1
	s_delay_alu instid0(VALU_DEP_1) | instskip(NEXT) | instid1(VALU_DEP_1)
	v_cndmask_b32_e64 v4, 0, 1, s9
	v_cmp_ne_u32_e64 s9, 0, v4
	v_not_b32_e32 v4, v5
	s_delay_alu instid0(VALU_DEP_1) | instskip(SKIP_3) | instid1(VALU_DEP_4)
	v_dual_ashrrev_i32 v4, 31, v4 :: v_dual_lshlrev_b32 v6, 29, v2
	v_dual_lshlrev_b32 v7, 28, v2 :: v_dual_lshlrev_b32 v44, 27, v2
	v_lshlrev_b32_e32 v45, 26, v2
	v_mul_lo_u32 v3, 0x44, v2
	v_cmp_gt_i32_e64 s11, 0, v6
	v_not_b32_e32 v5, v6
	v_not_b32_e32 v6, v7
	v_cmp_gt_i32_e64 s12, 0, v7
	v_xor_b32_e32 v1, s9, v1
	s_delay_alu instid0(VALU_DEP_4) | instskip(NEXT) | instid1(VALU_DEP_4)
	v_dual_ashrrev_i32 v5, 31, v5 :: v_dual_bitop2_b32 v4, s10, v4 bitop3:0x14
	v_ashrrev_i32_e32 v6, 31, v6
	v_dual_lshlrev_b32 v46, 25, v2 :: v_dual_lshlrev_b32 v2, 24, v2
	v_not_b32_e32 v7, v44
	v_not_b32_e32 v47, v45
	v_xor_b32_e32 v5, s11, v5
	v_xor_b32_e32 v6, s12, v6
	v_bitop3_b32 v1, v1, v4, exec_lo bitop3:0x80
	v_cmp_gt_i32_e64 s9, 0, v44
	v_ashrrev_i32_e32 v4, 31, v7
	v_cmp_gt_i32_e64 s10, 0, v45
	v_ashrrev_i32_e32 v7, 31, v47
	v_bitop3_b32 v1, v1, v6, v5 bitop3:0x80
	v_not_b32_e32 v5, v46
	v_not_b32_e32 v6, v2
	v_xor_b32_e32 v4, s9, v4
	v_xor_b32_e32 v7, s10, v7
	v_cmp_gt_i32_e64 s9, 0, v46
	v_ashrrev_i32_e32 v5, 31, v5
	v_cmp_gt_i32_e64 s10, 0, v2
	v_dual_ashrrev_i32 v2, 31, v6 :: v_dual_add_nc_u32 v46, v0, v3
	v_bitop3_b32 v0, v1, v7, v4 bitop3:0x80
	s_delay_alu instid0(VALU_DEP_4) | instskip(NEXT) | instid1(VALU_DEP_3)
	v_xor_b32_e32 v1, s9, v5
	v_xor_b32_e32 v2, s10, v2
	ds_load_b32 v44, v46 offset:64
	; wave barrier
	v_bitop3_b32 v0, v0, v2, v1 bitop3:0x80
	s_delay_alu instid0(VALU_DEP_1) | instskip(SKIP_1) | instid1(VALU_DEP_2)
	v_mbcnt_lo_u32_b32 v45, v0, 0
	v_cmp_ne_u32_e64 s10, 0, v0
	v_cmp_eq_u32_e64 s9, 0, v45
	s_and_b32 s10, s10, s9
	s_delay_alu instid0(SALU_CYCLE_1)
	s_and_saveexec_b32 s9, s10
	s_cbranch_execz .LBB211_33
; %bb.32:
	s_wait_dscnt 0x0
	v_bcnt_u32_b32 v0, v0, v44
	ds_store_b32 v46, v0 offset:64
.LBB211_33:
	s_or_b32 exec_lo, exec_lo, s9
	; wave barrier
	s_wait_dscnt 0x0
	s_barrier_signal -1
	s_barrier_wait -1
	ds_load_2addr_b32 v[6:7], v24 offset0:16 offset1:17
	ds_load_2addr_b32 v[4:5], v24 offset0:18 offset1:19
	;; [unrolled: 1-line block ×4, first 2 shown]
	ds_load_b32 v47, v24 offset:96
	v_bfe_i32 v50, v20, 4, 1
	s_mov_b32 s15, exec_lo
	s_wait_dscnt 0x3
	v_add3_u32 v48, v7, v6, v4
	s_wait_dscnt 0x2
	s_delay_alu instid0(VALU_DEP_1) | instskip(SKIP_1) | instid1(VALU_DEP_1)
	v_add3_u32 v48, v48, v5, v2
	s_wait_dscnt 0x1
	v_add3_u32 v48, v48, v3, v0
	s_wait_dscnt 0x0
	s_delay_alu instid0(VALU_DEP_1) | instskip(SKIP_1) | instid1(VALU_DEP_2)
	v_add3_u32 v47, v48, v1, v47
	v_and_b32_e32 v48, 15, v20
	v_mov_b32_dpp v49, v47 row_shr:1 row_mask:0xf bank_mask:0xf
	s_delay_alu instid0(VALU_DEP_2) | instskip(NEXT) | instid1(VALU_DEP_1)
	v_cmp_eq_u32_e64 s9, 0, v48
	v_cndmask_b32_e64 v49, v49, 0, s9
	s_delay_alu instid0(VALU_DEP_1) | instskip(SKIP_3) | instid1(VALU_DEP_4)
	v_add_nc_u32_e32 v47, v49, v47
	v_cmp_lt_u32_e64 s10, 1, v48
	v_cmp_lt_u32_e64 s11, 3, v48
	;; [unrolled: 1-line block ×3, first 2 shown]
	v_mov_b32_dpp v49, v47 row_shr:2 row_mask:0xf bank_mask:0xf
	s_delay_alu instid0(VALU_DEP_1) | instskip(NEXT) | instid1(VALU_DEP_1)
	v_cndmask_b32_e64 v49, 0, v49, s10
	v_add_nc_u32_e32 v47, v47, v49
	s_delay_alu instid0(VALU_DEP_1) | instskip(NEXT) | instid1(VALU_DEP_1)
	v_mov_b32_dpp v49, v47 row_shr:4 row_mask:0xf bank_mask:0xf
	v_cndmask_b32_e64 v49, 0, v49, s11
	s_delay_alu instid0(VALU_DEP_1) | instskip(NEXT) | instid1(VALU_DEP_1)
	v_add_nc_u32_e32 v47, v47, v49
	v_mov_b32_dpp v49, v47 row_shr:8 row_mask:0xf bank_mask:0xf
	s_delay_alu instid0(VALU_DEP_1) | instskip(SKIP_1) | instid1(VALU_DEP_2)
	v_cndmask_b32_e64 v48, 0, v49, s12
	v_and_b32_e32 v49, 0x3e0, v18
	v_add_nc_u32_e32 v47, v47, v48
	s_delay_alu instid0(VALU_DEP_2) | instskip(SKIP_3) | instid1(VALU_DEP_1)
	v_min_u32_e32 v49, 0x1e0, v49
	ds_swizzle_b32 v48, v47 offset:swizzle(BROADCAST,32,15)
	s_wait_dscnt 0x0
	v_dual_lshrrev_b32 v48, 5, v18 :: v_dual_bitop2_b32 v50, v50, v48 bitop3:0x40
	v_dual_add_nc_u32 v47, v47, v50 :: v_dual_bitop2_b32 v49, 31, v49 bitop3:0x54
	s_delay_alu instid0(VALU_DEP_1)
	v_cmpx_eq_u32_e64 v18, v49
; %bb.34:
	s_delay_alu instid0(VALU_DEP_3)
	v_lshlrev_b32_e32 v49, 2, v48
	ds_store_b32 v49, v47
; %bb.35:
	s_or_b32 exec_lo, exec_lo, s15
	s_delay_alu instid0(SALU_CYCLE_1)
	s_mov_b32 s15, exec_lo
	s_wait_dscnt 0x0
	s_barrier_signal -1
	s_barrier_wait -1
	v_cmpx_gt_u32_e32 16, v18
	s_cbranch_execz .LBB211_37
; %bb.36:
	v_lshlrev_b32_e32 v49, 2, v18
	ds_load_b32 v50, v49
	s_wait_dscnt 0x0
	v_mov_b32_dpp v51, v50 row_shr:1 row_mask:0xf bank_mask:0xf
	s_delay_alu instid0(VALU_DEP_1) | instskip(NEXT) | instid1(VALU_DEP_1)
	v_cndmask_b32_e64 v51, v51, 0, s9
	v_add_nc_u32_e32 v50, v51, v50
	s_delay_alu instid0(VALU_DEP_1) | instskip(NEXT) | instid1(VALU_DEP_1)
	v_mov_b32_dpp v51, v50 row_shr:2 row_mask:0xf bank_mask:0xf
	v_cndmask_b32_e64 v51, 0, v51, s10
	s_delay_alu instid0(VALU_DEP_1) | instskip(NEXT) | instid1(VALU_DEP_1)
	v_add_nc_u32_e32 v50, v50, v51
	v_mov_b32_dpp v51, v50 row_shr:4 row_mask:0xf bank_mask:0xf
	s_delay_alu instid0(VALU_DEP_1) | instskip(NEXT) | instid1(VALU_DEP_1)
	v_cndmask_b32_e64 v51, 0, v51, s11
	v_add_nc_u32_e32 v50, v50, v51
	s_delay_alu instid0(VALU_DEP_1) | instskip(NEXT) | instid1(VALU_DEP_1)
	v_mov_b32_dpp v51, v50 row_shr:8 row_mask:0xf bank_mask:0xf
	v_cndmask_b32_e64 v51, 0, v51, s12
	s_delay_alu instid0(VALU_DEP_1)
	v_add_nc_u32_e32 v50, v50, v51
	ds_store_b32 v49, v50
.LBB211_37:
	s_or_b32 exec_lo, exec_lo, s15
	v_mov_b32_e32 v49, 0
	s_mov_b32 s10, exec_lo
	s_wait_dscnt 0x0
	s_barrier_signal -1
	s_barrier_wait -1
	v_cmpx_lt_u32_e32 31, v18
; %bb.38:
	v_lshl_add_u32 v48, v48, 2, -4
	ds_load_b32 v49, v48
; %bb.39:
	s_or_b32 exec_lo, exec_lo, s10
	v_sub_co_u32 v48, s9, v20, 1
	s_wait_dscnt 0x0
	v_add_nc_u32_e32 v47, v49, v47
	s_delay_alu instid0(VALU_DEP_2) | instskip(NEXT) | instid1(VALU_DEP_1)
	v_cmp_gt_i32_e64 s10, 0, v48
	v_cndmask_b32_e64 v48, v48, v20, s10
	v_cmp_gt_u32_e64 s10, 0x100, v18
	s_delay_alu instid0(VALU_DEP_2) | instskip(SKIP_4) | instid1(VALU_DEP_1)
	v_lshlrev_b32_e32 v48, 2, v48
	ds_bpermute_b32 v47, v48, v47
	s_wait_dscnt 0x0
	v_cndmask_b32_e64 v47, v47, v49, s9
	v_cmp_ne_u32_e64 s9, 0, v18
	v_cndmask_b32_e64 v47, 0, v47, s9
	v_cmp_lt_u32_e64 s9, 0xff, v18
	s_delay_alu instid0(VALU_DEP_2) | instskip(NEXT) | instid1(VALU_DEP_1)
	v_add_nc_u32_e32 v6, v47, v6
	v_add_nc_u32_e32 v7, v6, v7
	s_delay_alu instid0(VALU_DEP_1) | instskip(NEXT) | instid1(VALU_DEP_1)
	v_add_nc_u32_e32 v4, v7, v4
	v_add_nc_u32_e32 v5, v4, v5
	s_delay_alu instid0(VALU_DEP_1) | instskip(NEXT) | instid1(VALU_DEP_1)
	;; [unrolled: 3-line block ×3, first 2 shown]
	v_add_nc_u32_e32 v0, v3, v0
	v_add_nc_u32_e32 v1, v0, v1
	ds_store_2addr_b32 v24, v47, v6 offset0:16 offset1:17
	ds_store_2addr_b32 v24, v7, v4 offset0:18 offset1:19
	;; [unrolled: 1-line block ×4, first 2 shown]
	ds_store_b32 v24, v1 offset:96
	s_wait_dscnt 0x0
	s_barrier_signal -1
	s_barrier_wait -1
	ds_load_b32 v0, v25 offset:64
	ds_load_b32 v1, v28 offset:64
	;; [unrolled: 1-line block ×8, first 2 shown]
                                        ; implicit-def: $vgpr24
                                        ; implicit-def: $vgpr25
	s_and_saveexec_b32 s12, s10
	s_cbranch_execz .LBB211_43
; %bb.40:
	v_mul_u32_u24_e32 v24, 0x44, v18
	v_dual_mov_b32 v25, 0x1000 :: v_dual_add_nc_u32 v28, 1, v18
	s_mov_b32 s13, exec_lo
	ds_load_b32 v24, v24 offset:64
	v_cmpx_ne_u32_e32 0x100, v28
; %bb.41:
	v_mul_u32_u24_e32 v25, 0x44, v28
	ds_load_b32 v25, v25 offset:64
; %bb.42:
	s_or_b32 exec_lo, exec_lo, s13
	s_wait_dscnt 0x0
	v_sub_nc_u32_e32 v25, v25, v24
.LBB211_43:
	s_or_b32 exec_lo, exec_lo, s12
	s_wait_dscnt 0x6
	v_add3_u32 v26, v27, v26, v1
	v_add_nc_u32_e32 v28, v0, v17
	s_wait_dscnt 0x5
	v_add3_u32 v27, v30, v29, v2
	s_wait_dscnt 0x4
	v_add3_u32 v29, v33, v32, v3
	;; [unrolled: 2-line block ×4, first 2 shown]
	v_dual_lshlrev_b32 v1, 2, v26 :: v_dual_lshlrev_b32 v0, 2, v28
	v_lshlrev_b32_e32 v2, 2, v27
	v_add3_u32 v31, v39, v38, v5
	v_add3_u32 v32, v42, v41, v6
	v_lshlrev_b32_e32 v3, 2, v29
	s_barrier_signal -1
	s_barrier_wait -1
	ds_store_b32 v0, v10 offset:1024
	ds_store_b32 v1, v9 offset:1024
	;; [unrolled: 1-line block ×4, first 2 shown]
	v_dual_lshlrev_b32 v0, 2, v30 :: v_dual_lshlrev_b32 v4, 2, v33
	v_dual_mov_b32 v1, 0 :: v_dual_lshlrev_b32 v34, 2, v18
	v_dual_lshlrev_b32 v2, 2, v31 :: v_dual_lshlrev_b32 v3, 2, v32
	ds_store_b32 v0, v14 offset:1024
	ds_store_b32 v2, v13 offset:1024
	;; [unrolled: 1-line block ×4, first 2 shown]
	s_and_saveexec_b32 s11, s10
	s_cbranch_execz .LBB211_53
; %bb.44:
	v_lshl_add_u32 v0, s17, 8, v18
	v_dual_mov_b32 v6, 0 :: v_dual_bitop2_b32 v4, 2.0, v25 bitop3:0x54
	s_mov_b32 s12, 0
	s_mov_b32 s13, s17
	s_delay_alu instid0(VALU_DEP_2)
	v_lshl_add_u64 v[2:3], v[0:1], 2, s[18:19]
	global_store_b32 v0, v4, s[18:19] scale_offset scope:SCOPE_DEV
                                        ; implicit-def: $sgpr10
	s_branch .LBB211_47
.LBB211_45:                             ;   in Loop: Header=BB211_47 Depth=1
	s_or_b32 exec_lo, exec_lo, s16
.LBB211_46:                             ;   in Loop: Header=BB211_47 Depth=1
	s_delay_alu instid0(SALU_CYCLE_1) | instskip(SKIP_2) | instid1(VALU_DEP_2)
	s_or_b32 exec_lo, exec_lo, s15
	v_and_b32_e32 v0, 0x3fffffff, v7
	v_cmp_gt_i32_e64 s10, -2.0, v7
	v_add_nc_u32_e32 v6, v0, v6
	s_and_b32 s15, exec_lo, s10
	s_delay_alu instid0(SALU_CYCLE_1) | instskip(NEXT) | instid1(SALU_CYCLE_1)
	s_or_b32 s12, s15, s12
	s_and_not1_b32 exec_lo, exec_lo, s12
	s_cbranch_execz .LBB211_52
.LBB211_47:                             ; =>This Loop Header: Depth=1
                                        ;     Child Loop BB211_50 Depth 2
	s_or_b32 s10, s10, exec_lo
	s_cmp_eq_u32 s13, 0
	s_cbranch_scc1 .LBB211_51
; %bb.48:                               ;   in Loop: Header=BB211_47 Depth=1
	s_add_co_i32 s13, s13, -1
	s_mov_b32 s15, exec_lo
	s_wait_xcnt 0x0
	v_lshl_or_b32 v0, s13, 8, v18
	global_load_b32 v7, v0, s[18:19] scale_offset scope:SCOPE_DEV
	s_wait_loadcnt 0x0
	v_cmpx_gt_u32_e32 2.0, v7
	s_cbranch_execz .LBB211_46
; %bb.49:                               ;   in Loop: Header=BB211_47 Depth=1
	v_lshl_add_u64 v[4:5], v[0:1], 2, s[18:19]
	s_mov_b32 s16, 0
.LBB211_50:                             ;   Parent Loop BB211_47 Depth=1
                                        ; =>  This Inner Loop Header: Depth=2
	global_load_b32 v7, v[4:5], off scope:SCOPE_DEV
	s_wait_loadcnt 0x0
	v_cmp_lt_u32_e64 s10, 0x3fffffff, v7
	s_or_b32 s16, s10, s16
	s_wait_xcnt 0x0
	s_and_not1_b32 exec_lo, exec_lo, s16
	s_cbranch_execnz .LBB211_50
	s_branch .LBB211_45
.LBB211_51:                             ;   in Loop: Header=BB211_47 Depth=1
                                        ; implicit-def: $sgpr13
	s_and_b32 s15, exec_lo, s10
	s_delay_alu instid0(SALU_CYCLE_1)
	s_or_b32 s12, s15, s12
	s_wait_xcnt 0x0
	s_and_not1_b32 exec_lo, exec_lo, s12
	s_cbranch_execnz .LBB211_47
.LBB211_52:
	s_or_b32 exec_lo, exec_lo, s12
	v_dual_add_nc_u32 v0, v6, v25 :: v_dual_sub_nc_u32 v1, v6, v24
	s_delay_alu instid0(VALU_DEP_1)
	v_or_b32_e32 v0, 0x80000000, v0
	global_store_b32 v[2:3], v0, off scope:SCOPE_DEV
	global_load_b32 v0, v18, s[28:29] scale_offset
	s_wait_loadcnt 0x0
	v_add_nc_u32_e32 v0, v1, v0
	ds_store_b32 v34, v0
.LBB211_53:
	s_wait_xcnt 0x0
	s_or_b32 exec_lo, exec_lo, s11
	v_lshl_add_u32 v35, v19, 5, 0x4850
	s_mov_b32 s11, exec_lo
	s_wait_storecnt_dscnt 0x0
	s_barrier_signal -1
	s_barrier_wait -1
	v_cmpx_gt_u32_e64 s33, v18
	s_cbranch_execz .LBB211_55
; %bb.54:
	ds_load_b32 v0, v34 offset:1024
	s_wait_dscnt 0x0
	v_lshrrev_b32_e32 v1, s36, v0
	s_delay_alu instid0(VALU_DEP_1) | instskip(NEXT) | instid1(VALU_DEP_1)
	v_and_b32_e32 v1, s14, v1
	v_lshlrev_b32_e32 v2, 2, v1
	ds_store_b32 v35, v1
	ds_load_b32 v2, v2
	s_wait_dscnt 0x0
	v_add_nc_u32_e32 v2, v2, v18
	global_store_b32 v2, v0, s[22:23] scale_offset
.LBB211_55:
	s_wait_xcnt 0x0
	s_or_b32 exec_lo, exec_lo, s11
	v_add_nc_u32_e32 v0, 0x200, v18
	s_mov_b32 s11, exec_lo
	s_delay_alu instid0(VALU_DEP_1)
	v_cmpx_gt_u32_e64 s33, v0
	s_cbranch_execz .LBB211_57
; %bb.56:
	ds_load_b32 v1, v34 offset:3072
	s_wait_dscnt 0x0
	v_lshrrev_b32_e32 v2, s36, v1
	s_delay_alu instid0(VALU_DEP_1) | instskip(NEXT) | instid1(VALU_DEP_1)
	v_and_b32_e32 v2, s14, v2
	v_lshlrev_b32_e32 v3, 2, v2
	ds_store_b32 v35, v2 offset:4
	ds_load_b32 v3, v3
	s_wait_dscnt 0x0
	v_add_nc_u32_e32 v0, v3, v0
	global_store_b32 v0, v1, s[22:23] scale_offset
.LBB211_57:
	s_wait_xcnt 0x0
	s_or_b32 exec_lo, exec_lo, s11
	v_or_b32_e32 v0, 0x400, v18
	s_mov_b32 s11, exec_lo
	s_delay_alu instid0(VALU_DEP_1)
	v_cmpx_gt_u32_e64 s33, v0
	s_cbranch_execz .LBB211_59
; %bb.58:
	ds_load_b32 v1, v34 offset:5120
	s_wait_dscnt 0x0
	v_lshrrev_b32_e32 v2, s36, v1
	s_delay_alu instid0(VALU_DEP_1) | instskip(NEXT) | instid1(VALU_DEP_1)
	v_and_b32_e32 v2, s14, v2
	v_lshlrev_b32_e32 v3, 2, v2
	ds_store_b32 v35, v2 offset:8
	ds_load_b32 v3, v3
	s_wait_dscnt 0x0
	v_add_nc_u32_e32 v0, v3, v0
	global_store_b32 v0, v1, s[22:23] scale_offset
.LBB211_59:
	s_wait_xcnt 0x0
	s_or_b32 exec_lo, exec_lo, s11
	v_add_nc_u32_e32 v0, 0x600, v18
	s_mov_b32 s11, exec_lo
	s_delay_alu instid0(VALU_DEP_1)
	v_cmpx_gt_u32_e64 s33, v0
	s_cbranch_execz .LBB211_61
; %bb.60:
	ds_load_b32 v1, v34 offset:7168
	s_wait_dscnt 0x0
	v_lshrrev_b32_e32 v2, s36, v1
	s_delay_alu instid0(VALU_DEP_1) | instskip(NEXT) | instid1(VALU_DEP_1)
	v_and_b32_e32 v2, s14, v2
	v_lshlrev_b32_e32 v3, 2, v2
	ds_store_b32 v35, v2 offset:12
	ds_load_b32 v3, v3
	s_wait_dscnt 0x0
	v_add_nc_u32_e32 v0, v3, v0
	global_store_b32 v0, v1, s[22:23] scale_offset
.LBB211_61:
	s_wait_xcnt 0x0
	s_or_b32 exec_lo, exec_lo, s11
	v_or_b32_e32 v0, 0x800, v18
	v_add_nc_u32_e32 v36, 16, v35
	s_mov_b32 s11, exec_lo
	s_delay_alu instid0(VALU_DEP_2)
	v_cmpx_gt_u32_e64 s33, v0
	s_cbranch_execz .LBB211_63
; %bb.62:
	ds_load_b32 v1, v34 offset:9216
	s_wait_dscnt 0x0
	v_lshrrev_b32_e32 v2, s36, v1
	s_delay_alu instid0(VALU_DEP_1) | instskip(NEXT) | instid1(VALU_DEP_1)
	v_and_b32_e32 v2, s14, v2
	v_lshlrev_b32_e32 v3, 2, v2
	ds_store_b32 v36, v2
	ds_load_b32 v3, v3
	s_wait_dscnt 0x0
	v_add_nc_u32_e32 v0, v3, v0
	global_store_b32 v0, v1, s[22:23] scale_offset
.LBB211_63:
	s_wait_xcnt 0x0
	s_or_b32 exec_lo, exec_lo, s11
	v_add_nc_u32_e32 v0, 0xa00, v18
	s_mov_b32 s11, exec_lo
	s_delay_alu instid0(VALU_DEP_1)
	v_cmpx_gt_u32_e64 s33, v0
	s_cbranch_execz .LBB211_65
; %bb.64:
	ds_load_b32 v1, v34 offset:11264
	s_wait_dscnt 0x0
	v_lshrrev_b32_e32 v2, s36, v1
	s_delay_alu instid0(VALU_DEP_1) | instskip(NEXT) | instid1(VALU_DEP_1)
	v_and_b32_e32 v2, s14, v2
	v_lshlrev_b32_e32 v3, 2, v2
	ds_store_b32 v35, v2 offset:20
	ds_load_b32 v3, v3
	s_wait_dscnt 0x0
	v_add_nc_u32_e32 v0, v3, v0
	global_store_b32 v0, v1, s[22:23] scale_offset
.LBB211_65:
	s_wait_xcnt 0x0
	s_or_b32 exec_lo, exec_lo, s11
	v_or_b32_e32 v0, 0xc00, v18
	s_mov_b32 s11, exec_lo
	s_delay_alu instid0(VALU_DEP_1)
	v_cmpx_gt_u32_e64 s33, v0
	s_cbranch_execz .LBB211_67
; %bb.66:
	ds_load_b32 v1, v34 offset:13312
	s_wait_dscnt 0x0
	v_lshrrev_b32_e32 v2, s36, v1
	s_delay_alu instid0(VALU_DEP_1) | instskip(NEXT) | instid1(VALU_DEP_1)
	v_and_b32_e32 v2, s14, v2
	v_lshlrev_b32_e32 v3, 2, v2
	ds_store_b32 v35, v2 offset:24
	ds_load_b32 v3, v3
	s_wait_dscnt 0x0
	v_add_nc_u32_e32 v0, v3, v0
	global_store_b32 v0, v1, s[22:23] scale_offset
.LBB211_67:
	s_wait_xcnt 0x0
	s_or_b32 exec_lo, exec_lo, s11
	v_add_nc_u32_e32 v0, 0xe00, v18
	s_mov_b32 s11, exec_lo
	s_delay_alu instid0(VALU_DEP_1)
	v_cmpx_gt_u32_e64 s33, v0
	s_cbranch_execz .LBB211_69
; %bb.68:
	ds_load_b32 v1, v34 offset:15360
	s_wait_dscnt 0x0
	v_lshrrev_b32_e32 v2, s36, v1
	s_delay_alu instid0(VALU_DEP_1) | instskip(NEXT) | instid1(VALU_DEP_1)
	v_and_b32_e32 v2, s14, v2
	v_lshlrev_b32_e32 v3, 2, v2
	ds_store_b32 v35, v2 offset:28
	ds_load_b32 v3, v3
	s_wait_dscnt 0x0
	v_add_nc_u32_e32 v0, v3, v0
	global_store_b32 v0, v1, s[22:23] scale_offset
.LBB211_69:
	s_wait_xcnt 0x0
	s_or_b32 exec_lo, exec_lo, s11
	v_dual_mov_b32 v0, 0 :: v_dual_lshlrev_b32 v2, 3, v20
	s_lshl_b64 s[10:11], s[40:41], 3
	v_lshlrev_b32_e32 v4, 3, v8
	s_add_nc_u64 s[10:11], s[24:25], s[10:11]
	s_delay_alu instid0(VALU_DEP_2) | instskip(NEXT) | instid1(VALU_DEP_1)
	v_dual_mov_b32 v3, v0 :: v_dual_mov_b32 v5, v0
	v_add_nc_u64_e32 v[2:3], s[10:11], v[2:3]
	s_delay_alu instid0(VALU_DEP_1)
	v_add_nc_u64_e32 v[16:17], v[2:3], v[4:5]
	v_dual_mov_b32 v2, 0 :: v_dual_mov_b32 v3, 0
	s_and_saveexec_b32 s10, s8
	s_cbranch_execz .LBB211_71
; %bb.70:
	global_load_b64 v[2:3], v[16:17], off
.LBB211_71:
	s_wait_xcnt 0x0
	s_or_b32 exec_lo, exec_lo, s10
	v_mov_b32_e32 v1, 0
	s_and_saveexec_b32 s8, s7
	s_cbranch_execz .LBB211_73
; %bb.72:
	global_load_b64 v[0:1], v[16:17], off offset:256
.LBB211_73:
	s_wait_xcnt 0x0
	s_or_b32 exec_lo, exec_lo, s8
	v_dual_mov_b32 v4, 0 :: v_dual_mov_b32 v6, 0
	v_mov_b32_e32 v7, 0
	s_and_saveexec_b32 s7, s6
	s_cbranch_execz .LBB211_75
; %bb.74:
	global_load_b64 v[6:7], v[16:17], off offset:512
.LBB211_75:
	s_wait_xcnt 0x0
	s_or_b32 exec_lo, exec_lo, s7
	v_mov_b32_e32 v5, 0
	s_and_saveexec_b32 s6, s5
	s_cbranch_execz .LBB211_77
; %bb.76:
	global_load_b64 v[4:5], v[16:17], off offset:768
.LBB211_77:
	s_wait_xcnt 0x0
	s_or_b32 exec_lo, exec_lo, s6
	v_dual_mov_b32 v8, 0 :: v_dual_mov_b32 v10, 0
	v_mov_b32_e32 v11, 0
	s_and_saveexec_b32 s5, s4
	s_cbranch_execz .LBB211_79
; %bb.78:
	global_load_b64 v[10:11], v[16:17], off offset:1024
.LBB211_79:
	s_wait_xcnt 0x0
	s_or_b32 exec_lo, exec_lo, s5
	v_mov_b32_e32 v9, 0
	s_and_saveexec_b32 s4, s1
	s_cbranch_execz .LBB211_81
; %bb.80:
	global_load_b64 v[8:9], v[16:17], off offset:1280
.LBB211_81:
	s_wait_xcnt 0x0
	s_or_b32 exec_lo, exec_lo, s4
	v_dual_mov_b32 v12, 0 :: v_dual_mov_b32 v14, 0
	v_mov_b32_e32 v15, 0
	s_and_saveexec_b32 s1, s0
	s_cbranch_execz .LBB211_83
; %bb.82:
	global_load_b64 v[14:15], v[16:17], off offset:1536
.LBB211_83:
	s_wait_xcnt 0x0
	s_or_b32 exec_lo, exec_lo, s1
	v_mov_b32_e32 v13, 0
	s_and_saveexec_b32 s0, vcc_lo
	s_cbranch_execz .LBB211_85
; %bb.84:
	global_load_b64 v[12:13], v[16:17], off offset:1792
.LBB211_85:
	s_wait_xcnt 0x0
	s_or_b32 exec_lo, exec_lo, s0
	v_mov_b32_e32 v16, v18
	s_mov_b32 s0, -1
	s_wait_loadcnt 0x0
	s_wait_storecnt 0x0
	s_barrier_signal -1
	s_barrier_wait -1
	s_branch .LBB211_87
.LBB211_86:                             ;   in Loop: Header=BB211_87 Depth=1
	s_wait_xcnt 0x0
	s_or_b32 exec_lo, exec_lo, s1
	v_dual_mov_b32 v35, v36 :: v_dual_add_nc_u32 v16, 0x800, v16
	v_add_nc_u32_e32 v33, 0xfffff800, v33
	v_add_nc_u32_e32 v32, 0xfffff800, v32
	v_add_nc_u32_e32 v31, 0xfffff800, v31
	v_add_nc_u32_e32 v30, 0xfffff800, v30
	v_add_nc_u32_e32 v29, 0xfffff800, v29
	v_add_nc_u32_e32 v27, 0xfffff800, v27
	v_add_nc_u32_e32 v26, 0xfffff800, v26
	v_add_nc_u32_e32 v28, 0xfffff800, v28
	s_xor_b32 s0, s0, -1
	s_wait_storecnt 0x0
	s_and_b32 vcc_lo, exec_lo, s0
	s_mov_b32 s0, 0
	s_barrier_signal -1
	s_barrier_wait -1
	s_cbranch_vccnz .LBB211_95
.LBB211_87:                             ; =>This Inner Loop Header: Depth=1
	v_min_u32_e32 v17, 0x800, v28
	v_min_u32_e32 v37, 0x800, v26
	;; [unrolled: 1-line block ×5, first 2 shown]
	v_lshlrev_b32_e32 v17, 3, v17
	s_delay_alu instid0(VALU_DEP_4) | instskip(NEXT) | instid1(VALU_DEP_4)
	v_dual_lshlrev_b32 v37, 3, v37 :: v_dual_lshlrev_b32 v38, 3, v38
	v_lshlrev_b32_e32 v39, 3, v39
	s_mov_b32 s1, exec_lo
	ds_store_b64 v17, v[2:3] offset:1024
	ds_store_b64 v37, v[0:1] offset:1024
	;; [unrolled: 1-line block ×3, first 2 shown]
	v_min_u32_e32 v17, 0x800, v31
	v_min_u32_e32 v37, 0x800, v32
	;; [unrolled: 1-line block ×3, first 2 shown]
	s_delay_alu instid0(VALU_DEP_3) | instskip(NEXT) | instid1(VALU_DEP_2)
	v_dual_lshlrev_b32 v40, 3, v40 :: v_dual_lshlrev_b32 v17, 3, v17
	v_dual_lshlrev_b32 v37, 3, v37 :: v_dual_lshlrev_b32 v38, 3, v38
	ds_store_b64 v39, v[4:5] offset:1024
	ds_store_b64 v40, v[10:11] offset:1024
	;; [unrolled: 1-line block ×5, first 2 shown]
	s_wait_dscnt 0x0
	s_barrier_signal -1
	s_barrier_wait -1
	v_cmpx_gt_u32_e64 s33, v16
	s_cbranch_execz .LBB211_89
; %bb.88:                               ;   in Loop: Header=BB211_87 Depth=1
	ds_load_b32 v17, v35
	s_wait_dscnt 0x0
	v_lshlrev_b32_e32 v17, 2, v17
	ds_load_b32 v17, v17
	ds_load_b64 v[38:39], v23 offset:1024
	s_wait_dscnt 0x1
	v_add_nc_u32_e32 v17, v16, v17
	s_wait_dscnt 0x0
	global_store_b64 v17, v[38:39], s[26:27] scale_offset
.LBB211_89:                             ;   in Loop: Header=BB211_87 Depth=1
	s_wait_xcnt 0x0
	s_or_b32 exec_lo, exec_lo, s1
	v_add_nc_u32_e32 v17, 0x200, v16
	s_mov_b32 s1, exec_lo
	s_delay_alu instid0(VALU_DEP_1)
	v_cmpx_gt_u32_e64 s33, v17
	s_cbranch_execz .LBB211_91
; %bb.90:                               ;   in Loop: Header=BB211_87 Depth=1
	ds_load_b32 v17, v35 offset:4
	s_wait_dscnt 0x0
	v_lshlrev_b32_e32 v17, 2, v17
	ds_load_b32 v17, v17
	ds_load_b64 v[38:39], v23 offset:5120
	s_wait_dscnt 0x1
	v_add3_u32 v17, v16, v17, 0x200
	s_wait_dscnt 0x0
	global_store_b64 v17, v[38:39], s[26:27] scale_offset
.LBB211_91:                             ;   in Loop: Header=BB211_87 Depth=1
	s_wait_xcnt 0x0
	s_or_b32 exec_lo, exec_lo, s1
	v_add_nc_u32_e32 v17, 0x400, v16
	s_mov_b32 s1, exec_lo
	s_delay_alu instid0(VALU_DEP_1)
	v_cmpx_gt_u32_e64 s33, v17
	s_cbranch_execz .LBB211_93
; %bb.92:                               ;   in Loop: Header=BB211_87 Depth=1
	ds_load_b32 v17, v35 offset:8
	s_wait_dscnt 0x0
	v_lshlrev_b32_e32 v17, 2, v17
	ds_load_b32 v17, v17
	ds_load_b64 v[38:39], v23 offset:9216
	s_wait_dscnt 0x1
	v_add3_u32 v17, v16, v17, 0x400
	s_wait_dscnt 0x0
	global_store_b64 v17, v[38:39], s[26:27] scale_offset
.LBB211_93:                             ;   in Loop: Header=BB211_87 Depth=1
	s_wait_xcnt 0x0
	s_or_b32 exec_lo, exec_lo, s1
	v_add_nc_u32_e32 v17, 0x600, v16
	s_mov_b32 s1, exec_lo
	s_delay_alu instid0(VALU_DEP_1)
	v_cmpx_gt_u32_e64 s33, v17
	s_cbranch_execz .LBB211_86
; %bb.94:                               ;   in Loop: Header=BB211_87 Depth=1
	ds_load_b32 v17, v35 offset:12
	s_wait_dscnt 0x0
	v_lshlrev_b32_e32 v17, 2, v17
	ds_load_b32 v17, v17
	ds_load_b64 v[38:39], v23 offset:13312
	s_wait_dscnt 0x1
	v_add3_u32 v17, v16, v17, 0x600
	s_wait_dscnt 0x0
	global_store_b64 v17, v[38:39], s[26:27] scale_offset
	s_branch .LBB211_86
.LBB211_95:
	s_add_co_i32 s38, s38, -1
	s_delay_alu instid0(SALU_CYCLE_1) | instskip(SKIP_2) | instid1(SALU_CYCLE_1)
	s_cmp_eq_u32 s17, s38
	s_cselect_b32 s0, -1, 0
	s_xor_b32 s1, s9, -1
	s_and_b32 s1, s1, s0
	s_delay_alu instid0(SALU_CYCLE_1)
	s_and_saveexec_b32 s0, s1
	s_cbranch_execz .LBB211_97
; %bb.96:
	ds_load_b32 v0, v34
	s_wait_dscnt 0x0
	v_add3_u32 v0, v24, v25, v0
	global_store_b32 v18, v0, s[30:31] scale_offset
.LBB211_97:
	s_wait_xcnt 0x0
	s_or_b32 exec_lo, exec_lo, s0
	s_mov_b32 s0, 0
.LBB211_98:
	s_delay_alu instid0(SALU_CYCLE_1)
	s_and_b32 vcc_lo, exec_lo, s0
	s_cbranch_vccz .LBB211_139
; %bb.99:
	s_lshl_b32 s8, s17, 12
	s_mov_b32 s9, 0
	v_dual_mov_b32 v3, 0 :: v_dual_lshlrev_b32 v2, 2, v20
	s_lshl_b64 s[0:1], s[8:9], 2
	v_and_b32_e32 v8, 0x1f00, v23
	s_add_nc_u64 s[0:1], s[20:21], s[0:1]
	v_mul_u32_u24_e32 v27, 36, v18
	v_add_nc_u64_e32 v[0:1], s[0:1], v[2:3]
	s_mov_b32 s1, s9
	v_lshlrev_b32_e32 v2, 2, v8
	s_delay_alu instid0(VALU_DEP_1)
	v_add_nc_u64_e32 v[0:1], v[0:1], v[2:3]
	s_clause 0x7
	global_load_b32 v13, v[0:1], off
	global_load_b32 v14, v[0:1], off offset:128
	global_load_b32 v15, v[0:1], off offset:256
	;; [unrolled: 1-line block ×7, first 2 shown]
	s_clause 0x1
	s_load_b32 s7, s[2:3], 0x58
	s_load_u16 s4, s[2:3], 0x66
	s_wait_kmcnt 0x0
	s_cmp_lt_u32 s17, s7
	v_mad_u32_u24 v1, v22, s4, v21
	s_cselect_b32 s0, 12, 18
	s_lshl_b32 s10, -1, s37
	s_add_nc_u64 s[0:1], s[34:35], s[0:1]
	s_load_u16 s11, s[0:1], 0x0
	ds_store_2addr_b32 v27, v3, v3 offset0:16 offset1:17
	ds_store_2addr_b32 v27, v3, v3 offset0:18 offset1:19
	;; [unrolled: 1-line block ×4, first 2 shown]
	ds_store_b32 v27, v3 offset:96
	s_wait_storecnt 0x0
	s_wait_loadcnt_dscnt 0x0
	s_barrier_signal -1
	s_barrier_wait -1
	; wave barrier
	v_lshrrev_b32_e32 v0, s36, v13
	s_delay_alu instid0(VALU_DEP_1) | instskip(SKIP_2) | instid1(VALU_DEP_2)
	v_bitop3_b32 v2, v0, 1, s10 bitop3:0x40
	v_bitop3_b32 v0, v0, s10, v0 bitop3:0x30
	s_wait_xcnt 0x0
	v_add_co_u32 v2, s0, v2, -1
	s_delay_alu instid0(VALU_DEP_1) | instskip(NEXT) | instid1(VALU_DEP_3)
	v_cndmask_b32_e64 v4, 0, 1, s0
	v_dual_lshlrev_b32 v5, 30, v0 :: v_dual_lshlrev_b32 v6, 29, v0
	v_dual_lshlrev_b32 v7, 28, v0 :: v_dual_lshlrev_b32 v16, 27, v0
	s_delay_alu instid0(VALU_DEP_3) | instskip(NEXT) | instid1(VALU_DEP_3)
	v_cmp_ne_u32_e32 vcc_lo, 0, v4
	v_not_b32_e32 v4, v5
	v_dual_lshlrev_b32 v17, 26, v0 :: v_dual_lshlrev_b32 v21, 25, v0
	v_cmp_gt_i32_e64 s0, 0, v5
	v_cmp_gt_i32_e64 s1, 0, v6
	v_not_b32_e32 v5, v6
	v_not_b32_e32 v6, v7
	v_ashrrev_i32_e32 v4, 31, v4
	v_dual_lshlrev_b32 v22, 24, v0 :: v_dual_bitop2_b32 v2, vcc_lo, v2 bitop3:0x14
	v_cmp_gt_i32_e64 s2, 0, v7
	v_cmp_gt_i32_e64 s3, 0, v16
	v_not_b32_e32 v7, v16
	v_not_b32_e32 v16, v17
	v_dual_ashrrev_i32 v5, 31, v5 :: v_dual_ashrrev_i32 v6, 31, v6
	v_xor_b32_e32 v4, s0, v4
	v_cmp_gt_i32_e64 s4, 0, v17
	v_cmp_gt_i32_e64 s5, 0, v21
	v_not_b32_e32 v17, v21
	v_not_b32_e32 v21, v22
	v_dual_ashrrev_i32 v7, 31, v7 :: v_dual_ashrrev_i32 v16, 31, v16
	v_xor_b32_e32 v5, s1, v5
	v_xor_b32_e32 v6, s2, v6
	v_bitop3_b32 v2, v2, v4, exec_lo bitop3:0x80
	v_cmp_gt_i32_e64 s6, 0, v22
	v_ashrrev_i32_e32 v4, 31, v17
	v_dual_ashrrev_i32 v17, 31, v21 :: v_dual_bitop2_b32 v7, s3, v7 bitop3:0x14
	s_delay_alu instid0(VALU_DEP_4)
	v_bitop3_b32 v2, v2, v6, v5 bitop3:0x80
	s_wait_kmcnt 0x0
	v_mad_u32 v5, v1, s11, v18
	v_xor_b32_e32 v16, s4, v16
	v_xor_b32_e32 v1, s5, v4
	v_xor_b32_e32 v4, s6, v17
	s_not_b32 s4, s10
	s_delay_alu instid0(VALU_DEP_3) | instskip(NEXT) | instid1(VALU_DEP_1)
	v_bitop3_b32 v2, v2, v16, v7 bitop3:0x80
	v_bitop3_b32 v1, v2, v4, v1 bitop3:0x80
	v_mul_lo_u32 v2, 0x44, v0
	v_lshrrev_b32_e32 v0, 3, v5
	s_delay_alu instid0(VALU_DEP_3) | instskip(SKIP_1) | instid1(VALU_DEP_3)
	v_mbcnt_lo_u32_b32 v24, v1, 0
	v_cmp_ne_u32_e64 s0, 0, v1
	v_and_b32_e32 v0, 0x1ffffffc, v0
	s_delay_alu instid0(VALU_DEP_3) | instskip(NEXT) | instid1(VALU_DEP_2)
	v_cmp_eq_u32_e32 vcc_lo, 0, v24
	v_add_nc_u32_e32 v28, v0, v2
	s_and_b32 s1, s0, vcc_lo
	s_delay_alu instid0(SALU_CYCLE_1)
	s_and_saveexec_b32 s0, s1
; %bb.100:
	v_bcnt_u32_b32 v1, v1, 0
	ds_store_b32 v28, v1 offset:64
; %bb.101:
	s_or_b32 exec_lo, exec_lo, s0
	v_lshrrev_b32_e32 v1, s36, v14
	; wave barrier
	s_delay_alu instid0(VALU_DEP_1) | instskip(SKIP_1) | instid1(VALU_DEP_2)
	v_and_b32_e32 v2, s4, v1
	v_bitop3_b32 v1, v1, 1, s4 bitop3:0x80
	v_dual_lshlrev_b32 v5, 30, v2 :: v_dual_lshlrev_b32 v6, 29, v2
	s_delay_alu instid0(VALU_DEP_2) | instskip(NEXT) | instid1(VALU_DEP_1)
	v_add_co_u32 v1, s0, v1, -1
	v_cndmask_b32_e64 v4, 0, 1, s0
	v_lshlrev_b32_e32 v7, 28, v2
	s_delay_alu instid0(VALU_DEP_4) | instskip(SKIP_1) | instid1(VALU_DEP_4)
	v_cmp_gt_i32_e64 s0, 0, v5
	v_cmp_gt_i32_e64 s1, 0, v6
	v_cmp_ne_u32_e32 vcc_lo, 0, v4
	v_not_b32_e32 v4, v5
	v_not_b32_e32 v5, v6
	;; [unrolled: 1-line block ×3, first 2 shown]
	s_delay_alu instid0(VALU_DEP_3) | instskip(NEXT) | instid1(VALU_DEP_2)
	v_dual_ashrrev_i32 v4, 31, v4 :: v_dual_bitop2_b32 v1, vcc_lo, v1 bitop3:0x14
	v_dual_ashrrev_i32 v5, 31, v5 :: v_dual_ashrrev_i32 v6, 31, v6
	v_mul_lo_u32 v3, 0x44, v2
	v_dual_lshlrev_b32 v16, 27, v2 :: v_dual_lshlrev_b32 v17, 26, v2
	v_dual_lshlrev_b32 v21, 25, v2 :: v_dual_lshlrev_b32 v2, 24, v2
	v_cmp_gt_i32_e64 s2, 0, v7
	v_xor_b32_e32 v4, s0, v4
	s_delay_alu instid0(VALU_DEP_4)
	v_not_b32_e32 v7, v16
	v_not_b32_e32 v22, v17
	v_xor_b32_e32 v5, s1, v5
	v_xor_b32_e32 v6, s2, v6
	v_bitop3_b32 v1, v1, v4, exec_lo bitop3:0x80
	v_cmp_gt_i32_e32 vcc_lo, 0, v16
	v_ashrrev_i32_e32 v4, 31, v7
	v_cmp_gt_i32_e64 s0, 0, v17
	v_ashrrev_i32_e32 v7, 31, v22
	v_bitop3_b32 v1, v1, v6, v5 bitop3:0x80
	v_not_b32_e32 v5, v21
	v_not_b32_e32 v6, v2
	v_xor_b32_e32 v4, vcc_lo, v4
	v_xor_b32_e32 v7, s0, v7
	v_cmp_gt_i32_e32 vcc_lo, 0, v21
	v_ashrrev_i32_e32 v5, 31, v5
	v_cmp_gt_i32_e64 s0, 0, v2
	v_dual_ashrrev_i32 v2, 31, v6 :: v_dual_add_nc_u32 v31, v0, v3
	v_bitop3_b32 v1, v1, v7, v4 bitop3:0x80
	s_delay_alu instid0(VALU_DEP_4) | instskip(NEXT) | instid1(VALU_DEP_3)
	v_xor_b32_e32 v3, vcc_lo, v5
	v_xor_b32_e32 v2, s0, v2
	ds_load_b32 v16, v31 offset:64
	; wave barrier
	v_bitop3_b32 v1, v1, v2, v3 bitop3:0x80
	s_delay_alu instid0(VALU_DEP_1) | instskip(SKIP_1) | instid1(VALU_DEP_2)
	v_mbcnt_lo_u32_b32 v17, v1, 0
	v_cmp_ne_u32_e64 s0, 0, v1
	v_cmp_eq_u32_e32 vcc_lo, 0, v17
	s_and_b32 s1, s0, vcc_lo
	s_delay_alu instid0(SALU_CYCLE_1)
	s_and_saveexec_b32 s0, s1
	s_cbranch_execz .LBB211_103
; %bb.102:
	s_wait_dscnt 0x0
	v_bcnt_u32_b32 v1, v1, v16
	ds_store_b32 v31, v1 offset:64
.LBB211_103:
	s_or_b32 exec_lo, exec_lo, s0
	v_lshrrev_b32_e32 v1, s36, v15
	; wave barrier
	s_delay_alu instid0(VALU_DEP_1) | instskip(NEXT) | instid1(VALU_DEP_1)
	v_and_b32_e32 v2, s4, v1
	v_lshlrev_b32_e32 v5, 30, v2
	v_bitop3_b32 v1, v1, 1, s4 bitop3:0x80
	s_delay_alu instid0(VALU_DEP_1) | instskip(NEXT) | instid1(VALU_DEP_1)
	v_add_co_u32 v1, s0, v1, -1
	v_cndmask_b32_e64 v4, 0, 1, s0
	s_delay_alu instid0(VALU_DEP_4) | instskip(NEXT) | instid1(VALU_DEP_2)
	v_cmp_gt_i32_e64 s0, 0, v5
	v_cmp_ne_u32_e32 vcc_lo, 0, v4
	v_not_b32_e32 v4, v5
	s_delay_alu instid0(VALU_DEP_1) | instskip(SKIP_3) | instid1(VALU_DEP_4)
	v_dual_ashrrev_i32 v4, 31, v4 :: v_dual_lshlrev_b32 v6, 29, v2
	v_dual_lshlrev_b32 v7, 28, v2 :: v_dual_lshlrev_b32 v21, 27, v2
	v_lshlrev_b32_e32 v22, 26, v2
	v_mul_lo_u32 v3, 0x44, v2
	v_cmp_gt_i32_e64 s1, 0, v6
	v_not_b32_e32 v5, v6
	v_not_b32_e32 v6, v7
	v_cmp_gt_i32_e64 s2, 0, v7
	v_xor_b32_e32 v1, vcc_lo, v1
	s_delay_alu instid0(VALU_DEP_4) | instskip(NEXT) | instid1(VALU_DEP_4)
	v_dual_ashrrev_i32 v5, 31, v5 :: v_dual_bitop2_b32 v4, s0, v4 bitop3:0x14
	v_ashrrev_i32_e32 v6, 31, v6
	v_dual_lshlrev_b32 v25, 25, v2 :: v_dual_lshlrev_b32 v2, 24, v2
	v_not_b32_e32 v7, v21
	v_not_b32_e32 v26, v22
	v_xor_b32_e32 v5, s1, v5
	v_xor_b32_e32 v6, s2, v6
	v_bitop3_b32 v1, v1, v4, exec_lo bitop3:0x80
	v_cmp_gt_i32_e32 vcc_lo, 0, v21
	v_ashrrev_i32_e32 v4, 31, v7
	v_cmp_gt_i32_e64 s0, 0, v22
	v_ashrrev_i32_e32 v7, 31, v26
	v_bitop3_b32 v1, v1, v6, v5 bitop3:0x80
	v_not_b32_e32 v5, v25
	v_not_b32_e32 v6, v2
	v_xor_b32_e32 v4, vcc_lo, v4
	v_xor_b32_e32 v7, s0, v7
	v_cmp_gt_i32_e32 vcc_lo, 0, v25
	v_ashrrev_i32_e32 v5, 31, v5
	v_cmp_gt_i32_e64 s0, 0, v2
	v_dual_ashrrev_i32 v2, 31, v6 :: v_dual_add_nc_u32 v34, v0, v3
	v_bitop3_b32 v1, v1, v7, v4 bitop3:0x80
	s_delay_alu instid0(VALU_DEP_4) | instskip(NEXT) | instid1(VALU_DEP_3)
	v_xor_b32_e32 v3, vcc_lo, v5
	v_xor_b32_e32 v2, s0, v2
	ds_load_b32 v21, v34 offset:64
	; wave barrier
	v_bitop3_b32 v1, v1, v2, v3 bitop3:0x80
	s_delay_alu instid0(VALU_DEP_1) | instskip(SKIP_1) | instid1(VALU_DEP_2)
	v_mbcnt_lo_u32_b32 v22, v1, 0
	v_cmp_ne_u32_e64 s0, 0, v1
	v_cmp_eq_u32_e32 vcc_lo, 0, v22
	s_and_b32 s1, s0, vcc_lo
	s_delay_alu instid0(SALU_CYCLE_1)
	s_and_saveexec_b32 s0, s1
	s_cbranch_execz .LBB211_105
; %bb.104:
	s_wait_dscnt 0x0
	v_bcnt_u32_b32 v1, v1, v21
	ds_store_b32 v34, v1 offset:64
.LBB211_105:
	s_or_b32 exec_lo, exec_lo, s0
	v_lshrrev_b32_e32 v1, s36, v23
	; wave barrier
	s_delay_alu instid0(VALU_DEP_1) | instskip(NEXT) | instid1(VALU_DEP_1)
	v_and_b32_e32 v2, s4, v1
	v_lshlrev_b32_e32 v5, 30, v2
	v_bitop3_b32 v1, v1, 1, s4 bitop3:0x80
	s_delay_alu instid0(VALU_DEP_1) | instskip(NEXT) | instid1(VALU_DEP_1)
	v_add_co_u32 v1, s0, v1, -1
	v_cndmask_b32_e64 v4, 0, 1, s0
	s_delay_alu instid0(VALU_DEP_4) | instskip(NEXT) | instid1(VALU_DEP_2)
	v_cmp_gt_i32_e64 s0, 0, v5
	v_cmp_ne_u32_e32 vcc_lo, 0, v4
	v_not_b32_e32 v4, v5
	s_delay_alu instid0(VALU_DEP_1) | instskip(SKIP_3) | instid1(VALU_DEP_4)
	v_dual_ashrrev_i32 v4, 31, v4 :: v_dual_lshlrev_b32 v6, 29, v2
	v_dual_lshlrev_b32 v7, 28, v2 :: v_dual_lshlrev_b32 v25, 27, v2
	v_lshlrev_b32_e32 v26, 26, v2
	v_mul_lo_u32 v3, 0x44, v2
	v_cmp_gt_i32_e64 s1, 0, v6
	v_not_b32_e32 v5, v6
	v_not_b32_e32 v6, v7
	v_cmp_gt_i32_e64 s2, 0, v7
	v_xor_b32_e32 v1, vcc_lo, v1
	s_delay_alu instid0(VALU_DEP_4) | instskip(NEXT) | instid1(VALU_DEP_4)
	v_dual_ashrrev_i32 v5, 31, v5 :: v_dual_bitop2_b32 v4, s0, v4 bitop3:0x14
	v_ashrrev_i32_e32 v6, 31, v6
	v_dual_lshlrev_b32 v29, 25, v2 :: v_dual_lshlrev_b32 v2, 24, v2
	v_not_b32_e32 v7, v25
	v_not_b32_e32 v30, v26
	v_xor_b32_e32 v5, s1, v5
	v_xor_b32_e32 v6, s2, v6
	v_bitop3_b32 v1, v1, v4, exec_lo bitop3:0x80
	v_cmp_gt_i32_e32 vcc_lo, 0, v25
	v_ashrrev_i32_e32 v4, 31, v7
	v_cmp_gt_i32_e64 s0, 0, v26
	v_ashrrev_i32_e32 v7, 31, v30
	v_bitop3_b32 v1, v1, v6, v5 bitop3:0x80
	v_not_b32_e32 v5, v29
	v_not_b32_e32 v6, v2
	v_xor_b32_e32 v4, vcc_lo, v4
	v_xor_b32_e32 v7, s0, v7
	v_cmp_gt_i32_e32 vcc_lo, 0, v29
	v_ashrrev_i32_e32 v5, 31, v5
	v_cmp_gt_i32_e64 s0, 0, v2
	v_dual_ashrrev_i32 v2, 31, v6 :: v_dual_add_nc_u32 v37, v0, v3
	v_bitop3_b32 v1, v1, v7, v4 bitop3:0x80
	s_delay_alu instid0(VALU_DEP_4) | instskip(NEXT) | instid1(VALU_DEP_3)
	v_xor_b32_e32 v3, vcc_lo, v5
	v_xor_b32_e32 v2, s0, v2
	ds_load_b32 v25, v37 offset:64
	; wave barrier
	v_bitop3_b32 v1, v1, v2, v3 bitop3:0x80
	s_delay_alu instid0(VALU_DEP_1) | instskip(SKIP_1) | instid1(VALU_DEP_2)
	v_mbcnt_lo_u32_b32 v26, v1, 0
	v_cmp_ne_u32_e64 s0, 0, v1
	v_cmp_eq_u32_e32 vcc_lo, 0, v26
	s_and_b32 s1, s0, vcc_lo
	s_delay_alu instid0(SALU_CYCLE_1)
	s_and_saveexec_b32 s0, s1
	s_cbranch_execz .LBB211_107
; %bb.106:
	s_wait_dscnt 0x0
	v_bcnt_u32_b32 v1, v1, v25
	ds_store_b32 v37, v1 offset:64
.LBB211_107:
	s_or_b32 exec_lo, exec_lo, s0
	v_lshrrev_b32_e32 v1, s36, v9
	; wave barrier
	s_delay_alu instid0(VALU_DEP_1) | instskip(NEXT) | instid1(VALU_DEP_1)
	v_and_b32_e32 v2, s4, v1
	v_lshlrev_b32_e32 v5, 30, v2
	v_bitop3_b32 v1, v1, 1, s4 bitop3:0x80
	s_delay_alu instid0(VALU_DEP_1) | instskip(NEXT) | instid1(VALU_DEP_1)
	v_add_co_u32 v1, s0, v1, -1
	v_cndmask_b32_e64 v4, 0, 1, s0
	s_delay_alu instid0(VALU_DEP_4) | instskip(NEXT) | instid1(VALU_DEP_2)
	v_cmp_gt_i32_e64 s0, 0, v5
	v_cmp_ne_u32_e32 vcc_lo, 0, v4
	v_not_b32_e32 v4, v5
	s_delay_alu instid0(VALU_DEP_1) | instskip(SKIP_3) | instid1(VALU_DEP_4)
	v_dual_ashrrev_i32 v4, 31, v4 :: v_dual_lshlrev_b32 v6, 29, v2
	v_dual_lshlrev_b32 v7, 28, v2 :: v_dual_lshlrev_b32 v29, 27, v2
	v_lshlrev_b32_e32 v30, 26, v2
	v_mul_lo_u32 v3, 0x44, v2
	v_cmp_gt_i32_e64 s1, 0, v6
	v_not_b32_e32 v5, v6
	v_not_b32_e32 v6, v7
	v_cmp_gt_i32_e64 s2, 0, v7
	v_xor_b32_e32 v1, vcc_lo, v1
	s_delay_alu instid0(VALU_DEP_4) | instskip(NEXT) | instid1(VALU_DEP_4)
	v_dual_ashrrev_i32 v5, 31, v5 :: v_dual_bitop2_b32 v4, s0, v4 bitop3:0x14
	v_ashrrev_i32_e32 v6, 31, v6
	v_dual_lshlrev_b32 v32, 25, v2 :: v_dual_lshlrev_b32 v2, 24, v2
	v_not_b32_e32 v7, v29
	v_not_b32_e32 v33, v30
	v_xor_b32_e32 v5, s1, v5
	v_xor_b32_e32 v6, s2, v6
	v_bitop3_b32 v1, v1, v4, exec_lo bitop3:0x80
	v_cmp_gt_i32_e32 vcc_lo, 0, v29
	v_ashrrev_i32_e32 v4, 31, v7
	v_cmp_gt_i32_e64 s0, 0, v30
	v_ashrrev_i32_e32 v7, 31, v33
	v_bitop3_b32 v1, v1, v6, v5 bitop3:0x80
	v_not_b32_e32 v5, v32
	v_not_b32_e32 v6, v2
	v_xor_b32_e32 v4, vcc_lo, v4
	v_xor_b32_e32 v7, s0, v7
	v_cmp_gt_i32_e32 vcc_lo, 0, v32
	v_ashrrev_i32_e32 v5, 31, v5
	v_cmp_gt_i32_e64 s0, 0, v2
	v_dual_ashrrev_i32 v2, 31, v6 :: v_dual_add_nc_u32 v40, v0, v3
	v_bitop3_b32 v1, v1, v7, v4 bitop3:0x80
	s_delay_alu instid0(VALU_DEP_4) | instskip(NEXT) | instid1(VALU_DEP_3)
	v_xor_b32_e32 v3, vcc_lo, v5
	v_xor_b32_e32 v2, s0, v2
	ds_load_b32 v29, v40 offset:64
	; wave barrier
	v_bitop3_b32 v1, v1, v2, v3 bitop3:0x80
	s_delay_alu instid0(VALU_DEP_1) | instskip(SKIP_1) | instid1(VALU_DEP_2)
	v_mbcnt_lo_u32_b32 v30, v1, 0
	v_cmp_ne_u32_e64 s0, 0, v1
	v_cmp_eq_u32_e32 vcc_lo, 0, v30
	s_and_b32 s1, s0, vcc_lo
	s_delay_alu instid0(SALU_CYCLE_1)
	s_and_saveexec_b32 s0, s1
	s_cbranch_execz .LBB211_109
; %bb.108:
	s_wait_dscnt 0x0
	v_bcnt_u32_b32 v1, v1, v29
	ds_store_b32 v40, v1 offset:64
.LBB211_109:
	s_or_b32 exec_lo, exec_lo, s0
	v_lshrrev_b32_e32 v1, s36, v10
	; wave barrier
	s_delay_alu instid0(VALU_DEP_1) | instskip(SKIP_1) | instid1(VALU_DEP_2)
	v_and_b32_e32 v2, s4, v1
	v_bitop3_b32 v1, v1, 1, s4 bitop3:0x80
	v_dual_lshlrev_b32 v5, 30, v2 :: v_dual_lshlrev_b32 v6, 29, v2
	s_delay_alu instid0(VALU_DEP_2) | instskip(NEXT) | instid1(VALU_DEP_1)
	v_add_co_u32 v1, s0, v1, -1
	v_cndmask_b32_e64 v4, 0, 1, s0
	v_lshlrev_b32_e32 v7, 28, v2
	s_delay_alu instid0(VALU_DEP_4) | instskip(SKIP_1) | instid1(VALU_DEP_4)
	v_cmp_gt_i32_e64 s0, 0, v5
	v_cmp_gt_i32_e64 s1, 0, v6
	v_cmp_ne_u32_e32 vcc_lo, 0, v4
	v_not_b32_e32 v4, v5
	v_not_b32_e32 v5, v6
	;; [unrolled: 1-line block ×3, first 2 shown]
	s_delay_alu instid0(VALU_DEP_3) | instskip(NEXT) | instid1(VALU_DEP_2)
	v_dual_ashrrev_i32 v4, 31, v4 :: v_dual_bitop2_b32 v1, vcc_lo, v1 bitop3:0x14
	v_dual_ashrrev_i32 v5, 31, v5 :: v_dual_ashrrev_i32 v6, 31, v6
	v_mul_lo_u32 v3, 0x44, v2
	v_dual_lshlrev_b32 v32, 27, v2 :: v_dual_lshlrev_b32 v33, 26, v2
	v_dual_lshlrev_b32 v35, 25, v2 :: v_dual_lshlrev_b32 v2, 24, v2
	v_cmp_gt_i32_e64 s2, 0, v7
	v_xor_b32_e32 v4, s0, v4
	s_delay_alu instid0(VALU_DEP_4)
	v_not_b32_e32 v7, v32
	v_not_b32_e32 v36, v33
	v_xor_b32_e32 v5, s1, v5
	v_xor_b32_e32 v6, s2, v6
	v_bitop3_b32 v1, v1, v4, exec_lo bitop3:0x80
	v_cmp_gt_i32_e32 vcc_lo, 0, v32
	v_ashrrev_i32_e32 v4, 31, v7
	v_cmp_gt_i32_e64 s0, 0, v33
	v_ashrrev_i32_e32 v7, 31, v36
	v_bitop3_b32 v1, v1, v6, v5 bitop3:0x80
	v_not_b32_e32 v5, v35
	v_not_b32_e32 v6, v2
	v_xor_b32_e32 v4, vcc_lo, v4
	v_xor_b32_e32 v7, s0, v7
	v_cmp_gt_i32_e32 vcc_lo, 0, v35
	v_ashrrev_i32_e32 v5, 31, v5
	v_cmp_gt_i32_e64 s0, 0, v2
	v_dual_ashrrev_i32 v2, 31, v6 :: v_dual_add_nc_u32 v42, v0, v3
	v_bitop3_b32 v1, v1, v7, v4 bitop3:0x80
	s_delay_alu instid0(VALU_DEP_4) | instskip(NEXT) | instid1(VALU_DEP_3)
	v_xor_b32_e32 v3, vcc_lo, v5
	v_xor_b32_e32 v2, s0, v2
	ds_load_b32 v32, v42 offset:64
	; wave barrier
	v_bitop3_b32 v1, v1, v2, v3 bitop3:0x80
	s_delay_alu instid0(VALU_DEP_1) | instskip(SKIP_1) | instid1(VALU_DEP_2)
	v_mbcnt_lo_u32_b32 v33, v1, 0
	v_cmp_ne_u32_e64 s0, 0, v1
	v_cmp_eq_u32_e32 vcc_lo, 0, v33
	s_and_b32 s1, s0, vcc_lo
	s_delay_alu instid0(SALU_CYCLE_1)
	s_and_saveexec_b32 s0, s1
	s_cbranch_execz .LBB211_111
; %bb.110:
	s_wait_dscnt 0x0
	v_bcnt_u32_b32 v1, v1, v32
	ds_store_b32 v42, v1 offset:64
.LBB211_111:
	s_or_b32 exec_lo, exec_lo, s0
	v_lshrrev_b32_e32 v1, s36, v11
	; wave barrier
	s_delay_alu instid0(VALU_DEP_1) | instskip(NEXT) | instid1(VALU_DEP_1)
	v_and_b32_e32 v2, s4, v1
	v_lshlrev_b32_e32 v5, 30, v2
	v_bitop3_b32 v1, v1, 1, s4 bitop3:0x80
	s_delay_alu instid0(VALU_DEP_1) | instskip(NEXT) | instid1(VALU_DEP_1)
	v_add_co_u32 v1, s0, v1, -1
	v_cndmask_b32_e64 v4, 0, 1, s0
	s_delay_alu instid0(VALU_DEP_4) | instskip(NEXT) | instid1(VALU_DEP_2)
	v_cmp_gt_i32_e64 s0, 0, v5
	v_cmp_ne_u32_e32 vcc_lo, 0, v4
	v_not_b32_e32 v4, v5
	s_delay_alu instid0(VALU_DEP_1) | instskip(SKIP_3) | instid1(VALU_DEP_4)
	v_dual_ashrrev_i32 v4, 31, v4 :: v_dual_lshlrev_b32 v6, 29, v2
	v_dual_lshlrev_b32 v7, 28, v2 :: v_dual_lshlrev_b32 v35, 27, v2
	v_lshlrev_b32_e32 v36, 26, v2
	v_mul_lo_u32 v3, 0x44, v2
	v_cmp_gt_i32_e64 s1, 0, v6
	v_not_b32_e32 v5, v6
	v_not_b32_e32 v6, v7
	v_cmp_gt_i32_e64 s2, 0, v7
	v_xor_b32_e32 v1, vcc_lo, v1
	s_delay_alu instid0(VALU_DEP_4) | instskip(NEXT) | instid1(VALU_DEP_4)
	v_dual_ashrrev_i32 v5, 31, v5 :: v_dual_bitop2_b32 v4, s0, v4 bitop3:0x14
	v_ashrrev_i32_e32 v6, 31, v6
	v_dual_lshlrev_b32 v38, 25, v2 :: v_dual_lshlrev_b32 v2, 24, v2
	v_not_b32_e32 v7, v35
	v_not_b32_e32 v39, v36
	v_xor_b32_e32 v5, s1, v5
	v_xor_b32_e32 v6, s2, v6
	v_bitop3_b32 v1, v1, v4, exec_lo bitop3:0x80
	v_cmp_gt_i32_e32 vcc_lo, 0, v35
	v_ashrrev_i32_e32 v4, 31, v7
	v_cmp_gt_i32_e64 s0, 0, v36
	v_ashrrev_i32_e32 v7, 31, v39
	v_bitop3_b32 v1, v1, v6, v5 bitop3:0x80
	v_not_b32_e32 v5, v38
	v_not_b32_e32 v6, v2
	v_xor_b32_e32 v4, vcc_lo, v4
	v_xor_b32_e32 v7, s0, v7
	v_cmp_gt_i32_e32 vcc_lo, 0, v38
	v_ashrrev_i32_e32 v5, 31, v5
	v_cmp_gt_i32_e64 s0, 0, v2
	v_dual_ashrrev_i32 v2, 31, v6 :: v_dual_add_nc_u32 v43, v0, v3
	v_bitop3_b32 v1, v1, v7, v4 bitop3:0x80
	s_delay_alu instid0(VALU_DEP_4) | instskip(NEXT) | instid1(VALU_DEP_3)
	v_xor_b32_e32 v3, vcc_lo, v5
	v_xor_b32_e32 v2, s0, v2
	ds_load_b32 v35, v43 offset:64
	; wave barrier
	v_bitop3_b32 v1, v1, v2, v3 bitop3:0x80
	s_delay_alu instid0(VALU_DEP_1) | instskip(SKIP_1) | instid1(VALU_DEP_2)
	v_mbcnt_lo_u32_b32 v36, v1, 0
	v_cmp_ne_u32_e64 s0, 0, v1
	v_cmp_eq_u32_e32 vcc_lo, 0, v36
	s_and_b32 s1, s0, vcc_lo
	s_delay_alu instid0(SALU_CYCLE_1)
	s_and_saveexec_b32 s0, s1
	s_cbranch_execz .LBB211_113
; %bb.112:
	s_wait_dscnt 0x0
	v_bcnt_u32_b32 v1, v1, v35
	ds_store_b32 v43, v1 offset:64
.LBB211_113:
	s_or_b32 exec_lo, exec_lo, s0
	v_lshrrev_b32_e32 v1, s36, v12
	; wave barrier
	s_delay_alu instid0(VALU_DEP_1) | instskip(NEXT) | instid1(VALU_DEP_1)
	v_and_b32_e32 v2, s4, v1
	v_lshlrev_b32_e32 v5, 30, v2
	v_bitop3_b32 v1, v1, 1, s4 bitop3:0x80
	s_delay_alu instid0(VALU_DEP_1) | instskip(NEXT) | instid1(VALU_DEP_1)
	v_add_co_u32 v1, s0, v1, -1
	v_cndmask_b32_e64 v4, 0, 1, s0
	s_delay_alu instid0(VALU_DEP_4) | instskip(NEXT) | instid1(VALU_DEP_2)
	v_cmp_gt_i32_e64 s0, 0, v5
	v_cmp_ne_u32_e32 vcc_lo, 0, v4
	v_not_b32_e32 v4, v5
	s_delay_alu instid0(VALU_DEP_1) | instskip(SKIP_3) | instid1(VALU_DEP_4)
	v_dual_ashrrev_i32 v4, 31, v4 :: v_dual_lshlrev_b32 v6, 29, v2
	v_dual_lshlrev_b32 v7, 28, v2 :: v_dual_lshlrev_b32 v38, 27, v2
	v_lshlrev_b32_e32 v39, 26, v2
	v_mul_lo_u32 v3, 0x44, v2
	v_cmp_gt_i32_e64 s1, 0, v6
	v_not_b32_e32 v5, v6
	v_not_b32_e32 v6, v7
	v_cmp_gt_i32_e64 s2, 0, v7
	v_xor_b32_e32 v1, vcc_lo, v1
	s_delay_alu instid0(VALU_DEP_4) | instskip(NEXT) | instid1(VALU_DEP_4)
	v_dual_ashrrev_i32 v5, 31, v5 :: v_dual_bitop2_b32 v4, s0, v4 bitop3:0x14
	v_ashrrev_i32_e32 v6, 31, v6
	v_dual_lshlrev_b32 v41, 25, v2 :: v_dual_lshlrev_b32 v2, 24, v2
	v_not_b32_e32 v7, v38
	v_not_b32_e32 v44, v39
	v_xor_b32_e32 v5, s1, v5
	v_xor_b32_e32 v6, s2, v6
	v_bitop3_b32 v1, v1, v4, exec_lo bitop3:0x80
	v_cmp_gt_i32_e32 vcc_lo, 0, v38
	v_ashrrev_i32_e32 v4, 31, v7
	v_cmp_gt_i32_e64 s0, 0, v39
	v_ashrrev_i32_e32 v7, 31, v44
	v_bitop3_b32 v1, v1, v6, v5 bitop3:0x80
	v_not_b32_e32 v5, v41
	v_not_b32_e32 v6, v2
	v_xor_b32_e32 v4, vcc_lo, v4
	v_xor_b32_e32 v7, s0, v7
	v_cmp_gt_i32_e32 vcc_lo, 0, v41
	v_ashrrev_i32_e32 v5, 31, v5
	v_cmp_gt_i32_e64 s0, 0, v2
	v_dual_ashrrev_i32 v2, 31, v6 :: v_dual_add_nc_u32 v44, v0, v3
	v_bitop3_b32 v0, v1, v7, v4 bitop3:0x80
	s_delay_alu instid0(VALU_DEP_4) | instskip(NEXT) | instid1(VALU_DEP_3)
	v_xor_b32_e32 v1, vcc_lo, v5
	v_xor_b32_e32 v2, s0, v2
	ds_load_b32 v39, v44 offset:64
	; wave barrier
	v_bitop3_b32 v0, v0, v2, v1 bitop3:0x80
	s_delay_alu instid0(VALU_DEP_1) | instskip(SKIP_1) | instid1(VALU_DEP_2)
	v_mbcnt_lo_u32_b32 v41, v0, 0
	v_cmp_ne_u32_e64 s0, 0, v0
	v_cmp_eq_u32_e32 vcc_lo, 0, v41
	s_and_b32 s1, s0, vcc_lo
	s_delay_alu instid0(SALU_CYCLE_1)
	s_and_saveexec_b32 s0, s1
	s_cbranch_execz .LBB211_115
; %bb.114:
	s_wait_dscnt 0x0
	v_bcnt_u32_b32 v0, v0, v39
	ds_store_b32 v44, v0 offset:64
.LBB211_115:
	s_or_b32 exec_lo, exec_lo, s0
	; wave barrier
	s_wait_dscnt 0x0
	s_barrier_signal -1
	s_barrier_wait -1
	ds_load_2addr_b32 v[6:7], v27 offset0:16 offset1:17
	ds_load_2addr_b32 v[4:5], v27 offset0:18 offset1:19
	;; [unrolled: 1-line block ×4, first 2 shown]
	ds_load_b32 v38, v27 offset:96
	v_bfe_i32 v47, v20, 4, 1
	s_mov_b32 s5, exec_lo
	s_wait_dscnt 0x3
	v_add3_u32 v45, v7, v6, v4
	s_wait_dscnt 0x2
	s_delay_alu instid0(VALU_DEP_1) | instskip(SKIP_1) | instid1(VALU_DEP_1)
	v_add3_u32 v45, v45, v5, v2
	s_wait_dscnt 0x1
	v_add3_u32 v45, v45, v3, v0
	s_wait_dscnt 0x0
	s_delay_alu instid0(VALU_DEP_1) | instskip(SKIP_1) | instid1(VALU_DEP_2)
	v_add3_u32 v38, v45, v1, v38
	v_and_b32_e32 v45, 15, v20
	v_mov_b32_dpp v46, v38 row_shr:1 row_mask:0xf bank_mask:0xf
	s_delay_alu instid0(VALU_DEP_2) | instskip(NEXT) | instid1(VALU_DEP_2)
	v_cmp_eq_u32_e32 vcc_lo, 0, v45
	v_cndmask_b32_e64 v46, v46, 0, vcc_lo
	s_delay_alu instid0(VALU_DEP_1) | instskip(SKIP_3) | instid1(VALU_DEP_4)
	v_add_nc_u32_e32 v38, v46, v38
	v_cmp_lt_u32_e64 s0, 1, v45
	v_cmp_lt_u32_e64 s1, 3, v45
	v_cmp_lt_u32_e64 s2, 7, v45
	v_mov_b32_dpp v46, v38 row_shr:2 row_mask:0xf bank_mask:0xf
	s_delay_alu instid0(VALU_DEP_1) | instskip(NEXT) | instid1(VALU_DEP_1)
	v_cndmask_b32_e64 v46, 0, v46, s0
	v_add_nc_u32_e32 v38, v38, v46
	s_delay_alu instid0(VALU_DEP_1) | instskip(NEXT) | instid1(VALU_DEP_1)
	v_mov_b32_dpp v46, v38 row_shr:4 row_mask:0xf bank_mask:0xf
	v_cndmask_b32_e64 v46, 0, v46, s1
	s_delay_alu instid0(VALU_DEP_1) | instskip(NEXT) | instid1(VALU_DEP_1)
	v_add_nc_u32_e32 v38, v38, v46
	v_mov_b32_dpp v46, v38 row_shr:8 row_mask:0xf bank_mask:0xf
	s_delay_alu instid0(VALU_DEP_1) | instskip(SKIP_1) | instid1(VALU_DEP_2)
	v_cndmask_b32_e64 v45, 0, v46, s2
	v_and_b32_e32 v46, 0x3e0, v18
	v_add_nc_u32_e32 v38, v38, v45
	s_delay_alu instid0(VALU_DEP_2) | instskip(SKIP_4) | instid1(VALU_DEP_2)
	v_min_u32_e32 v46, 0x1e0, v46
	ds_swizzle_b32 v45, v38 offset:swizzle(BROADCAST,32,15)
	s_wait_dscnt 0x0
	v_and_b32_e32 v45, v47, v45
	v_or_b32_e32 v47, 31, v46
	v_dual_lshrrev_b32 v46, 5, v18 :: v_dual_add_nc_u32 v45, v38, v45
	s_delay_alu instid0(VALU_DEP_2)
	v_cmpx_eq_u32_e64 v18, v47
; %bb.116:
	s_delay_alu instid0(VALU_DEP_2)
	v_lshlrev_b32_e32 v38, 2, v46
	ds_store_b32 v38, v45
; %bb.117:
	s_or_b32 exec_lo, exec_lo, s5
	v_lshlrev_b32_e32 v38, 2, v18
	s_mov_b32 s5, exec_lo
	s_wait_dscnt 0x0
	s_barrier_signal -1
	s_barrier_wait -1
	v_cmpx_gt_u32_e32 16, v18
	s_cbranch_execz .LBB211_119
; %bb.118:
	ds_load_b32 v47, v38
	s_wait_dscnt 0x0
	v_mov_b32_dpp v48, v47 row_shr:1 row_mask:0xf bank_mask:0xf
	s_delay_alu instid0(VALU_DEP_1) | instskip(NEXT) | instid1(VALU_DEP_1)
	v_cndmask_b32_e64 v48, v48, 0, vcc_lo
	v_add_nc_u32_e32 v47, v48, v47
	s_delay_alu instid0(VALU_DEP_1) | instskip(NEXT) | instid1(VALU_DEP_1)
	v_mov_b32_dpp v48, v47 row_shr:2 row_mask:0xf bank_mask:0xf
	v_cndmask_b32_e64 v48, 0, v48, s0
	s_delay_alu instid0(VALU_DEP_1) | instskip(NEXT) | instid1(VALU_DEP_1)
	v_add_nc_u32_e32 v47, v47, v48
	v_mov_b32_dpp v48, v47 row_shr:4 row_mask:0xf bank_mask:0xf
	s_delay_alu instid0(VALU_DEP_1) | instskip(NEXT) | instid1(VALU_DEP_1)
	v_cndmask_b32_e64 v48, 0, v48, s1
	v_add_nc_u32_e32 v47, v47, v48
	s_delay_alu instid0(VALU_DEP_1) | instskip(NEXT) | instid1(VALU_DEP_1)
	v_mov_b32_dpp v48, v47 row_shr:8 row_mask:0xf bank_mask:0xf
	v_cndmask_b32_e64 v48, 0, v48, s2
	s_delay_alu instid0(VALU_DEP_1)
	v_add_nc_u32_e32 v47, v47, v48
	ds_store_b32 v38, v47
.LBB211_119:
	s_or_b32 exec_lo, exec_lo, s5
	v_mov_b32_e32 v47, 0
	s_mov_b32 s0, exec_lo
	s_wait_dscnt 0x0
	s_barrier_signal -1
	s_barrier_wait -1
	v_cmpx_lt_u32_e32 31, v18
; %bb.120:
	v_lshl_add_u32 v46, v46, 2, -4
	ds_load_b32 v47, v46
; %bb.121:
	s_or_b32 exec_lo, exec_lo, s0
	v_sub_co_u32 v46, vcc_lo, v20, 1
	s_wait_dscnt 0x0
	v_add_nc_u32_e32 v45, v47, v45
	s_delay_alu instid0(VALU_DEP_2) | instskip(NEXT) | instid1(VALU_DEP_1)
	v_cmp_gt_i32_e64 s0, 0, v46
	v_cndmask_b32_e64 v46, v46, v20, s0
	v_cmp_lt_u32_e64 s0, 0xff, v18
	s_delay_alu instid0(VALU_DEP_2) | instskip(SKIP_4) | instid1(VALU_DEP_2)
	v_lshlrev_b32_e32 v46, 2, v46
	ds_bpermute_b32 v45, v46, v45
	s_wait_dscnt 0x0
	v_cndmask_b32_e32 v45, v45, v47, vcc_lo
	v_cmp_ne_u32_e32 vcc_lo, 0, v18
	v_cndmask_b32_e32 v45, 0, v45, vcc_lo
	v_cmp_gt_u32_e32 vcc_lo, 0x100, v18
	s_delay_alu instid0(VALU_DEP_2) | instskip(NEXT) | instid1(VALU_DEP_1)
	v_add_nc_u32_e32 v6, v45, v6
	v_add_nc_u32_e32 v7, v6, v7
	s_delay_alu instid0(VALU_DEP_1) | instskip(NEXT) | instid1(VALU_DEP_1)
	v_add_nc_u32_e32 v4, v7, v4
	v_add_nc_u32_e32 v5, v4, v5
	s_delay_alu instid0(VALU_DEP_1) | instskip(NEXT) | instid1(VALU_DEP_1)
	;; [unrolled: 3-line block ×3, first 2 shown]
	v_add_nc_u32_e32 v0, v3, v0
	v_add_nc_u32_e32 v1, v0, v1
	ds_store_2addr_b32 v27, v45, v6 offset0:16 offset1:17
	ds_store_2addr_b32 v27, v7, v4 offset0:18 offset1:19
	;; [unrolled: 1-line block ×4, first 2 shown]
	ds_store_b32 v27, v1 offset:96
	s_wait_dscnt 0x0
	s_barrier_signal -1
	s_barrier_wait -1
	ds_load_b32 v0, v28 offset:64
	ds_load_b32 v31, v31 offset:64
	;; [unrolled: 1-line block ×8, first 2 shown]
                                        ; implicit-def: $vgpr27
                                        ; implicit-def: $vgpr28
	s_and_saveexec_b32 s2, vcc_lo
	s_cbranch_execz .LBB211_125
; %bb.122:
	v_mul_u32_u24_e32 v1, 0x44, v18
	v_add_nc_u32_e32 v2, 1, v18
	s_mov_b32 s3, exec_lo
	ds_load_b32 v27, v1 offset:64
	v_mov_b32_e32 v1, 0x1000
	v_cmpx_ne_u32_e32 0x100, v2
; %bb.123:
	v_mul_u32_u24_e32 v1, 0x44, v2
	ds_load_b32 v1, v1 offset:64
; %bb.124:
	s_or_b32 exec_lo, exec_lo, s3
	s_wait_dscnt 0x0
	v_sub_nc_u32_e32 v28, v1, v27
.LBB211_125:
	s_or_b32 exec_lo, exec_lo, s2
	s_wait_dscnt 0x7
	v_dual_add_nc_u32 v5, v26, v25 :: v_dual_add_nc_u32 v24, v0, v24
	v_dual_add_nc_u32 v6, v22, v21 :: v_dual_add_nc_u32 v0, v17, v16
	;; [unrolled: 1-line block ×3, first 2 shown]
	s_delay_alu instid0(VALU_DEP_3)
	v_dual_lshlrev_b32 v7, 2, v24 :: v_dual_add_nc_u32 v2, v36, v35
	v_add_nc_u32_e32 v3, v33, v32
	s_wait_dscnt 0x6
	v_add_lshl_u32 v0, v0, v31, 2
	s_wait_dscnt 0x5
	v_add_lshl_u32 v6, v6, v34, 2
	;; [unrolled: 2-line block ×3, first 2 shown]
	s_wait_dscnt 0x0
	s_barrier_signal -1
	s_barrier_wait -1
	ds_store_b32 v7, v13 offset:1024
	ds_store_b32 v0, v14 offset:1024
	ds_store_b32 v6, v15 offset:1024
	ds_store_b32 v5, v23 offset:1024
	v_add_lshl_u32 v0, v4, v40, 2
	v_add_lshl_u32 v4, v1, v44, 2
	v_mov_b32_e32 v1, 0
	v_add_lshl_u32 v3, v3, v42, 2
	v_add_lshl_u32 v2, v2, v43, 2
	ds_store_b32 v0, v9 offset:1024
	ds_store_b32 v3, v10 offset:1024
	;; [unrolled: 1-line block ×4, first 2 shown]
	s_and_saveexec_b32 s1, vcc_lo
	s_cbranch_execz .LBB211_135
; %bb.126:
	v_lshl_add_u32 v0, s17, 8, v18
	v_dual_mov_b32 v6, 0 :: v_dual_bitop2_b32 v4, 2.0, v28 bitop3:0x54
	s_mov_b32 s2, 0
	s_mov_b32 s3, s17
	s_delay_alu instid0(VALU_DEP_2)
	v_lshl_add_u64 v[2:3], v[0:1], 2, s[18:19]
	global_store_b32 v0, v4, s[18:19] scale_offset scope:SCOPE_DEV
                                        ; implicit-def: $sgpr5
	s_branch .LBB211_129
.LBB211_127:                            ;   in Loop: Header=BB211_129 Depth=1
	s_or_b32 exec_lo, exec_lo, s6
.LBB211_128:                            ;   in Loop: Header=BB211_129 Depth=1
	s_delay_alu instid0(SALU_CYCLE_1) | instskip(SKIP_2) | instid1(VALU_DEP_2)
	s_or_b32 exec_lo, exec_lo, s5
	v_and_b32_e32 v0, 0x3fffffff, v7
	v_cmp_gt_i32_e64 s5, -2.0, v7
	v_add_nc_u32_e32 v6, v0, v6
	s_and_b32 s6, exec_lo, s5
	s_delay_alu instid0(SALU_CYCLE_1) | instskip(NEXT) | instid1(SALU_CYCLE_1)
	s_or_b32 s2, s6, s2
	s_and_not1_b32 exec_lo, exec_lo, s2
	s_cbranch_execz .LBB211_134
.LBB211_129:                            ; =>This Loop Header: Depth=1
                                        ;     Child Loop BB211_132 Depth 2
	s_or_b32 s5, s5, exec_lo
	s_cmp_eq_u32 s3, 0
	s_cbranch_scc1 .LBB211_133
; %bb.130:                              ;   in Loop: Header=BB211_129 Depth=1
	s_add_co_i32 s3, s3, -1
	s_mov_b32 s5, exec_lo
	s_wait_xcnt 0x0
	v_lshl_or_b32 v0, s3, 8, v18
	global_load_b32 v7, v0, s[18:19] scale_offset scope:SCOPE_DEV
	s_wait_loadcnt 0x0
	v_cmpx_gt_u32_e32 2.0, v7
	s_cbranch_execz .LBB211_128
; %bb.131:                              ;   in Loop: Header=BB211_129 Depth=1
	v_lshl_add_u64 v[4:5], v[0:1], 2, s[18:19]
	s_mov_b32 s6, 0
.LBB211_132:                            ;   Parent Loop BB211_129 Depth=1
                                        ; =>  This Inner Loop Header: Depth=2
	global_load_b32 v7, v[4:5], off scope:SCOPE_DEV
	s_wait_loadcnt 0x0
	v_cmp_lt_u32_e32 vcc_lo, 0x3fffffff, v7
	s_or_b32 s6, vcc_lo, s6
	s_wait_xcnt 0x0
	s_and_not1_b32 exec_lo, exec_lo, s6
	s_cbranch_execnz .LBB211_132
	s_branch .LBB211_127
.LBB211_133:                            ;   in Loop: Header=BB211_129 Depth=1
                                        ; implicit-def: $sgpr3
	s_and_b32 s6, exec_lo, s5
	s_delay_alu instid0(SALU_CYCLE_1)
	s_or_b32 s2, s6, s2
	s_wait_xcnt 0x0
	s_and_not1_b32 exec_lo, exec_lo, s2
	s_cbranch_execnz .LBB211_129
.LBB211_134:
	s_or_b32 exec_lo, exec_lo, s2
	v_dual_add_nc_u32 v0, v6, v28 :: v_dual_sub_nc_u32 v1, v6, v27
	s_delay_alu instid0(VALU_DEP_1)
	v_or_b32_e32 v0, 0x80000000, v0
	global_store_b32 v[2:3], v0, off scope:SCOPE_DEV
	global_load_b32 v0, v18, s[28:29] scale_offset
	s_wait_loadcnt 0x0
	v_add_nc_u32_e32 v0, v1, v0
	ds_store_b32 v38, v0
.LBB211_135:
	s_wait_xcnt 0x0
	s_or_b32 exec_lo, exec_lo, s1
	s_wait_storecnt_dscnt 0x0
	s_barrier_signal -1
	s_barrier_wait -1
	ds_load_2addr_stride64_b32 v[0:1], v38 offset0:4 offset1:12
	ds_load_2addr_stride64_b32 v[2:3], v38 offset0:20 offset1:28
	;; [unrolled: 1-line block ×4, first 2 shown]
	v_dual_mov_b32 v11, 0 :: v_dual_lshlrev_b32 v10, 3, v20
	s_lshl_b64 s[2:3], s[8:9], 3
	v_add3_u32 v32, v33, v42, v32
	s_add_nc_u64 s[2:3], s[24:25], s[2:3]
	v_add3_u32 v29, v30, v40, v29
	v_add3_u32 v25, v26, v37, v25
	;; [unrolled: 1-line block ×4, first 2 shown]
	s_mov_b32 s1, 0
	v_add_nc_u32_e32 v17, v38, v38
	s_wait_dscnt 0x3
	v_dual_mov_b32 v22, v18 :: v_dual_lshrrev_b32 v9, s36, v1
	s_wait_dscnt 0x2
	v_dual_lshrrev_b32 v12, s36, v0 :: v_dual_lshrrev_b32 v13, s36, v3
	s_wait_dscnt 0x1
	v_dual_lshrrev_b32 v14, s36, v2 :: v_dual_lshrrev_b32 v15, s36, v5
	;; [unrolled: 2-line block ×3, first 2 shown]
	v_dual_lshrrev_b32 v45, s36, v6 :: v_dual_bitop2_b32 v46, s4, v12 bitop3:0x40
	v_and_b32_e32 v47, s4, v9
	v_and_b32_e32 v48, s4, v14
	;; [unrolled: 1-line block ×6, first 2 shown]
	v_dual_lshlrev_b32 v9, 2, v46 :: v_dual_bitop2_b32 v53, s4, v23 bitop3:0x40
	v_dual_lshlrev_b32 v12, 2, v47 :: v_dual_lshlrev_b32 v13, 2, v48
	v_dual_lshlrev_b32 v14, 2, v49 :: v_dual_lshlrev_b32 v15, 2, v50
	s_delay_alu instid0(VALU_DEP_4) | instskip(NEXT) | instid1(VALU_DEP_4)
	v_dual_lshlrev_b32 v20, 2, v51 :: v_dual_lshlrev_b32 v23, 2, v52
	v_lshlrev_b32_e32 v45, 2, v53
	ds_load_b32 v9, v9
	ds_load_b32 v56, v12
	;; [unrolled: 1-line block ×8, first 2 shown]
	v_add_nc_u64_e32 v[12:13], s[2:3], v[10:11]
	v_lshlrev_b32_e32 v10, 3, v8
	s_mov_b32 s2, -1
	s_delay_alu instid0(VALU_DEP_1)
	v_add_nc_u64_e32 v[54:55], v[12:13], v[10:11]
	s_wait_dscnt 0x7
	v_add_nc_u32_e32 v8, v9, v18
	s_wait_dscnt 0x6
	v_add3_u32 v9, v18, v56, 0x200
	s_wait_dscnt 0x5
	v_add3_u32 v10, v57, v18, 0x400
	;; [unrolled: 2-line block ×7, first 2 shown]
	s_clause 0x7
	global_store_b32 v8, v0, s[22:23] scale_offset
	global_store_b32 v9, v1, s[22:23] scale_offset
	;; [unrolled: 1-line block ×8, first 2 shown]
	s_clause 0x7
	global_load_b64 v[0:1], v[54:55], off
	global_load_b64 v[2:3], v[54:55], off offset:256
	global_load_b64 v[4:5], v[54:55], off offset:512
	;; [unrolled: 1-line block ×7, first 2 shown]
	v_lshlrev_b32_e32 v20, 5, v19
	ds_store_b128 v20, v[46:49] offset:34896
	ds_store_b128 v20, v[50:53] offset:34912
	v_add_nc_u32_e32 v45, 0x8850, v20
	v_add_nc_u32_e32 v19, 0x8860, v20
	v_add3_u32 v20, v41, v44, v39
	v_add3_u32 v23, v36, v43, v35
	s_wait_storecnt 0x0
	s_wait_loadcnt_dscnt 0x0
	s_barrier_signal -1
	s_barrier_wait -1
.LBB211_136:                            ; =>This Inner Loop Header: Depth=1
	s_wait_xcnt 0x3
	v_add_min_u32_e64 v26, v24, s1, 0x800
	s_wait_xcnt 0x2
	v_add_min_u32_e64 v30, v16, s1, 0x800
	;; [unrolled: 2-line block ×4, first 2 shown]
	v_add_min_u32_e64 v34, v29, s1, 0x800
	v_add_min_u32_e64 v35, v32, s1, 0x800
	;; [unrolled: 1-line block ×4, first 2 shown]
	v_dual_lshlrev_b32 v26, 3, v26 :: v_dual_lshlrev_b32 v31, 3, v31
	v_dual_lshlrev_b32 v30, 3, v30 :: v_dual_lshlrev_b32 v33, 3, v33
	;; [unrolled: 1-line block ×3, first 2 shown]
	s_delay_alu instid0(VALU_DEP_4)
	v_dual_lshlrev_b32 v36, 3, v36 :: v_dual_lshlrev_b32 v37, 3, v37
	ds_store_b64 v26, v[0:1] offset:1024
	ds_store_b64 v30, v[2:3] offset:1024
	;; [unrolled: 1-line block ×8, first 2 shown]
	s_wait_dscnt 0x0
	s_barrier_signal -1
	s_barrier_wait -1
	ds_load_2addr_b32 v[30:31], v45 offset1:1
	ds_load_2addr_b32 v[40:41], v45 offset0:2 offset1:3
	ds_load_2addr_stride64_b64 v[34:37], v17 offset0:2 offset1:10
	s_addk_co_i32 s1, 0xf800
	s_and_b32 vcc_lo, exec_lo, s2
	s_mov_b32 s2, 0
	s_wait_dscnt 0x2
	v_dual_lshlrev_b32 v26, 2, v30 :: v_dual_lshlrev_b32 v30, 2, v31
	s_wait_dscnt 0x1
	v_dual_lshlrev_b32 v31, 2, v40 :: v_dual_lshlrev_b32 v33, 2, v41
	ds_load_b32 v26, v26
	ds_load_b32 v30, v30
	;; [unrolled: 1-line block ×4, first 2 shown]
	ds_load_2addr_stride64_b64 v[40:43], v17 offset0:18 offset1:26
	s_wait_dscnt 0x4
	v_dual_mov_b32 v45, v19 :: v_dual_add_nc_u32 v26, v22, v26
	s_wait_dscnt 0x3
	v_add3_u32 v30, v22, v30, 0x200
	s_wait_dscnt 0x2
	v_add3_u32 v31, v22, v31, 0x400
	;; [unrolled: 2-line block ×3, first 2 shown]
	v_add_nc_u32_e32 v22, 0x800, v22
	s_clause 0x1
	global_store_b64 v26, v[34:35], s[26:27] scale_offset
	global_store_b64 v30, v[36:37], s[26:27] scale_offset
	s_wait_dscnt 0x0
	s_clause 0x1
	global_store_b64 v31, v[40:41], s[26:27] scale_offset
	global_store_b64 v33, v[42:43], s[26:27] scale_offset
	s_wait_storecnt 0x0
	s_barrier_signal -1
	s_barrier_wait -1
	s_cbranch_vccnz .LBB211_136
; %bb.137:
	s_add_co_i32 s7, s7, -1
	s_delay_alu instid0(SALU_CYCLE_1) | instskip(SKIP_2) | instid1(SALU_CYCLE_1)
	s_cmp_eq_u32 s17, s7
	s_cselect_b32 s1, -1, 0
	s_xor_b32 s0, s0, -1
	s_and_b32 s0, s0, s1
	s_wait_xcnt 0x0
	s_and_saveexec_b32 s1, s0
	s_cbranch_execz .LBB211_139
; %bb.138:
	ds_load_b32 v0, v38
	s_wait_dscnt 0x0
	v_add3_u32 v0, v27, v28, v0
	global_store_b32 v18, v0, s[30:31] scale_offset
.LBB211_139:
	s_endpgm
	.section	.rodata,"a",@progbits
	.p2align	6, 0x0
	.amdhsa_kernel _ZN7rocprim17ROCPRIM_400000_NS6detail17trampoline_kernelINS0_14default_configENS1_35radix_sort_onesweep_config_selectorIjN6thrust23THRUST_200600_302600_NS5tupleIffNS6_9null_typeES8_S8_S8_S8_S8_S8_S8_EEEEZZNS1_29radix_sort_onesweep_iterationIS3_Lb0ENS6_6detail15normal_iteratorINS6_10device_ptrIjEEEESG_NSD_INSE_IS9_EEEESI_jNS0_19identity_decomposerENS1_16block_id_wrapperIjLb0EEEEE10hipError_tT1_PNSt15iterator_traitsISN_E10value_typeET2_T3_PNSO_IST_E10value_typeET4_T5_PSY_SZ_PNS1_23onesweep_lookback_stateEbbT6_jjT7_P12ihipStream_tbENKUlT_T0_SN_SS_E_clISG_PjSI_PS9_EEDaS16_S17_SN_SS_EUlS16_E_NS1_11comp_targetILNS1_3genE0ELNS1_11target_archE4294967295ELNS1_3gpuE0ELNS1_3repE0EEENS1_47radix_sort_onesweep_sort_config_static_selectorELNS0_4arch9wavefront6targetE0EEEvSN_
		.amdhsa_group_segment_fixed_size 51280
		.amdhsa_private_segment_fixed_size 0
		.amdhsa_kernarg_size 344
		.amdhsa_user_sgpr_count 4
		.amdhsa_user_sgpr_dispatch_ptr 1
		.amdhsa_user_sgpr_queue_ptr 0
		.amdhsa_user_sgpr_kernarg_segment_ptr 1
		.amdhsa_user_sgpr_dispatch_id 0
		.amdhsa_user_sgpr_kernarg_preload_length 0
		.amdhsa_user_sgpr_kernarg_preload_offset 0
		.amdhsa_user_sgpr_private_segment_size 0
		.amdhsa_wavefront_size32 1
		.amdhsa_uses_dynamic_stack 0
		.amdhsa_enable_private_segment 0
		.amdhsa_system_sgpr_workgroup_id_x 1
		.amdhsa_system_sgpr_workgroup_id_y 0
		.amdhsa_system_sgpr_workgroup_id_z 0
		.amdhsa_system_sgpr_workgroup_info 0
		.amdhsa_system_vgpr_workitem_id 2
		.amdhsa_next_free_vgpr 58
		.amdhsa_next_free_sgpr 43
		.amdhsa_named_barrier_count 0
		.amdhsa_reserve_vcc 1
		.amdhsa_float_round_mode_32 0
		.amdhsa_float_round_mode_16_64 0
		.amdhsa_float_denorm_mode_32 3
		.amdhsa_float_denorm_mode_16_64 3
		.amdhsa_fp16_overflow 0
		.amdhsa_memory_ordered 1
		.amdhsa_forward_progress 1
		.amdhsa_inst_pref_size 104
		.amdhsa_round_robin_scheduling 0
		.amdhsa_exception_fp_ieee_invalid_op 0
		.amdhsa_exception_fp_denorm_src 0
		.amdhsa_exception_fp_ieee_div_zero 0
		.amdhsa_exception_fp_ieee_overflow 0
		.amdhsa_exception_fp_ieee_underflow 0
		.amdhsa_exception_fp_ieee_inexact 0
		.amdhsa_exception_int_div_zero 0
	.end_amdhsa_kernel
	.section	.text._ZN7rocprim17ROCPRIM_400000_NS6detail17trampoline_kernelINS0_14default_configENS1_35radix_sort_onesweep_config_selectorIjN6thrust23THRUST_200600_302600_NS5tupleIffNS6_9null_typeES8_S8_S8_S8_S8_S8_S8_EEEEZZNS1_29radix_sort_onesweep_iterationIS3_Lb0ENS6_6detail15normal_iteratorINS6_10device_ptrIjEEEESG_NSD_INSE_IS9_EEEESI_jNS0_19identity_decomposerENS1_16block_id_wrapperIjLb0EEEEE10hipError_tT1_PNSt15iterator_traitsISN_E10value_typeET2_T3_PNSO_IST_E10value_typeET4_T5_PSY_SZ_PNS1_23onesweep_lookback_stateEbbT6_jjT7_P12ihipStream_tbENKUlT_T0_SN_SS_E_clISG_PjSI_PS9_EEDaS16_S17_SN_SS_EUlS16_E_NS1_11comp_targetILNS1_3genE0ELNS1_11target_archE4294967295ELNS1_3gpuE0ELNS1_3repE0EEENS1_47radix_sort_onesweep_sort_config_static_selectorELNS0_4arch9wavefront6targetE0EEEvSN_,"axG",@progbits,_ZN7rocprim17ROCPRIM_400000_NS6detail17trampoline_kernelINS0_14default_configENS1_35radix_sort_onesweep_config_selectorIjN6thrust23THRUST_200600_302600_NS5tupleIffNS6_9null_typeES8_S8_S8_S8_S8_S8_S8_EEEEZZNS1_29radix_sort_onesweep_iterationIS3_Lb0ENS6_6detail15normal_iteratorINS6_10device_ptrIjEEEESG_NSD_INSE_IS9_EEEESI_jNS0_19identity_decomposerENS1_16block_id_wrapperIjLb0EEEEE10hipError_tT1_PNSt15iterator_traitsISN_E10value_typeET2_T3_PNSO_IST_E10value_typeET4_T5_PSY_SZ_PNS1_23onesweep_lookback_stateEbbT6_jjT7_P12ihipStream_tbENKUlT_T0_SN_SS_E_clISG_PjSI_PS9_EEDaS16_S17_SN_SS_EUlS16_E_NS1_11comp_targetILNS1_3genE0ELNS1_11target_archE4294967295ELNS1_3gpuE0ELNS1_3repE0EEENS1_47radix_sort_onesweep_sort_config_static_selectorELNS0_4arch9wavefront6targetE0EEEvSN_,comdat
.Lfunc_end211:
	.size	_ZN7rocprim17ROCPRIM_400000_NS6detail17trampoline_kernelINS0_14default_configENS1_35radix_sort_onesweep_config_selectorIjN6thrust23THRUST_200600_302600_NS5tupleIffNS6_9null_typeES8_S8_S8_S8_S8_S8_S8_EEEEZZNS1_29radix_sort_onesweep_iterationIS3_Lb0ENS6_6detail15normal_iteratorINS6_10device_ptrIjEEEESG_NSD_INSE_IS9_EEEESI_jNS0_19identity_decomposerENS1_16block_id_wrapperIjLb0EEEEE10hipError_tT1_PNSt15iterator_traitsISN_E10value_typeET2_T3_PNSO_IST_E10value_typeET4_T5_PSY_SZ_PNS1_23onesweep_lookback_stateEbbT6_jjT7_P12ihipStream_tbENKUlT_T0_SN_SS_E_clISG_PjSI_PS9_EEDaS16_S17_SN_SS_EUlS16_E_NS1_11comp_targetILNS1_3genE0ELNS1_11target_archE4294967295ELNS1_3gpuE0ELNS1_3repE0EEENS1_47radix_sort_onesweep_sort_config_static_selectorELNS0_4arch9wavefront6targetE0EEEvSN_, .Lfunc_end211-_ZN7rocprim17ROCPRIM_400000_NS6detail17trampoline_kernelINS0_14default_configENS1_35radix_sort_onesweep_config_selectorIjN6thrust23THRUST_200600_302600_NS5tupleIffNS6_9null_typeES8_S8_S8_S8_S8_S8_S8_EEEEZZNS1_29radix_sort_onesweep_iterationIS3_Lb0ENS6_6detail15normal_iteratorINS6_10device_ptrIjEEEESG_NSD_INSE_IS9_EEEESI_jNS0_19identity_decomposerENS1_16block_id_wrapperIjLb0EEEEE10hipError_tT1_PNSt15iterator_traitsISN_E10value_typeET2_T3_PNSO_IST_E10value_typeET4_T5_PSY_SZ_PNS1_23onesweep_lookback_stateEbbT6_jjT7_P12ihipStream_tbENKUlT_T0_SN_SS_E_clISG_PjSI_PS9_EEDaS16_S17_SN_SS_EUlS16_E_NS1_11comp_targetILNS1_3genE0ELNS1_11target_archE4294967295ELNS1_3gpuE0ELNS1_3repE0EEENS1_47radix_sort_onesweep_sort_config_static_selectorELNS0_4arch9wavefront6targetE0EEEvSN_
                                        ; -- End function
	.set _ZN7rocprim17ROCPRIM_400000_NS6detail17trampoline_kernelINS0_14default_configENS1_35radix_sort_onesweep_config_selectorIjN6thrust23THRUST_200600_302600_NS5tupleIffNS6_9null_typeES8_S8_S8_S8_S8_S8_S8_EEEEZZNS1_29radix_sort_onesweep_iterationIS3_Lb0ENS6_6detail15normal_iteratorINS6_10device_ptrIjEEEESG_NSD_INSE_IS9_EEEESI_jNS0_19identity_decomposerENS1_16block_id_wrapperIjLb0EEEEE10hipError_tT1_PNSt15iterator_traitsISN_E10value_typeET2_T3_PNSO_IST_E10value_typeET4_T5_PSY_SZ_PNS1_23onesweep_lookback_stateEbbT6_jjT7_P12ihipStream_tbENKUlT_T0_SN_SS_E_clISG_PjSI_PS9_EEDaS16_S17_SN_SS_EUlS16_E_NS1_11comp_targetILNS1_3genE0ELNS1_11target_archE4294967295ELNS1_3gpuE0ELNS1_3repE0EEENS1_47radix_sort_onesweep_sort_config_static_selectorELNS0_4arch9wavefront6targetE0EEEvSN_.num_vgpr, 58
	.set _ZN7rocprim17ROCPRIM_400000_NS6detail17trampoline_kernelINS0_14default_configENS1_35radix_sort_onesweep_config_selectorIjN6thrust23THRUST_200600_302600_NS5tupleIffNS6_9null_typeES8_S8_S8_S8_S8_S8_S8_EEEEZZNS1_29radix_sort_onesweep_iterationIS3_Lb0ENS6_6detail15normal_iteratorINS6_10device_ptrIjEEEESG_NSD_INSE_IS9_EEEESI_jNS0_19identity_decomposerENS1_16block_id_wrapperIjLb0EEEEE10hipError_tT1_PNSt15iterator_traitsISN_E10value_typeET2_T3_PNSO_IST_E10value_typeET4_T5_PSY_SZ_PNS1_23onesweep_lookback_stateEbbT6_jjT7_P12ihipStream_tbENKUlT_T0_SN_SS_E_clISG_PjSI_PS9_EEDaS16_S17_SN_SS_EUlS16_E_NS1_11comp_targetILNS1_3genE0ELNS1_11target_archE4294967295ELNS1_3gpuE0ELNS1_3repE0EEENS1_47radix_sort_onesweep_sort_config_static_selectorELNS0_4arch9wavefront6targetE0EEEvSN_.num_agpr, 0
	.set _ZN7rocprim17ROCPRIM_400000_NS6detail17trampoline_kernelINS0_14default_configENS1_35radix_sort_onesweep_config_selectorIjN6thrust23THRUST_200600_302600_NS5tupleIffNS6_9null_typeES8_S8_S8_S8_S8_S8_S8_EEEEZZNS1_29radix_sort_onesweep_iterationIS3_Lb0ENS6_6detail15normal_iteratorINS6_10device_ptrIjEEEESG_NSD_INSE_IS9_EEEESI_jNS0_19identity_decomposerENS1_16block_id_wrapperIjLb0EEEEE10hipError_tT1_PNSt15iterator_traitsISN_E10value_typeET2_T3_PNSO_IST_E10value_typeET4_T5_PSY_SZ_PNS1_23onesweep_lookback_stateEbbT6_jjT7_P12ihipStream_tbENKUlT_T0_SN_SS_E_clISG_PjSI_PS9_EEDaS16_S17_SN_SS_EUlS16_E_NS1_11comp_targetILNS1_3genE0ELNS1_11target_archE4294967295ELNS1_3gpuE0ELNS1_3repE0EEENS1_47radix_sort_onesweep_sort_config_static_selectorELNS0_4arch9wavefront6targetE0EEEvSN_.numbered_sgpr, 43
	.set _ZN7rocprim17ROCPRIM_400000_NS6detail17trampoline_kernelINS0_14default_configENS1_35radix_sort_onesweep_config_selectorIjN6thrust23THRUST_200600_302600_NS5tupleIffNS6_9null_typeES8_S8_S8_S8_S8_S8_S8_EEEEZZNS1_29radix_sort_onesweep_iterationIS3_Lb0ENS6_6detail15normal_iteratorINS6_10device_ptrIjEEEESG_NSD_INSE_IS9_EEEESI_jNS0_19identity_decomposerENS1_16block_id_wrapperIjLb0EEEEE10hipError_tT1_PNSt15iterator_traitsISN_E10value_typeET2_T3_PNSO_IST_E10value_typeET4_T5_PSY_SZ_PNS1_23onesweep_lookback_stateEbbT6_jjT7_P12ihipStream_tbENKUlT_T0_SN_SS_E_clISG_PjSI_PS9_EEDaS16_S17_SN_SS_EUlS16_E_NS1_11comp_targetILNS1_3genE0ELNS1_11target_archE4294967295ELNS1_3gpuE0ELNS1_3repE0EEENS1_47radix_sort_onesweep_sort_config_static_selectorELNS0_4arch9wavefront6targetE0EEEvSN_.num_named_barrier, 0
	.set _ZN7rocprim17ROCPRIM_400000_NS6detail17trampoline_kernelINS0_14default_configENS1_35radix_sort_onesweep_config_selectorIjN6thrust23THRUST_200600_302600_NS5tupleIffNS6_9null_typeES8_S8_S8_S8_S8_S8_S8_EEEEZZNS1_29radix_sort_onesweep_iterationIS3_Lb0ENS6_6detail15normal_iteratorINS6_10device_ptrIjEEEESG_NSD_INSE_IS9_EEEESI_jNS0_19identity_decomposerENS1_16block_id_wrapperIjLb0EEEEE10hipError_tT1_PNSt15iterator_traitsISN_E10value_typeET2_T3_PNSO_IST_E10value_typeET4_T5_PSY_SZ_PNS1_23onesweep_lookback_stateEbbT6_jjT7_P12ihipStream_tbENKUlT_T0_SN_SS_E_clISG_PjSI_PS9_EEDaS16_S17_SN_SS_EUlS16_E_NS1_11comp_targetILNS1_3genE0ELNS1_11target_archE4294967295ELNS1_3gpuE0ELNS1_3repE0EEENS1_47radix_sort_onesweep_sort_config_static_selectorELNS0_4arch9wavefront6targetE0EEEvSN_.private_seg_size, 0
	.set _ZN7rocprim17ROCPRIM_400000_NS6detail17trampoline_kernelINS0_14default_configENS1_35radix_sort_onesweep_config_selectorIjN6thrust23THRUST_200600_302600_NS5tupleIffNS6_9null_typeES8_S8_S8_S8_S8_S8_S8_EEEEZZNS1_29radix_sort_onesweep_iterationIS3_Lb0ENS6_6detail15normal_iteratorINS6_10device_ptrIjEEEESG_NSD_INSE_IS9_EEEESI_jNS0_19identity_decomposerENS1_16block_id_wrapperIjLb0EEEEE10hipError_tT1_PNSt15iterator_traitsISN_E10value_typeET2_T3_PNSO_IST_E10value_typeET4_T5_PSY_SZ_PNS1_23onesweep_lookback_stateEbbT6_jjT7_P12ihipStream_tbENKUlT_T0_SN_SS_E_clISG_PjSI_PS9_EEDaS16_S17_SN_SS_EUlS16_E_NS1_11comp_targetILNS1_3genE0ELNS1_11target_archE4294967295ELNS1_3gpuE0ELNS1_3repE0EEENS1_47radix_sort_onesweep_sort_config_static_selectorELNS0_4arch9wavefront6targetE0EEEvSN_.uses_vcc, 1
	.set _ZN7rocprim17ROCPRIM_400000_NS6detail17trampoline_kernelINS0_14default_configENS1_35radix_sort_onesweep_config_selectorIjN6thrust23THRUST_200600_302600_NS5tupleIffNS6_9null_typeES8_S8_S8_S8_S8_S8_S8_EEEEZZNS1_29radix_sort_onesweep_iterationIS3_Lb0ENS6_6detail15normal_iteratorINS6_10device_ptrIjEEEESG_NSD_INSE_IS9_EEEESI_jNS0_19identity_decomposerENS1_16block_id_wrapperIjLb0EEEEE10hipError_tT1_PNSt15iterator_traitsISN_E10value_typeET2_T3_PNSO_IST_E10value_typeET4_T5_PSY_SZ_PNS1_23onesweep_lookback_stateEbbT6_jjT7_P12ihipStream_tbENKUlT_T0_SN_SS_E_clISG_PjSI_PS9_EEDaS16_S17_SN_SS_EUlS16_E_NS1_11comp_targetILNS1_3genE0ELNS1_11target_archE4294967295ELNS1_3gpuE0ELNS1_3repE0EEENS1_47radix_sort_onesweep_sort_config_static_selectorELNS0_4arch9wavefront6targetE0EEEvSN_.uses_flat_scratch, 0
	.set _ZN7rocprim17ROCPRIM_400000_NS6detail17trampoline_kernelINS0_14default_configENS1_35radix_sort_onesweep_config_selectorIjN6thrust23THRUST_200600_302600_NS5tupleIffNS6_9null_typeES8_S8_S8_S8_S8_S8_S8_EEEEZZNS1_29radix_sort_onesweep_iterationIS3_Lb0ENS6_6detail15normal_iteratorINS6_10device_ptrIjEEEESG_NSD_INSE_IS9_EEEESI_jNS0_19identity_decomposerENS1_16block_id_wrapperIjLb0EEEEE10hipError_tT1_PNSt15iterator_traitsISN_E10value_typeET2_T3_PNSO_IST_E10value_typeET4_T5_PSY_SZ_PNS1_23onesweep_lookback_stateEbbT6_jjT7_P12ihipStream_tbENKUlT_T0_SN_SS_E_clISG_PjSI_PS9_EEDaS16_S17_SN_SS_EUlS16_E_NS1_11comp_targetILNS1_3genE0ELNS1_11target_archE4294967295ELNS1_3gpuE0ELNS1_3repE0EEENS1_47radix_sort_onesweep_sort_config_static_selectorELNS0_4arch9wavefront6targetE0EEEvSN_.has_dyn_sized_stack, 0
	.set _ZN7rocprim17ROCPRIM_400000_NS6detail17trampoline_kernelINS0_14default_configENS1_35radix_sort_onesweep_config_selectorIjN6thrust23THRUST_200600_302600_NS5tupleIffNS6_9null_typeES8_S8_S8_S8_S8_S8_S8_EEEEZZNS1_29radix_sort_onesweep_iterationIS3_Lb0ENS6_6detail15normal_iteratorINS6_10device_ptrIjEEEESG_NSD_INSE_IS9_EEEESI_jNS0_19identity_decomposerENS1_16block_id_wrapperIjLb0EEEEE10hipError_tT1_PNSt15iterator_traitsISN_E10value_typeET2_T3_PNSO_IST_E10value_typeET4_T5_PSY_SZ_PNS1_23onesweep_lookback_stateEbbT6_jjT7_P12ihipStream_tbENKUlT_T0_SN_SS_E_clISG_PjSI_PS9_EEDaS16_S17_SN_SS_EUlS16_E_NS1_11comp_targetILNS1_3genE0ELNS1_11target_archE4294967295ELNS1_3gpuE0ELNS1_3repE0EEENS1_47radix_sort_onesweep_sort_config_static_selectorELNS0_4arch9wavefront6targetE0EEEvSN_.has_recursion, 0
	.set _ZN7rocprim17ROCPRIM_400000_NS6detail17trampoline_kernelINS0_14default_configENS1_35radix_sort_onesweep_config_selectorIjN6thrust23THRUST_200600_302600_NS5tupleIffNS6_9null_typeES8_S8_S8_S8_S8_S8_S8_EEEEZZNS1_29radix_sort_onesweep_iterationIS3_Lb0ENS6_6detail15normal_iteratorINS6_10device_ptrIjEEEESG_NSD_INSE_IS9_EEEESI_jNS0_19identity_decomposerENS1_16block_id_wrapperIjLb0EEEEE10hipError_tT1_PNSt15iterator_traitsISN_E10value_typeET2_T3_PNSO_IST_E10value_typeET4_T5_PSY_SZ_PNS1_23onesweep_lookback_stateEbbT6_jjT7_P12ihipStream_tbENKUlT_T0_SN_SS_E_clISG_PjSI_PS9_EEDaS16_S17_SN_SS_EUlS16_E_NS1_11comp_targetILNS1_3genE0ELNS1_11target_archE4294967295ELNS1_3gpuE0ELNS1_3repE0EEENS1_47radix_sort_onesweep_sort_config_static_selectorELNS0_4arch9wavefront6targetE0EEEvSN_.has_indirect_call, 0
	.section	.AMDGPU.csdata,"",@progbits
; Kernel info:
; codeLenInByte = 13196
; TotalNumSgprs: 45
; NumVgprs: 58
; ScratchSize: 0
; MemoryBound: 0
; FloatMode: 240
; IeeeMode: 1
; LDSByteSize: 51280 bytes/workgroup (compile time only)
; SGPRBlocks: 0
; VGPRBlocks: 3
; NumSGPRsForWavesPerEU: 45
; NumVGPRsForWavesPerEU: 58
; NamedBarCnt: 0
; Occupancy: 16
; WaveLimiterHint : 1
; COMPUTE_PGM_RSRC2:SCRATCH_EN: 0
; COMPUTE_PGM_RSRC2:USER_SGPR: 4
; COMPUTE_PGM_RSRC2:TRAP_HANDLER: 0
; COMPUTE_PGM_RSRC2:TGID_X_EN: 1
; COMPUTE_PGM_RSRC2:TGID_Y_EN: 0
; COMPUTE_PGM_RSRC2:TGID_Z_EN: 0
; COMPUTE_PGM_RSRC2:TIDIG_COMP_CNT: 2
	.section	.text._ZN7rocprim17ROCPRIM_400000_NS6detail17trampoline_kernelINS0_14default_configENS1_35radix_sort_onesweep_config_selectorIjN6thrust23THRUST_200600_302600_NS5tupleIffNS6_9null_typeES8_S8_S8_S8_S8_S8_S8_EEEEZZNS1_29radix_sort_onesweep_iterationIS3_Lb0ENS6_6detail15normal_iteratorINS6_10device_ptrIjEEEESG_NSD_INSE_IS9_EEEESI_jNS0_19identity_decomposerENS1_16block_id_wrapperIjLb0EEEEE10hipError_tT1_PNSt15iterator_traitsISN_E10value_typeET2_T3_PNSO_IST_E10value_typeET4_T5_PSY_SZ_PNS1_23onesweep_lookback_stateEbbT6_jjT7_P12ihipStream_tbENKUlT_T0_SN_SS_E_clISG_PjSI_PS9_EEDaS16_S17_SN_SS_EUlS16_E_NS1_11comp_targetILNS1_3genE6ELNS1_11target_archE950ELNS1_3gpuE13ELNS1_3repE0EEENS1_47radix_sort_onesweep_sort_config_static_selectorELNS0_4arch9wavefront6targetE0EEEvSN_,"axG",@progbits,_ZN7rocprim17ROCPRIM_400000_NS6detail17trampoline_kernelINS0_14default_configENS1_35radix_sort_onesweep_config_selectorIjN6thrust23THRUST_200600_302600_NS5tupleIffNS6_9null_typeES8_S8_S8_S8_S8_S8_S8_EEEEZZNS1_29radix_sort_onesweep_iterationIS3_Lb0ENS6_6detail15normal_iteratorINS6_10device_ptrIjEEEESG_NSD_INSE_IS9_EEEESI_jNS0_19identity_decomposerENS1_16block_id_wrapperIjLb0EEEEE10hipError_tT1_PNSt15iterator_traitsISN_E10value_typeET2_T3_PNSO_IST_E10value_typeET4_T5_PSY_SZ_PNS1_23onesweep_lookback_stateEbbT6_jjT7_P12ihipStream_tbENKUlT_T0_SN_SS_E_clISG_PjSI_PS9_EEDaS16_S17_SN_SS_EUlS16_E_NS1_11comp_targetILNS1_3genE6ELNS1_11target_archE950ELNS1_3gpuE13ELNS1_3repE0EEENS1_47radix_sort_onesweep_sort_config_static_selectorELNS0_4arch9wavefront6targetE0EEEvSN_,comdat
	.protected	_ZN7rocprim17ROCPRIM_400000_NS6detail17trampoline_kernelINS0_14default_configENS1_35radix_sort_onesweep_config_selectorIjN6thrust23THRUST_200600_302600_NS5tupleIffNS6_9null_typeES8_S8_S8_S8_S8_S8_S8_EEEEZZNS1_29radix_sort_onesweep_iterationIS3_Lb0ENS6_6detail15normal_iteratorINS6_10device_ptrIjEEEESG_NSD_INSE_IS9_EEEESI_jNS0_19identity_decomposerENS1_16block_id_wrapperIjLb0EEEEE10hipError_tT1_PNSt15iterator_traitsISN_E10value_typeET2_T3_PNSO_IST_E10value_typeET4_T5_PSY_SZ_PNS1_23onesweep_lookback_stateEbbT6_jjT7_P12ihipStream_tbENKUlT_T0_SN_SS_E_clISG_PjSI_PS9_EEDaS16_S17_SN_SS_EUlS16_E_NS1_11comp_targetILNS1_3genE6ELNS1_11target_archE950ELNS1_3gpuE13ELNS1_3repE0EEENS1_47radix_sort_onesweep_sort_config_static_selectorELNS0_4arch9wavefront6targetE0EEEvSN_ ; -- Begin function _ZN7rocprim17ROCPRIM_400000_NS6detail17trampoline_kernelINS0_14default_configENS1_35radix_sort_onesweep_config_selectorIjN6thrust23THRUST_200600_302600_NS5tupleIffNS6_9null_typeES8_S8_S8_S8_S8_S8_S8_EEEEZZNS1_29radix_sort_onesweep_iterationIS3_Lb0ENS6_6detail15normal_iteratorINS6_10device_ptrIjEEEESG_NSD_INSE_IS9_EEEESI_jNS0_19identity_decomposerENS1_16block_id_wrapperIjLb0EEEEE10hipError_tT1_PNSt15iterator_traitsISN_E10value_typeET2_T3_PNSO_IST_E10value_typeET4_T5_PSY_SZ_PNS1_23onesweep_lookback_stateEbbT6_jjT7_P12ihipStream_tbENKUlT_T0_SN_SS_E_clISG_PjSI_PS9_EEDaS16_S17_SN_SS_EUlS16_E_NS1_11comp_targetILNS1_3genE6ELNS1_11target_archE950ELNS1_3gpuE13ELNS1_3repE0EEENS1_47radix_sort_onesweep_sort_config_static_selectorELNS0_4arch9wavefront6targetE0EEEvSN_
	.globl	_ZN7rocprim17ROCPRIM_400000_NS6detail17trampoline_kernelINS0_14default_configENS1_35radix_sort_onesweep_config_selectorIjN6thrust23THRUST_200600_302600_NS5tupleIffNS6_9null_typeES8_S8_S8_S8_S8_S8_S8_EEEEZZNS1_29radix_sort_onesweep_iterationIS3_Lb0ENS6_6detail15normal_iteratorINS6_10device_ptrIjEEEESG_NSD_INSE_IS9_EEEESI_jNS0_19identity_decomposerENS1_16block_id_wrapperIjLb0EEEEE10hipError_tT1_PNSt15iterator_traitsISN_E10value_typeET2_T3_PNSO_IST_E10value_typeET4_T5_PSY_SZ_PNS1_23onesweep_lookback_stateEbbT6_jjT7_P12ihipStream_tbENKUlT_T0_SN_SS_E_clISG_PjSI_PS9_EEDaS16_S17_SN_SS_EUlS16_E_NS1_11comp_targetILNS1_3genE6ELNS1_11target_archE950ELNS1_3gpuE13ELNS1_3repE0EEENS1_47radix_sort_onesweep_sort_config_static_selectorELNS0_4arch9wavefront6targetE0EEEvSN_
	.p2align	8
	.type	_ZN7rocprim17ROCPRIM_400000_NS6detail17trampoline_kernelINS0_14default_configENS1_35radix_sort_onesweep_config_selectorIjN6thrust23THRUST_200600_302600_NS5tupleIffNS6_9null_typeES8_S8_S8_S8_S8_S8_S8_EEEEZZNS1_29radix_sort_onesweep_iterationIS3_Lb0ENS6_6detail15normal_iteratorINS6_10device_ptrIjEEEESG_NSD_INSE_IS9_EEEESI_jNS0_19identity_decomposerENS1_16block_id_wrapperIjLb0EEEEE10hipError_tT1_PNSt15iterator_traitsISN_E10value_typeET2_T3_PNSO_IST_E10value_typeET4_T5_PSY_SZ_PNS1_23onesweep_lookback_stateEbbT6_jjT7_P12ihipStream_tbENKUlT_T0_SN_SS_E_clISG_PjSI_PS9_EEDaS16_S17_SN_SS_EUlS16_E_NS1_11comp_targetILNS1_3genE6ELNS1_11target_archE950ELNS1_3gpuE13ELNS1_3repE0EEENS1_47radix_sort_onesweep_sort_config_static_selectorELNS0_4arch9wavefront6targetE0EEEvSN_,@function
_ZN7rocprim17ROCPRIM_400000_NS6detail17trampoline_kernelINS0_14default_configENS1_35radix_sort_onesweep_config_selectorIjN6thrust23THRUST_200600_302600_NS5tupleIffNS6_9null_typeES8_S8_S8_S8_S8_S8_S8_EEEEZZNS1_29radix_sort_onesweep_iterationIS3_Lb0ENS6_6detail15normal_iteratorINS6_10device_ptrIjEEEESG_NSD_INSE_IS9_EEEESI_jNS0_19identity_decomposerENS1_16block_id_wrapperIjLb0EEEEE10hipError_tT1_PNSt15iterator_traitsISN_E10value_typeET2_T3_PNSO_IST_E10value_typeET4_T5_PSY_SZ_PNS1_23onesweep_lookback_stateEbbT6_jjT7_P12ihipStream_tbENKUlT_T0_SN_SS_E_clISG_PjSI_PS9_EEDaS16_S17_SN_SS_EUlS16_E_NS1_11comp_targetILNS1_3genE6ELNS1_11target_archE950ELNS1_3gpuE13ELNS1_3repE0EEENS1_47radix_sort_onesweep_sort_config_static_selectorELNS0_4arch9wavefront6targetE0EEEvSN_: ; @_ZN7rocprim17ROCPRIM_400000_NS6detail17trampoline_kernelINS0_14default_configENS1_35radix_sort_onesweep_config_selectorIjN6thrust23THRUST_200600_302600_NS5tupleIffNS6_9null_typeES8_S8_S8_S8_S8_S8_S8_EEEEZZNS1_29radix_sort_onesweep_iterationIS3_Lb0ENS6_6detail15normal_iteratorINS6_10device_ptrIjEEEESG_NSD_INSE_IS9_EEEESI_jNS0_19identity_decomposerENS1_16block_id_wrapperIjLb0EEEEE10hipError_tT1_PNSt15iterator_traitsISN_E10value_typeET2_T3_PNSO_IST_E10value_typeET4_T5_PSY_SZ_PNS1_23onesweep_lookback_stateEbbT6_jjT7_P12ihipStream_tbENKUlT_T0_SN_SS_E_clISG_PjSI_PS9_EEDaS16_S17_SN_SS_EUlS16_E_NS1_11comp_targetILNS1_3genE6ELNS1_11target_archE950ELNS1_3gpuE13ELNS1_3repE0EEENS1_47radix_sort_onesweep_sort_config_static_selectorELNS0_4arch9wavefront6targetE0EEEvSN_
; %bb.0:
	.section	.rodata,"a",@progbits
	.p2align	6, 0x0
	.amdhsa_kernel _ZN7rocprim17ROCPRIM_400000_NS6detail17trampoline_kernelINS0_14default_configENS1_35radix_sort_onesweep_config_selectorIjN6thrust23THRUST_200600_302600_NS5tupleIffNS6_9null_typeES8_S8_S8_S8_S8_S8_S8_EEEEZZNS1_29radix_sort_onesweep_iterationIS3_Lb0ENS6_6detail15normal_iteratorINS6_10device_ptrIjEEEESG_NSD_INSE_IS9_EEEESI_jNS0_19identity_decomposerENS1_16block_id_wrapperIjLb0EEEEE10hipError_tT1_PNSt15iterator_traitsISN_E10value_typeET2_T3_PNSO_IST_E10value_typeET4_T5_PSY_SZ_PNS1_23onesweep_lookback_stateEbbT6_jjT7_P12ihipStream_tbENKUlT_T0_SN_SS_E_clISG_PjSI_PS9_EEDaS16_S17_SN_SS_EUlS16_E_NS1_11comp_targetILNS1_3genE6ELNS1_11target_archE950ELNS1_3gpuE13ELNS1_3repE0EEENS1_47radix_sort_onesweep_sort_config_static_selectorELNS0_4arch9wavefront6targetE0EEEvSN_
		.amdhsa_group_segment_fixed_size 0
		.amdhsa_private_segment_fixed_size 0
		.amdhsa_kernarg_size 88
		.amdhsa_user_sgpr_count 2
		.amdhsa_user_sgpr_dispatch_ptr 0
		.amdhsa_user_sgpr_queue_ptr 0
		.amdhsa_user_sgpr_kernarg_segment_ptr 1
		.amdhsa_user_sgpr_dispatch_id 0
		.amdhsa_user_sgpr_kernarg_preload_length 0
		.amdhsa_user_sgpr_kernarg_preload_offset 0
		.amdhsa_user_sgpr_private_segment_size 0
		.amdhsa_wavefront_size32 1
		.amdhsa_uses_dynamic_stack 0
		.amdhsa_enable_private_segment 0
		.amdhsa_system_sgpr_workgroup_id_x 1
		.amdhsa_system_sgpr_workgroup_id_y 0
		.amdhsa_system_sgpr_workgroup_id_z 0
		.amdhsa_system_sgpr_workgroup_info 0
		.amdhsa_system_vgpr_workitem_id 0
		.amdhsa_next_free_vgpr 1
		.amdhsa_next_free_sgpr 1
		.amdhsa_named_barrier_count 0
		.amdhsa_reserve_vcc 0
		.amdhsa_float_round_mode_32 0
		.amdhsa_float_round_mode_16_64 0
		.amdhsa_float_denorm_mode_32 3
		.amdhsa_float_denorm_mode_16_64 3
		.amdhsa_fp16_overflow 0
		.amdhsa_memory_ordered 1
		.amdhsa_forward_progress 1
		.amdhsa_inst_pref_size 0
		.amdhsa_round_robin_scheduling 0
		.amdhsa_exception_fp_ieee_invalid_op 0
		.amdhsa_exception_fp_denorm_src 0
		.amdhsa_exception_fp_ieee_div_zero 0
		.amdhsa_exception_fp_ieee_overflow 0
		.amdhsa_exception_fp_ieee_underflow 0
		.amdhsa_exception_fp_ieee_inexact 0
		.amdhsa_exception_int_div_zero 0
	.end_amdhsa_kernel
	.section	.text._ZN7rocprim17ROCPRIM_400000_NS6detail17trampoline_kernelINS0_14default_configENS1_35radix_sort_onesweep_config_selectorIjN6thrust23THRUST_200600_302600_NS5tupleIffNS6_9null_typeES8_S8_S8_S8_S8_S8_S8_EEEEZZNS1_29radix_sort_onesweep_iterationIS3_Lb0ENS6_6detail15normal_iteratorINS6_10device_ptrIjEEEESG_NSD_INSE_IS9_EEEESI_jNS0_19identity_decomposerENS1_16block_id_wrapperIjLb0EEEEE10hipError_tT1_PNSt15iterator_traitsISN_E10value_typeET2_T3_PNSO_IST_E10value_typeET4_T5_PSY_SZ_PNS1_23onesweep_lookback_stateEbbT6_jjT7_P12ihipStream_tbENKUlT_T0_SN_SS_E_clISG_PjSI_PS9_EEDaS16_S17_SN_SS_EUlS16_E_NS1_11comp_targetILNS1_3genE6ELNS1_11target_archE950ELNS1_3gpuE13ELNS1_3repE0EEENS1_47radix_sort_onesweep_sort_config_static_selectorELNS0_4arch9wavefront6targetE0EEEvSN_,"axG",@progbits,_ZN7rocprim17ROCPRIM_400000_NS6detail17trampoline_kernelINS0_14default_configENS1_35radix_sort_onesweep_config_selectorIjN6thrust23THRUST_200600_302600_NS5tupleIffNS6_9null_typeES8_S8_S8_S8_S8_S8_S8_EEEEZZNS1_29radix_sort_onesweep_iterationIS3_Lb0ENS6_6detail15normal_iteratorINS6_10device_ptrIjEEEESG_NSD_INSE_IS9_EEEESI_jNS0_19identity_decomposerENS1_16block_id_wrapperIjLb0EEEEE10hipError_tT1_PNSt15iterator_traitsISN_E10value_typeET2_T3_PNSO_IST_E10value_typeET4_T5_PSY_SZ_PNS1_23onesweep_lookback_stateEbbT6_jjT7_P12ihipStream_tbENKUlT_T0_SN_SS_E_clISG_PjSI_PS9_EEDaS16_S17_SN_SS_EUlS16_E_NS1_11comp_targetILNS1_3genE6ELNS1_11target_archE950ELNS1_3gpuE13ELNS1_3repE0EEENS1_47radix_sort_onesweep_sort_config_static_selectorELNS0_4arch9wavefront6targetE0EEEvSN_,comdat
.Lfunc_end212:
	.size	_ZN7rocprim17ROCPRIM_400000_NS6detail17trampoline_kernelINS0_14default_configENS1_35radix_sort_onesweep_config_selectorIjN6thrust23THRUST_200600_302600_NS5tupleIffNS6_9null_typeES8_S8_S8_S8_S8_S8_S8_EEEEZZNS1_29radix_sort_onesweep_iterationIS3_Lb0ENS6_6detail15normal_iteratorINS6_10device_ptrIjEEEESG_NSD_INSE_IS9_EEEESI_jNS0_19identity_decomposerENS1_16block_id_wrapperIjLb0EEEEE10hipError_tT1_PNSt15iterator_traitsISN_E10value_typeET2_T3_PNSO_IST_E10value_typeET4_T5_PSY_SZ_PNS1_23onesweep_lookback_stateEbbT6_jjT7_P12ihipStream_tbENKUlT_T0_SN_SS_E_clISG_PjSI_PS9_EEDaS16_S17_SN_SS_EUlS16_E_NS1_11comp_targetILNS1_3genE6ELNS1_11target_archE950ELNS1_3gpuE13ELNS1_3repE0EEENS1_47radix_sort_onesweep_sort_config_static_selectorELNS0_4arch9wavefront6targetE0EEEvSN_, .Lfunc_end212-_ZN7rocprim17ROCPRIM_400000_NS6detail17trampoline_kernelINS0_14default_configENS1_35radix_sort_onesweep_config_selectorIjN6thrust23THRUST_200600_302600_NS5tupleIffNS6_9null_typeES8_S8_S8_S8_S8_S8_S8_EEEEZZNS1_29radix_sort_onesweep_iterationIS3_Lb0ENS6_6detail15normal_iteratorINS6_10device_ptrIjEEEESG_NSD_INSE_IS9_EEEESI_jNS0_19identity_decomposerENS1_16block_id_wrapperIjLb0EEEEE10hipError_tT1_PNSt15iterator_traitsISN_E10value_typeET2_T3_PNSO_IST_E10value_typeET4_T5_PSY_SZ_PNS1_23onesweep_lookback_stateEbbT6_jjT7_P12ihipStream_tbENKUlT_T0_SN_SS_E_clISG_PjSI_PS9_EEDaS16_S17_SN_SS_EUlS16_E_NS1_11comp_targetILNS1_3genE6ELNS1_11target_archE950ELNS1_3gpuE13ELNS1_3repE0EEENS1_47radix_sort_onesweep_sort_config_static_selectorELNS0_4arch9wavefront6targetE0EEEvSN_
                                        ; -- End function
	.set _ZN7rocprim17ROCPRIM_400000_NS6detail17trampoline_kernelINS0_14default_configENS1_35radix_sort_onesweep_config_selectorIjN6thrust23THRUST_200600_302600_NS5tupleIffNS6_9null_typeES8_S8_S8_S8_S8_S8_S8_EEEEZZNS1_29radix_sort_onesweep_iterationIS3_Lb0ENS6_6detail15normal_iteratorINS6_10device_ptrIjEEEESG_NSD_INSE_IS9_EEEESI_jNS0_19identity_decomposerENS1_16block_id_wrapperIjLb0EEEEE10hipError_tT1_PNSt15iterator_traitsISN_E10value_typeET2_T3_PNSO_IST_E10value_typeET4_T5_PSY_SZ_PNS1_23onesweep_lookback_stateEbbT6_jjT7_P12ihipStream_tbENKUlT_T0_SN_SS_E_clISG_PjSI_PS9_EEDaS16_S17_SN_SS_EUlS16_E_NS1_11comp_targetILNS1_3genE6ELNS1_11target_archE950ELNS1_3gpuE13ELNS1_3repE0EEENS1_47radix_sort_onesweep_sort_config_static_selectorELNS0_4arch9wavefront6targetE0EEEvSN_.num_vgpr, 0
	.set _ZN7rocprim17ROCPRIM_400000_NS6detail17trampoline_kernelINS0_14default_configENS1_35radix_sort_onesweep_config_selectorIjN6thrust23THRUST_200600_302600_NS5tupleIffNS6_9null_typeES8_S8_S8_S8_S8_S8_S8_EEEEZZNS1_29radix_sort_onesweep_iterationIS3_Lb0ENS6_6detail15normal_iteratorINS6_10device_ptrIjEEEESG_NSD_INSE_IS9_EEEESI_jNS0_19identity_decomposerENS1_16block_id_wrapperIjLb0EEEEE10hipError_tT1_PNSt15iterator_traitsISN_E10value_typeET2_T3_PNSO_IST_E10value_typeET4_T5_PSY_SZ_PNS1_23onesweep_lookback_stateEbbT6_jjT7_P12ihipStream_tbENKUlT_T0_SN_SS_E_clISG_PjSI_PS9_EEDaS16_S17_SN_SS_EUlS16_E_NS1_11comp_targetILNS1_3genE6ELNS1_11target_archE950ELNS1_3gpuE13ELNS1_3repE0EEENS1_47radix_sort_onesweep_sort_config_static_selectorELNS0_4arch9wavefront6targetE0EEEvSN_.num_agpr, 0
	.set _ZN7rocprim17ROCPRIM_400000_NS6detail17trampoline_kernelINS0_14default_configENS1_35radix_sort_onesweep_config_selectorIjN6thrust23THRUST_200600_302600_NS5tupleIffNS6_9null_typeES8_S8_S8_S8_S8_S8_S8_EEEEZZNS1_29radix_sort_onesweep_iterationIS3_Lb0ENS6_6detail15normal_iteratorINS6_10device_ptrIjEEEESG_NSD_INSE_IS9_EEEESI_jNS0_19identity_decomposerENS1_16block_id_wrapperIjLb0EEEEE10hipError_tT1_PNSt15iterator_traitsISN_E10value_typeET2_T3_PNSO_IST_E10value_typeET4_T5_PSY_SZ_PNS1_23onesweep_lookback_stateEbbT6_jjT7_P12ihipStream_tbENKUlT_T0_SN_SS_E_clISG_PjSI_PS9_EEDaS16_S17_SN_SS_EUlS16_E_NS1_11comp_targetILNS1_3genE6ELNS1_11target_archE950ELNS1_3gpuE13ELNS1_3repE0EEENS1_47radix_sort_onesweep_sort_config_static_selectorELNS0_4arch9wavefront6targetE0EEEvSN_.numbered_sgpr, 0
	.set _ZN7rocprim17ROCPRIM_400000_NS6detail17trampoline_kernelINS0_14default_configENS1_35radix_sort_onesweep_config_selectorIjN6thrust23THRUST_200600_302600_NS5tupleIffNS6_9null_typeES8_S8_S8_S8_S8_S8_S8_EEEEZZNS1_29radix_sort_onesweep_iterationIS3_Lb0ENS6_6detail15normal_iteratorINS6_10device_ptrIjEEEESG_NSD_INSE_IS9_EEEESI_jNS0_19identity_decomposerENS1_16block_id_wrapperIjLb0EEEEE10hipError_tT1_PNSt15iterator_traitsISN_E10value_typeET2_T3_PNSO_IST_E10value_typeET4_T5_PSY_SZ_PNS1_23onesweep_lookback_stateEbbT6_jjT7_P12ihipStream_tbENKUlT_T0_SN_SS_E_clISG_PjSI_PS9_EEDaS16_S17_SN_SS_EUlS16_E_NS1_11comp_targetILNS1_3genE6ELNS1_11target_archE950ELNS1_3gpuE13ELNS1_3repE0EEENS1_47radix_sort_onesweep_sort_config_static_selectorELNS0_4arch9wavefront6targetE0EEEvSN_.num_named_barrier, 0
	.set _ZN7rocprim17ROCPRIM_400000_NS6detail17trampoline_kernelINS0_14default_configENS1_35radix_sort_onesweep_config_selectorIjN6thrust23THRUST_200600_302600_NS5tupleIffNS6_9null_typeES8_S8_S8_S8_S8_S8_S8_EEEEZZNS1_29radix_sort_onesweep_iterationIS3_Lb0ENS6_6detail15normal_iteratorINS6_10device_ptrIjEEEESG_NSD_INSE_IS9_EEEESI_jNS0_19identity_decomposerENS1_16block_id_wrapperIjLb0EEEEE10hipError_tT1_PNSt15iterator_traitsISN_E10value_typeET2_T3_PNSO_IST_E10value_typeET4_T5_PSY_SZ_PNS1_23onesweep_lookback_stateEbbT6_jjT7_P12ihipStream_tbENKUlT_T0_SN_SS_E_clISG_PjSI_PS9_EEDaS16_S17_SN_SS_EUlS16_E_NS1_11comp_targetILNS1_3genE6ELNS1_11target_archE950ELNS1_3gpuE13ELNS1_3repE0EEENS1_47radix_sort_onesweep_sort_config_static_selectorELNS0_4arch9wavefront6targetE0EEEvSN_.private_seg_size, 0
	.set _ZN7rocprim17ROCPRIM_400000_NS6detail17trampoline_kernelINS0_14default_configENS1_35radix_sort_onesweep_config_selectorIjN6thrust23THRUST_200600_302600_NS5tupleIffNS6_9null_typeES8_S8_S8_S8_S8_S8_S8_EEEEZZNS1_29radix_sort_onesweep_iterationIS3_Lb0ENS6_6detail15normal_iteratorINS6_10device_ptrIjEEEESG_NSD_INSE_IS9_EEEESI_jNS0_19identity_decomposerENS1_16block_id_wrapperIjLb0EEEEE10hipError_tT1_PNSt15iterator_traitsISN_E10value_typeET2_T3_PNSO_IST_E10value_typeET4_T5_PSY_SZ_PNS1_23onesweep_lookback_stateEbbT6_jjT7_P12ihipStream_tbENKUlT_T0_SN_SS_E_clISG_PjSI_PS9_EEDaS16_S17_SN_SS_EUlS16_E_NS1_11comp_targetILNS1_3genE6ELNS1_11target_archE950ELNS1_3gpuE13ELNS1_3repE0EEENS1_47radix_sort_onesweep_sort_config_static_selectorELNS0_4arch9wavefront6targetE0EEEvSN_.uses_vcc, 0
	.set _ZN7rocprim17ROCPRIM_400000_NS6detail17trampoline_kernelINS0_14default_configENS1_35radix_sort_onesweep_config_selectorIjN6thrust23THRUST_200600_302600_NS5tupleIffNS6_9null_typeES8_S8_S8_S8_S8_S8_S8_EEEEZZNS1_29radix_sort_onesweep_iterationIS3_Lb0ENS6_6detail15normal_iteratorINS6_10device_ptrIjEEEESG_NSD_INSE_IS9_EEEESI_jNS0_19identity_decomposerENS1_16block_id_wrapperIjLb0EEEEE10hipError_tT1_PNSt15iterator_traitsISN_E10value_typeET2_T3_PNSO_IST_E10value_typeET4_T5_PSY_SZ_PNS1_23onesweep_lookback_stateEbbT6_jjT7_P12ihipStream_tbENKUlT_T0_SN_SS_E_clISG_PjSI_PS9_EEDaS16_S17_SN_SS_EUlS16_E_NS1_11comp_targetILNS1_3genE6ELNS1_11target_archE950ELNS1_3gpuE13ELNS1_3repE0EEENS1_47radix_sort_onesweep_sort_config_static_selectorELNS0_4arch9wavefront6targetE0EEEvSN_.uses_flat_scratch, 0
	.set _ZN7rocprim17ROCPRIM_400000_NS6detail17trampoline_kernelINS0_14default_configENS1_35radix_sort_onesweep_config_selectorIjN6thrust23THRUST_200600_302600_NS5tupleIffNS6_9null_typeES8_S8_S8_S8_S8_S8_S8_EEEEZZNS1_29radix_sort_onesweep_iterationIS3_Lb0ENS6_6detail15normal_iteratorINS6_10device_ptrIjEEEESG_NSD_INSE_IS9_EEEESI_jNS0_19identity_decomposerENS1_16block_id_wrapperIjLb0EEEEE10hipError_tT1_PNSt15iterator_traitsISN_E10value_typeET2_T3_PNSO_IST_E10value_typeET4_T5_PSY_SZ_PNS1_23onesweep_lookback_stateEbbT6_jjT7_P12ihipStream_tbENKUlT_T0_SN_SS_E_clISG_PjSI_PS9_EEDaS16_S17_SN_SS_EUlS16_E_NS1_11comp_targetILNS1_3genE6ELNS1_11target_archE950ELNS1_3gpuE13ELNS1_3repE0EEENS1_47radix_sort_onesweep_sort_config_static_selectorELNS0_4arch9wavefront6targetE0EEEvSN_.has_dyn_sized_stack, 0
	.set _ZN7rocprim17ROCPRIM_400000_NS6detail17trampoline_kernelINS0_14default_configENS1_35radix_sort_onesweep_config_selectorIjN6thrust23THRUST_200600_302600_NS5tupleIffNS6_9null_typeES8_S8_S8_S8_S8_S8_S8_EEEEZZNS1_29radix_sort_onesweep_iterationIS3_Lb0ENS6_6detail15normal_iteratorINS6_10device_ptrIjEEEESG_NSD_INSE_IS9_EEEESI_jNS0_19identity_decomposerENS1_16block_id_wrapperIjLb0EEEEE10hipError_tT1_PNSt15iterator_traitsISN_E10value_typeET2_T3_PNSO_IST_E10value_typeET4_T5_PSY_SZ_PNS1_23onesweep_lookback_stateEbbT6_jjT7_P12ihipStream_tbENKUlT_T0_SN_SS_E_clISG_PjSI_PS9_EEDaS16_S17_SN_SS_EUlS16_E_NS1_11comp_targetILNS1_3genE6ELNS1_11target_archE950ELNS1_3gpuE13ELNS1_3repE0EEENS1_47radix_sort_onesweep_sort_config_static_selectorELNS0_4arch9wavefront6targetE0EEEvSN_.has_recursion, 0
	.set _ZN7rocprim17ROCPRIM_400000_NS6detail17trampoline_kernelINS0_14default_configENS1_35radix_sort_onesweep_config_selectorIjN6thrust23THRUST_200600_302600_NS5tupleIffNS6_9null_typeES8_S8_S8_S8_S8_S8_S8_EEEEZZNS1_29radix_sort_onesweep_iterationIS3_Lb0ENS6_6detail15normal_iteratorINS6_10device_ptrIjEEEESG_NSD_INSE_IS9_EEEESI_jNS0_19identity_decomposerENS1_16block_id_wrapperIjLb0EEEEE10hipError_tT1_PNSt15iterator_traitsISN_E10value_typeET2_T3_PNSO_IST_E10value_typeET4_T5_PSY_SZ_PNS1_23onesweep_lookback_stateEbbT6_jjT7_P12ihipStream_tbENKUlT_T0_SN_SS_E_clISG_PjSI_PS9_EEDaS16_S17_SN_SS_EUlS16_E_NS1_11comp_targetILNS1_3genE6ELNS1_11target_archE950ELNS1_3gpuE13ELNS1_3repE0EEENS1_47radix_sort_onesweep_sort_config_static_selectorELNS0_4arch9wavefront6targetE0EEEvSN_.has_indirect_call, 0
	.section	.AMDGPU.csdata,"",@progbits
; Kernel info:
; codeLenInByte = 0
; TotalNumSgprs: 0
; NumVgprs: 0
; ScratchSize: 0
; MemoryBound: 0
; FloatMode: 240
; IeeeMode: 1
; LDSByteSize: 0 bytes/workgroup (compile time only)
; SGPRBlocks: 0
; VGPRBlocks: 0
; NumSGPRsForWavesPerEU: 1
; NumVGPRsForWavesPerEU: 1
; NamedBarCnt: 0
; Occupancy: 16
; WaveLimiterHint : 0
; COMPUTE_PGM_RSRC2:SCRATCH_EN: 0
; COMPUTE_PGM_RSRC2:USER_SGPR: 2
; COMPUTE_PGM_RSRC2:TRAP_HANDLER: 0
; COMPUTE_PGM_RSRC2:TGID_X_EN: 1
; COMPUTE_PGM_RSRC2:TGID_Y_EN: 0
; COMPUTE_PGM_RSRC2:TGID_Z_EN: 0
; COMPUTE_PGM_RSRC2:TIDIG_COMP_CNT: 0
	.section	.text._ZN7rocprim17ROCPRIM_400000_NS6detail17trampoline_kernelINS0_14default_configENS1_35radix_sort_onesweep_config_selectorIjN6thrust23THRUST_200600_302600_NS5tupleIffNS6_9null_typeES8_S8_S8_S8_S8_S8_S8_EEEEZZNS1_29radix_sort_onesweep_iterationIS3_Lb0ENS6_6detail15normal_iteratorINS6_10device_ptrIjEEEESG_NSD_INSE_IS9_EEEESI_jNS0_19identity_decomposerENS1_16block_id_wrapperIjLb0EEEEE10hipError_tT1_PNSt15iterator_traitsISN_E10value_typeET2_T3_PNSO_IST_E10value_typeET4_T5_PSY_SZ_PNS1_23onesweep_lookback_stateEbbT6_jjT7_P12ihipStream_tbENKUlT_T0_SN_SS_E_clISG_PjSI_PS9_EEDaS16_S17_SN_SS_EUlS16_E_NS1_11comp_targetILNS1_3genE5ELNS1_11target_archE942ELNS1_3gpuE9ELNS1_3repE0EEENS1_47radix_sort_onesweep_sort_config_static_selectorELNS0_4arch9wavefront6targetE0EEEvSN_,"axG",@progbits,_ZN7rocprim17ROCPRIM_400000_NS6detail17trampoline_kernelINS0_14default_configENS1_35radix_sort_onesweep_config_selectorIjN6thrust23THRUST_200600_302600_NS5tupleIffNS6_9null_typeES8_S8_S8_S8_S8_S8_S8_EEEEZZNS1_29radix_sort_onesweep_iterationIS3_Lb0ENS6_6detail15normal_iteratorINS6_10device_ptrIjEEEESG_NSD_INSE_IS9_EEEESI_jNS0_19identity_decomposerENS1_16block_id_wrapperIjLb0EEEEE10hipError_tT1_PNSt15iterator_traitsISN_E10value_typeET2_T3_PNSO_IST_E10value_typeET4_T5_PSY_SZ_PNS1_23onesweep_lookback_stateEbbT6_jjT7_P12ihipStream_tbENKUlT_T0_SN_SS_E_clISG_PjSI_PS9_EEDaS16_S17_SN_SS_EUlS16_E_NS1_11comp_targetILNS1_3genE5ELNS1_11target_archE942ELNS1_3gpuE9ELNS1_3repE0EEENS1_47radix_sort_onesweep_sort_config_static_selectorELNS0_4arch9wavefront6targetE0EEEvSN_,comdat
	.protected	_ZN7rocprim17ROCPRIM_400000_NS6detail17trampoline_kernelINS0_14default_configENS1_35radix_sort_onesweep_config_selectorIjN6thrust23THRUST_200600_302600_NS5tupleIffNS6_9null_typeES8_S8_S8_S8_S8_S8_S8_EEEEZZNS1_29radix_sort_onesweep_iterationIS3_Lb0ENS6_6detail15normal_iteratorINS6_10device_ptrIjEEEESG_NSD_INSE_IS9_EEEESI_jNS0_19identity_decomposerENS1_16block_id_wrapperIjLb0EEEEE10hipError_tT1_PNSt15iterator_traitsISN_E10value_typeET2_T3_PNSO_IST_E10value_typeET4_T5_PSY_SZ_PNS1_23onesweep_lookback_stateEbbT6_jjT7_P12ihipStream_tbENKUlT_T0_SN_SS_E_clISG_PjSI_PS9_EEDaS16_S17_SN_SS_EUlS16_E_NS1_11comp_targetILNS1_3genE5ELNS1_11target_archE942ELNS1_3gpuE9ELNS1_3repE0EEENS1_47radix_sort_onesweep_sort_config_static_selectorELNS0_4arch9wavefront6targetE0EEEvSN_ ; -- Begin function _ZN7rocprim17ROCPRIM_400000_NS6detail17trampoline_kernelINS0_14default_configENS1_35radix_sort_onesweep_config_selectorIjN6thrust23THRUST_200600_302600_NS5tupleIffNS6_9null_typeES8_S8_S8_S8_S8_S8_S8_EEEEZZNS1_29radix_sort_onesweep_iterationIS3_Lb0ENS6_6detail15normal_iteratorINS6_10device_ptrIjEEEESG_NSD_INSE_IS9_EEEESI_jNS0_19identity_decomposerENS1_16block_id_wrapperIjLb0EEEEE10hipError_tT1_PNSt15iterator_traitsISN_E10value_typeET2_T3_PNSO_IST_E10value_typeET4_T5_PSY_SZ_PNS1_23onesweep_lookback_stateEbbT6_jjT7_P12ihipStream_tbENKUlT_T0_SN_SS_E_clISG_PjSI_PS9_EEDaS16_S17_SN_SS_EUlS16_E_NS1_11comp_targetILNS1_3genE5ELNS1_11target_archE942ELNS1_3gpuE9ELNS1_3repE0EEENS1_47radix_sort_onesweep_sort_config_static_selectorELNS0_4arch9wavefront6targetE0EEEvSN_
	.globl	_ZN7rocprim17ROCPRIM_400000_NS6detail17trampoline_kernelINS0_14default_configENS1_35radix_sort_onesweep_config_selectorIjN6thrust23THRUST_200600_302600_NS5tupleIffNS6_9null_typeES8_S8_S8_S8_S8_S8_S8_EEEEZZNS1_29radix_sort_onesweep_iterationIS3_Lb0ENS6_6detail15normal_iteratorINS6_10device_ptrIjEEEESG_NSD_INSE_IS9_EEEESI_jNS0_19identity_decomposerENS1_16block_id_wrapperIjLb0EEEEE10hipError_tT1_PNSt15iterator_traitsISN_E10value_typeET2_T3_PNSO_IST_E10value_typeET4_T5_PSY_SZ_PNS1_23onesweep_lookback_stateEbbT6_jjT7_P12ihipStream_tbENKUlT_T0_SN_SS_E_clISG_PjSI_PS9_EEDaS16_S17_SN_SS_EUlS16_E_NS1_11comp_targetILNS1_3genE5ELNS1_11target_archE942ELNS1_3gpuE9ELNS1_3repE0EEENS1_47radix_sort_onesweep_sort_config_static_selectorELNS0_4arch9wavefront6targetE0EEEvSN_
	.p2align	8
	.type	_ZN7rocprim17ROCPRIM_400000_NS6detail17trampoline_kernelINS0_14default_configENS1_35radix_sort_onesweep_config_selectorIjN6thrust23THRUST_200600_302600_NS5tupleIffNS6_9null_typeES8_S8_S8_S8_S8_S8_S8_EEEEZZNS1_29radix_sort_onesweep_iterationIS3_Lb0ENS6_6detail15normal_iteratorINS6_10device_ptrIjEEEESG_NSD_INSE_IS9_EEEESI_jNS0_19identity_decomposerENS1_16block_id_wrapperIjLb0EEEEE10hipError_tT1_PNSt15iterator_traitsISN_E10value_typeET2_T3_PNSO_IST_E10value_typeET4_T5_PSY_SZ_PNS1_23onesweep_lookback_stateEbbT6_jjT7_P12ihipStream_tbENKUlT_T0_SN_SS_E_clISG_PjSI_PS9_EEDaS16_S17_SN_SS_EUlS16_E_NS1_11comp_targetILNS1_3genE5ELNS1_11target_archE942ELNS1_3gpuE9ELNS1_3repE0EEENS1_47radix_sort_onesweep_sort_config_static_selectorELNS0_4arch9wavefront6targetE0EEEvSN_,@function
_ZN7rocprim17ROCPRIM_400000_NS6detail17trampoline_kernelINS0_14default_configENS1_35radix_sort_onesweep_config_selectorIjN6thrust23THRUST_200600_302600_NS5tupleIffNS6_9null_typeES8_S8_S8_S8_S8_S8_S8_EEEEZZNS1_29radix_sort_onesweep_iterationIS3_Lb0ENS6_6detail15normal_iteratorINS6_10device_ptrIjEEEESG_NSD_INSE_IS9_EEEESI_jNS0_19identity_decomposerENS1_16block_id_wrapperIjLb0EEEEE10hipError_tT1_PNSt15iterator_traitsISN_E10value_typeET2_T3_PNSO_IST_E10value_typeET4_T5_PSY_SZ_PNS1_23onesweep_lookback_stateEbbT6_jjT7_P12ihipStream_tbENKUlT_T0_SN_SS_E_clISG_PjSI_PS9_EEDaS16_S17_SN_SS_EUlS16_E_NS1_11comp_targetILNS1_3genE5ELNS1_11target_archE942ELNS1_3gpuE9ELNS1_3repE0EEENS1_47radix_sort_onesweep_sort_config_static_selectorELNS0_4arch9wavefront6targetE0EEEvSN_: ; @_ZN7rocprim17ROCPRIM_400000_NS6detail17trampoline_kernelINS0_14default_configENS1_35radix_sort_onesweep_config_selectorIjN6thrust23THRUST_200600_302600_NS5tupleIffNS6_9null_typeES8_S8_S8_S8_S8_S8_S8_EEEEZZNS1_29radix_sort_onesweep_iterationIS3_Lb0ENS6_6detail15normal_iteratorINS6_10device_ptrIjEEEESG_NSD_INSE_IS9_EEEESI_jNS0_19identity_decomposerENS1_16block_id_wrapperIjLb0EEEEE10hipError_tT1_PNSt15iterator_traitsISN_E10value_typeET2_T3_PNSO_IST_E10value_typeET4_T5_PSY_SZ_PNS1_23onesweep_lookback_stateEbbT6_jjT7_P12ihipStream_tbENKUlT_T0_SN_SS_E_clISG_PjSI_PS9_EEDaS16_S17_SN_SS_EUlS16_E_NS1_11comp_targetILNS1_3genE5ELNS1_11target_archE942ELNS1_3gpuE9ELNS1_3repE0EEENS1_47radix_sort_onesweep_sort_config_static_selectorELNS0_4arch9wavefront6targetE0EEEvSN_
; %bb.0:
	.section	.rodata,"a",@progbits
	.p2align	6, 0x0
	.amdhsa_kernel _ZN7rocprim17ROCPRIM_400000_NS6detail17trampoline_kernelINS0_14default_configENS1_35radix_sort_onesweep_config_selectorIjN6thrust23THRUST_200600_302600_NS5tupleIffNS6_9null_typeES8_S8_S8_S8_S8_S8_S8_EEEEZZNS1_29radix_sort_onesweep_iterationIS3_Lb0ENS6_6detail15normal_iteratorINS6_10device_ptrIjEEEESG_NSD_INSE_IS9_EEEESI_jNS0_19identity_decomposerENS1_16block_id_wrapperIjLb0EEEEE10hipError_tT1_PNSt15iterator_traitsISN_E10value_typeET2_T3_PNSO_IST_E10value_typeET4_T5_PSY_SZ_PNS1_23onesweep_lookback_stateEbbT6_jjT7_P12ihipStream_tbENKUlT_T0_SN_SS_E_clISG_PjSI_PS9_EEDaS16_S17_SN_SS_EUlS16_E_NS1_11comp_targetILNS1_3genE5ELNS1_11target_archE942ELNS1_3gpuE9ELNS1_3repE0EEENS1_47radix_sort_onesweep_sort_config_static_selectorELNS0_4arch9wavefront6targetE0EEEvSN_
		.amdhsa_group_segment_fixed_size 0
		.amdhsa_private_segment_fixed_size 0
		.amdhsa_kernarg_size 88
		.amdhsa_user_sgpr_count 2
		.amdhsa_user_sgpr_dispatch_ptr 0
		.amdhsa_user_sgpr_queue_ptr 0
		.amdhsa_user_sgpr_kernarg_segment_ptr 1
		.amdhsa_user_sgpr_dispatch_id 0
		.amdhsa_user_sgpr_kernarg_preload_length 0
		.amdhsa_user_sgpr_kernarg_preload_offset 0
		.amdhsa_user_sgpr_private_segment_size 0
		.amdhsa_wavefront_size32 1
		.amdhsa_uses_dynamic_stack 0
		.amdhsa_enable_private_segment 0
		.amdhsa_system_sgpr_workgroup_id_x 1
		.amdhsa_system_sgpr_workgroup_id_y 0
		.amdhsa_system_sgpr_workgroup_id_z 0
		.amdhsa_system_sgpr_workgroup_info 0
		.amdhsa_system_vgpr_workitem_id 0
		.amdhsa_next_free_vgpr 1
		.amdhsa_next_free_sgpr 1
		.amdhsa_named_barrier_count 0
		.amdhsa_reserve_vcc 0
		.amdhsa_float_round_mode_32 0
		.amdhsa_float_round_mode_16_64 0
		.amdhsa_float_denorm_mode_32 3
		.amdhsa_float_denorm_mode_16_64 3
		.amdhsa_fp16_overflow 0
		.amdhsa_memory_ordered 1
		.amdhsa_forward_progress 1
		.amdhsa_inst_pref_size 0
		.amdhsa_round_robin_scheduling 0
		.amdhsa_exception_fp_ieee_invalid_op 0
		.amdhsa_exception_fp_denorm_src 0
		.amdhsa_exception_fp_ieee_div_zero 0
		.amdhsa_exception_fp_ieee_overflow 0
		.amdhsa_exception_fp_ieee_underflow 0
		.amdhsa_exception_fp_ieee_inexact 0
		.amdhsa_exception_int_div_zero 0
	.end_amdhsa_kernel
	.section	.text._ZN7rocprim17ROCPRIM_400000_NS6detail17trampoline_kernelINS0_14default_configENS1_35radix_sort_onesweep_config_selectorIjN6thrust23THRUST_200600_302600_NS5tupleIffNS6_9null_typeES8_S8_S8_S8_S8_S8_S8_EEEEZZNS1_29radix_sort_onesweep_iterationIS3_Lb0ENS6_6detail15normal_iteratorINS6_10device_ptrIjEEEESG_NSD_INSE_IS9_EEEESI_jNS0_19identity_decomposerENS1_16block_id_wrapperIjLb0EEEEE10hipError_tT1_PNSt15iterator_traitsISN_E10value_typeET2_T3_PNSO_IST_E10value_typeET4_T5_PSY_SZ_PNS1_23onesweep_lookback_stateEbbT6_jjT7_P12ihipStream_tbENKUlT_T0_SN_SS_E_clISG_PjSI_PS9_EEDaS16_S17_SN_SS_EUlS16_E_NS1_11comp_targetILNS1_3genE5ELNS1_11target_archE942ELNS1_3gpuE9ELNS1_3repE0EEENS1_47radix_sort_onesweep_sort_config_static_selectorELNS0_4arch9wavefront6targetE0EEEvSN_,"axG",@progbits,_ZN7rocprim17ROCPRIM_400000_NS6detail17trampoline_kernelINS0_14default_configENS1_35radix_sort_onesweep_config_selectorIjN6thrust23THRUST_200600_302600_NS5tupleIffNS6_9null_typeES8_S8_S8_S8_S8_S8_S8_EEEEZZNS1_29radix_sort_onesweep_iterationIS3_Lb0ENS6_6detail15normal_iteratorINS6_10device_ptrIjEEEESG_NSD_INSE_IS9_EEEESI_jNS0_19identity_decomposerENS1_16block_id_wrapperIjLb0EEEEE10hipError_tT1_PNSt15iterator_traitsISN_E10value_typeET2_T3_PNSO_IST_E10value_typeET4_T5_PSY_SZ_PNS1_23onesweep_lookback_stateEbbT6_jjT7_P12ihipStream_tbENKUlT_T0_SN_SS_E_clISG_PjSI_PS9_EEDaS16_S17_SN_SS_EUlS16_E_NS1_11comp_targetILNS1_3genE5ELNS1_11target_archE942ELNS1_3gpuE9ELNS1_3repE0EEENS1_47radix_sort_onesweep_sort_config_static_selectorELNS0_4arch9wavefront6targetE0EEEvSN_,comdat
.Lfunc_end213:
	.size	_ZN7rocprim17ROCPRIM_400000_NS6detail17trampoline_kernelINS0_14default_configENS1_35radix_sort_onesweep_config_selectorIjN6thrust23THRUST_200600_302600_NS5tupleIffNS6_9null_typeES8_S8_S8_S8_S8_S8_S8_EEEEZZNS1_29radix_sort_onesweep_iterationIS3_Lb0ENS6_6detail15normal_iteratorINS6_10device_ptrIjEEEESG_NSD_INSE_IS9_EEEESI_jNS0_19identity_decomposerENS1_16block_id_wrapperIjLb0EEEEE10hipError_tT1_PNSt15iterator_traitsISN_E10value_typeET2_T3_PNSO_IST_E10value_typeET4_T5_PSY_SZ_PNS1_23onesweep_lookback_stateEbbT6_jjT7_P12ihipStream_tbENKUlT_T0_SN_SS_E_clISG_PjSI_PS9_EEDaS16_S17_SN_SS_EUlS16_E_NS1_11comp_targetILNS1_3genE5ELNS1_11target_archE942ELNS1_3gpuE9ELNS1_3repE0EEENS1_47radix_sort_onesweep_sort_config_static_selectorELNS0_4arch9wavefront6targetE0EEEvSN_, .Lfunc_end213-_ZN7rocprim17ROCPRIM_400000_NS6detail17trampoline_kernelINS0_14default_configENS1_35radix_sort_onesweep_config_selectorIjN6thrust23THRUST_200600_302600_NS5tupleIffNS6_9null_typeES8_S8_S8_S8_S8_S8_S8_EEEEZZNS1_29radix_sort_onesweep_iterationIS3_Lb0ENS6_6detail15normal_iteratorINS6_10device_ptrIjEEEESG_NSD_INSE_IS9_EEEESI_jNS0_19identity_decomposerENS1_16block_id_wrapperIjLb0EEEEE10hipError_tT1_PNSt15iterator_traitsISN_E10value_typeET2_T3_PNSO_IST_E10value_typeET4_T5_PSY_SZ_PNS1_23onesweep_lookback_stateEbbT6_jjT7_P12ihipStream_tbENKUlT_T0_SN_SS_E_clISG_PjSI_PS9_EEDaS16_S17_SN_SS_EUlS16_E_NS1_11comp_targetILNS1_3genE5ELNS1_11target_archE942ELNS1_3gpuE9ELNS1_3repE0EEENS1_47radix_sort_onesweep_sort_config_static_selectorELNS0_4arch9wavefront6targetE0EEEvSN_
                                        ; -- End function
	.set _ZN7rocprim17ROCPRIM_400000_NS6detail17trampoline_kernelINS0_14default_configENS1_35radix_sort_onesweep_config_selectorIjN6thrust23THRUST_200600_302600_NS5tupleIffNS6_9null_typeES8_S8_S8_S8_S8_S8_S8_EEEEZZNS1_29radix_sort_onesweep_iterationIS3_Lb0ENS6_6detail15normal_iteratorINS6_10device_ptrIjEEEESG_NSD_INSE_IS9_EEEESI_jNS0_19identity_decomposerENS1_16block_id_wrapperIjLb0EEEEE10hipError_tT1_PNSt15iterator_traitsISN_E10value_typeET2_T3_PNSO_IST_E10value_typeET4_T5_PSY_SZ_PNS1_23onesweep_lookback_stateEbbT6_jjT7_P12ihipStream_tbENKUlT_T0_SN_SS_E_clISG_PjSI_PS9_EEDaS16_S17_SN_SS_EUlS16_E_NS1_11comp_targetILNS1_3genE5ELNS1_11target_archE942ELNS1_3gpuE9ELNS1_3repE0EEENS1_47radix_sort_onesweep_sort_config_static_selectorELNS0_4arch9wavefront6targetE0EEEvSN_.num_vgpr, 0
	.set _ZN7rocprim17ROCPRIM_400000_NS6detail17trampoline_kernelINS0_14default_configENS1_35radix_sort_onesweep_config_selectorIjN6thrust23THRUST_200600_302600_NS5tupleIffNS6_9null_typeES8_S8_S8_S8_S8_S8_S8_EEEEZZNS1_29radix_sort_onesweep_iterationIS3_Lb0ENS6_6detail15normal_iteratorINS6_10device_ptrIjEEEESG_NSD_INSE_IS9_EEEESI_jNS0_19identity_decomposerENS1_16block_id_wrapperIjLb0EEEEE10hipError_tT1_PNSt15iterator_traitsISN_E10value_typeET2_T3_PNSO_IST_E10value_typeET4_T5_PSY_SZ_PNS1_23onesweep_lookback_stateEbbT6_jjT7_P12ihipStream_tbENKUlT_T0_SN_SS_E_clISG_PjSI_PS9_EEDaS16_S17_SN_SS_EUlS16_E_NS1_11comp_targetILNS1_3genE5ELNS1_11target_archE942ELNS1_3gpuE9ELNS1_3repE0EEENS1_47radix_sort_onesweep_sort_config_static_selectorELNS0_4arch9wavefront6targetE0EEEvSN_.num_agpr, 0
	.set _ZN7rocprim17ROCPRIM_400000_NS6detail17trampoline_kernelINS0_14default_configENS1_35radix_sort_onesweep_config_selectorIjN6thrust23THRUST_200600_302600_NS5tupleIffNS6_9null_typeES8_S8_S8_S8_S8_S8_S8_EEEEZZNS1_29radix_sort_onesweep_iterationIS3_Lb0ENS6_6detail15normal_iteratorINS6_10device_ptrIjEEEESG_NSD_INSE_IS9_EEEESI_jNS0_19identity_decomposerENS1_16block_id_wrapperIjLb0EEEEE10hipError_tT1_PNSt15iterator_traitsISN_E10value_typeET2_T3_PNSO_IST_E10value_typeET4_T5_PSY_SZ_PNS1_23onesweep_lookback_stateEbbT6_jjT7_P12ihipStream_tbENKUlT_T0_SN_SS_E_clISG_PjSI_PS9_EEDaS16_S17_SN_SS_EUlS16_E_NS1_11comp_targetILNS1_3genE5ELNS1_11target_archE942ELNS1_3gpuE9ELNS1_3repE0EEENS1_47radix_sort_onesweep_sort_config_static_selectorELNS0_4arch9wavefront6targetE0EEEvSN_.numbered_sgpr, 0
	.set _ZN7rocprim17ROCPRIM_400000_NS6detail17trampoline_kernelINS0_14default_configENS1_35radix_sort_onesweep_config_selectorIjN6thrust23THRUST_200600_302600_NS5tupleIffNS6_9null_typeES8_S8_S8_S8_S8_S8_S8_EEEEZZNS1_29radix_sort_onesweep_iterationIS3_Lb0ENS6_6detail15normal_iteratorINS6_10device_ptrIjEEEESG_NSD_INSE_IS9_EEEESI_jNS0_19identity_decomposerENS1_16block_id_wrapperIjLb0EEEEE10hipError_tT1_PNSt15iterator_traitsISN_E10value_typeET2_T3_PNSO_IST_E10value_typeET4_T5_PSY_SZ_PNS1_23onesweep_lookback_stateEbbT6_jjT7_P12ihipStream_tbENKUlT_T0_SN_SS_E_clISG_PjSI_PS9_EEDaS16_S17_SN_SS_EUlS16_E_NS1_11comp_targetILNS1_3genE5ELNS1_11target_archE942ELNS1_3gpuE9ELNS1_3repE0EEENS1_47radix_sort_onesweep_sort_config_static_selectorELNS0_4arch9wavefront6targetE0EEEvSN_.num_named_barrier, 0
	.set _ZN7rocprim17ROCPRIM_400000_NS6detail17trampoline_kernelINS0_14default_configENS1_35radix_sort_onesweep_config_selectorIjN6thrust23THRUST_200600_302600_NS5tupleIffNS6_9null_typeES8_S8_S8_S8_S8_S8_S8_EEEEZZNS1_29radix_sort_onesweep_iterationIS3_Lb0ENS6_6detail15normal_iteratorINS6_10device_ptrIjEEEESG_NSD_INSE_IS9_EEEESI_jNS0_19identity_decomposerENS1_16block_id_wrapperIjLb0EEEEE10hipError_tT1_PNSt15iterator_traitsISN_E10value_typeET2_T3_PNSO_IST_E10value_typeET4_T5_PSY_SZ_PNS1_23onesweep_lookback_stateEbbT6_jjT7_P12ihipStream_tbENKUlT_T0_SN_SS_E_clISG_PjSI_PS9_EEDaS16_S17_SN_SS_EUlS16_E_NS1_11comp_targetILNS1_3genE5ELNS1_11target_archE942ELNS1_3gpuE9ELNS1_3repE0EEENS1_47radix_sort_onesweep_sort_config_static_selectorELNS0_4arch9wavefront6targetE0EEEvSN_.private_seg_size, 0
	.set _ZN7rocprim17ROCPRIM_400000_NS6detail17trampoline_kernelINS0_14default_configENS1_35radix_sort_onesweep_config_selectorIjN6thrust23THRUST_200600_302600_NS5tupleIffNS6_9null_typeES8_S8_S8_S8_S8_S8_S8_EEEEZZNS1_29radix_sort_onesweep_iterationIS3_Lb0ENS6_6detail15normal_iteratorINS6_10device_ptrIjEEEESG_NSD_INSE_IS9_EEEESI_jNS0_19identity_decomposerENS1_16block_id_wrapperIjLb0EEEEE10hipError_tT1_PNSt15iterator_traitsISN_E10value_typeET2_T3_PNSO_IST_E10value_typeET4_T5_PSY_SZ_PNS1_23onesweep_lookback_stateEbbT6_jjT7_P12ihipStream_tbENKUlT_T0_SN_SS_E_clISG_PjSI_PS9_EEDaS16_S17_SN_SS_EUlS16_E_NS1_11comp_targetILNS1_3genE5ELNS1_11target_archE942ELNS1_3gpuE9ELNS1_3repE0EEENS1_47radix_sort_onesweep_sort_config_static_selectorELNS0_4arch9wavefront6targetE0EEEvSN_.uses_vcc, 0
	.set _ZN7rocprim17ROCPRIM_400000_NS6detail17trampoline_kernelINS0_14default_configENS1_35radix_sort_onesweep_config_selectorIjN6thrust23THRUST_200600_302600_NS5tupleIffNS6_9null_typeES8_S8_S8_S8_S8_S8_S8_EEEEZZNS1_29radix_sort_onesweep_iterationIS3_Lb0ENS6_6detail15normal_iteratorINS6_10device_ptrIjEEEESG_NSD_INSE_IS9_EEEESI_jNS0_19identity_decomposerENS1_16block_id_wrapperIjLb0EEEEE10hipError_tT1_PNSt15iterator_traitsISN_E10value_typeET2_T3_PNSO_IST_E10value_typeET4_T5_PSY_SZ_PNS1_23onesweep_lookback_stateEbbT6_jjT7_P12ihipStream_tbENKUlT_T0_SN_SS_E_clISG_PjSI_PS9_EEDaS16_S17_SN_SS_EUlS16_E_NS1_11comp_targetILNS1_3genE5ELNS1_11target_archE942ELNS1_3gpuE9ELNS1_3repE0EEENS1_47radix_sort_onesweep_sort_config_static_selectorELNS0_4arch9wavefront6targetE0EEEvSN_.uses_flat_scratch, 0
	.set _ZN7rocprim17ROCPRIM_400000_NS6detail17trampoline_kernelINS0_14default_configENS1_35radix_sort_onesweep_config_selectorIjN6thrust23THRUST_200600_302600_NS5tupleIffNS6_9null_typeES8_S8_S8_S8_S8_S8_S8_EEEEZZNS1_29radix_sort_onesweep_iterationIS3_Lb0ENS6_6detail15normal_iteratorINS6_10device_ptrIjEEEESG_NSD_INSE_IS9_EEEESI_jNS0_19identity_decomposerENS1_16block_id_wrapperIjLb0EEEEE10hipError_tT1_PNSt15iterator_traitsISN_E10value_typeET2_T3_PNSO_IST_E10value_typeET4_T5_PSY_SZ_PNS1_23onesweep_lookback_stateEbbT6_jjT7_P12ihipStream_tbENKUlT_T0_SN_SS_E_clISG_PjSI_PS9_EEDaS16_S17_SN_SS_EUlS16_E_NS1_11comp_targetILNS1_3genE5ELNS1_11target_archE942ELNS1_3gpuE9ELNS1_3repE0EEENS1_47radix_sort_onesweep_sort_config_static_selectorELNS0_4arch9wavefront6targetE0EEEvSN_.has_dyn_sized_stack, 0
	.set _ZN7rocprim17ROCPRIM_400000_NS6detail17trampoline_kernelINS0_14default_configENS1_35radix_sort_onesweep_config_selectorIjN6thrust23THRUST_200600_302600_NS5tupleIffNS6_9null_typeES8_S8_S8_S8_S8_S8_S8_EEEEZZNS1_29radix_sort_onesweep_iterationIS3_Lb0ENS6_6detail15normal_iteratorINS6_10device_ptrIjEEEESG_NSD_INSE_IS9_EEEESI_jNS0_19identity_decomposerENS1_16block_id_wrapperIjLb0EEEEE10hipError_tT1_PNSt15iterator_traitsISN_E10value_typeET2_T3_PNSO_IST_E10value_typeET4_T5_PSY_SZ_PNS1_23onesweep_lookback_stateEbbT6_jjT7_P12ihipStream_tbENKUlT_T0_SN_SS_E_clISG_PjSI_PS9_EEDaS16_S17_SN_SS_EUlS16_E_NS1_11comp_targetILNS1_3genE5ELNS1_11target_archE942ELNS1_3gpuE9ELNS1_3repE0EEENS1_47radix_sort_onesweep_sort_config_static_selectorELNS0_4arch9wavefront6targetE0EEEvSN_.has_recursion, 0
	.set _ZN7rocprim17ROCPRIM_400000_NS6detail17trampoline_kernelINS0_14default_configENS1_35radix_sort_onesweep_config_selectorIjN6thrust23THRUST_200600_302600_NS5tupleIffNS6_9null_typeES8_S8_S8_S8_S8_S8_S8_EEEEZZNS1_29radix_sort_onesweep_iterationIS3_Lb0ENS6_6detail15normal_iteratorINS6_10device_ptrIjEEEESG_NSD_INSE_IS9_EEEESI_jNS0_19identity_decomposerENS1_16block_id_wrapperIjLb0EEEEE10hipError_tT1_PNSt15iterator_traitsISN_E10value_typeET2_T3_PNSO_IST_E10value_typeET4_T5_PSY_SZ_PNS1_23onesweep_lookback_stateEbbT6_jjT7_P12ihipStream_tbENKUlT_T0_SN_SS_E_clISG_PjSI_PS9_EEDaS16_S17_SN_SS_EUlS16_E_NS1_11comp_targetILNS1_3genE5ELNS1_11target_archE942ELNS1_3gpuE9ELNS1_3repE0EEENS1_47radix_sort_onesweep_sort_config_static_selectorELNS0_4arch9wavefront6targetE0EEEvSN_.has_indirect_call, 0
	.section	.AMDGPU.csdata,"",@progbits
; Kernel info:
; codeLenInByte = 0
; TotalNumSgprs: 0
; NumVgprs: 0
; ScratchSize: 0
; MemoryBound: 0
; FloatMode: 240
; IeeeMode: 1
; LDSByteSize: 0 bytes/workgroup (compile time only)
; SGPRBlocks: 0
; VGPRBlocks: 0
; NumSGPRsForWavesPerEU: 1
; NumVGPRsForWavesPerEU: 1
; NamedBarCnt: 0
; Occupancy: 16
; WaveLimiterHint : 0
; COMPUTE_PGM_RSRC2:SCRATCH_EN: 0
; COMPUTE_PGM_RSRC2:USER_SGPR: 2
; COMPUTE_PGM_RSRC2:TRAP_HANDLER: 0
; COMPUTE_PGM_RSRC2:TGID_X_EN: 1
; COMPUTE_PGM_RSRC2:TGID_Y_EN: 0
; COMPUTE_PGM_RSRC2:TGID_Z_EN: 0
; COMPUTE_PGM_RSRC2:TIDIG_COMP_CNT: 0
	.section	.text._ZN7rocprim17ROCPRIM_400000_NS6detail17trampoline_kernelINS0_14default_configENS1_35radix_sort_onesweep_config_selectorIjN6thrust23THRUST_200600_302600_NS5tupleIffNS6_9null_typeES8_S8_S8_S8_S8_S8_S8_EEEEZZNS1_29radix_sort_onesweep_iterationIS3_Lb0ENS6_6detail15normal_iteratorINS6_10device_ptrIjEEEESG_NSD_INSE_IS9_EEEESI_jNS0_19identity_decomposerENS1_16block_id_wrapperIjLb0EEEEE10hipError_tT1_PNSt15iterator_traitsISN_E10value_typeET2_T3_PNSO_IST_E10value_typeET4_T5_PSY_SZ_PNS1_23onesweep_lookback_stateEbbT6_jjT7_P12ihipStream_tbENKUlT_T0_SN_SS_E_clISG_PjSI_PS9_EEDaS16_S17_SN_SS_EUlS16_E_NS1_11comp_targetILNS1_3genE2ELNS1_11target_archE906ELNS1_3gpuE6ELNS1_3repE0EEENS1_47radix_sort_onesweep_sort_config_static_selectorELNS0_4arch9wavefront6targetE0EEEvSN_,"axG",@progbits,_ZN7rocprim17ROCPRIM_400000_NS6detail17trampoline_kernelINS0_14default_configENS1_35radix_sort_onesweep_config_selectorIjN6thrust23THRUST_200600_302600_NS5tupleIffNS6_9null_typeES8_S8_S8_S8_S8_S8_S8_EEEEZZNS1_29radix_sort_onesweep_iterationIS3_Lb0ENS6_6detail15normal_iteratorINS6_10device_ptrIjEEEESG_NSD_INSE_IS9_EEEESI_jNS0_19identity_decomposerENS1_16block_id_wrapperIjLb0EEEEE10hipError_tT1_PNSt15iterator_traitsISN_E10value_typeET2_T3_PNSO_IST_E10value_typeET4_T5_PSY_SZ_PNS1_23onesweep_lookback_stateEbbT6_jjT7_P12ihipStream_tbENKUlT_T0_SN_SS_E_clISG_PjSI_PS9_EEDaS16_S17_SN_SS_EUlS16_E_NS1_11comp_targetILNS1_3genE2ELNS1_11target_archE906ELNS1_3gpuE6ELNS1_3repE0EEENS1_47radix_sort_onesweep_sort_config_static_selectorELNS0_4arch9wavefront6targetE0EEEvSN_,comdat
	.protected	_ZN7rocprim17ROCPRIM_400000_NS6detail17trampoline_kernelINS0_14default_configENS1_35radix_sort_onesweep_config_selectorIjN6thrust23THRUST_200600_302600_NS5tupleIffNS6_9null_typeES8_S8_S8_S8_S8_S8_S8_EEEEZZNS1_29radix_sort_onesweep_iterationIS3_Lb0ENS6_6detail15normal_iteratorINS6_10device_ptrIjEEEESG_NSD_INSE_IS9_EEEESI_jNS0_19identity_decomposerENS1_16block_id_wrapperIjLb0EEEEE10hipError_tT1_PNSt15iterator_traitsISN_E10value_typeET2_T3_PNSO_IST_E10value_typeET4_T5_PSY_SZ_PNS1_23onesweep_lookback_stateEbbT6_jjT7_P12ihipStream_tbENKUlT_T0_SN_SS_E_clISG_PjSI_PS9_EEDaS16_S17_SN_SS_EUlS16_E_NS1_11comp_targetILNS1_3genE2ELNS1_11target_archE906ELNS1_3gpuE6ELNS1_3repE0EEENS1_47radix_sort_onesweep_sort_config_static_selectorELNS0_4arch9wavefront6targetE0EEEvSN_ ; -- Begin function _ZN7rocprim17ROCPRIM_400000_NS6detail17trampoline_kernelINS0_14default_configENS1_35radix_sort_onesweep_config_selectorIjN6thrust23THRUST_200600_302600_NS5tupleIffNS6_9null_typeES8_S8_S8_S8_S8_S8_S8_EEEEZZNS1_29radix_sort_onesweep_iterationIS3_Lb0ENS6_6detail15normal_iteratorINS6_10device_ptrIjEEEESG_NSD_INSE_IS9_EEEESI_jNS0_19identity_decomposerENS1_16block_id_wrapperIjLb0EEEEE10hipError_tT1_PNSt15iterator_traitsISN_E10value_typeET2_T3_PNSO_IST_E10value_typeET4_T5_PSY_SZ_PNS1_23onesweep_lookback_stateEbbT6_jjT7_P12ihipStream_tbENKUlT_T0_SN_SS_E_clISG_PjSI_PS9_EEDaS16_S17_SN_SS_EUlS16_E_NS1_11comp_targetILNS1_3genE2ELNS1_11target_archE906ELNS1_3gpuE6ELNS1_3repE0EEENS1_47radix_sort_onesweep_sort_config_static_selectorELNS0_4arch9wavefront6targetE0EEEvSN_
	.globl	_ZN7rocprim17ROCPRIM_400000_NS6detail17trampoline_kernelINS0_14default_configENS1_35radix_sort_onesweep_config_selectorIjN6thrust23THRUST_200600_302600_NS5tupleIffNS6_9null_typeES8_S8_S8_S8_S8_S8_S8_EEEEZZNS1_29radix_sort_onesweep_iterationIS3_Lb0ENS6_6detail15normal_iteratorINS6_10device_ptrIjEEEESG_NSD_INSE_IS9_EEEESI_jNS0_19identity_decomposerENS1_16block_id_wrapperIjLb0EEEEE10hipError_tT1_PNSt15iterator_traitsISN_E10value_typeET2_T3_PNSO_IST_E10value_typeET4_T5_PSY_SZ_PNS1_23onesweep_lookback_stateEbbT6_jjT7_P12ihipStream_tbENKUlT_T0_SN_SS_E_clISG_PjSI_PS9_EEDaS16_S17_SN_SS_EUlS16_E_NS1_11comp_targetILNS1_3genE2ELNS1_11target_archE906ELNS1_3gpuE6ELNS1_3repE0EEENS1_47radix_sort_onesweep_sort_config_static_selectorELNS0_4arch9wavefront6targetE0EEEvSN_
	.p2align	8
	.type	_ZN7rocprim17ROCPRIM_400000_NS6detail17trampoline_kernelINS0_14default_configENS1_35radix_sort_onesweep_config_selectorIjN6thrust23THRUST_200600_302600_NS5tupleIffNS6_9null_typeES8_S8_S8_S8_S8_S8_S8_EEEEZZNS1_29radix_sort_onesweep_iterationIS3_Lb0ENS6_6detail15normal_iteratorINS6_10device_ptrIjEEEESG_NSD_INSE_IS9_EEEESI_jNS0_19identity_decomposerENS1_16block_id_wrapperIjLb0EEEEE10hipError_tT1_PNSt15iterator_traitsISN_E10value_typeET2_T3_PNSO_IST_E10value_typeET4_T5_PSY_SZ_PNS1_23onesweep_lookback_stateEbbT6_jjT7_P12ihipStream_tbENKUlT_T0_SN_SS_E_clISG_PjSI_PS9_EEDaS16_S17_SN_SS_EUlS16_E_NS1_11comp_targetILNS1_3genE2ELNS1_11target_archE906ELNS1_3gpuE6ELNS1_3repE0EEENS1_47radix_sort_onesweep_sort_config_static_selectorELNS0_4arch9wavefront6targetE0EEEvSN_,@function
_ZN7rocprim17ROCPRIM_400000_NS6detail17trampoline_kernelINS0_14default_configENS1_35radix_sort_onesweep_config_selectorIjN6thrust23THRUST_200600_302600_NS5tupleIffNS6_9null_typeES8_S8_S8_S8_S8_S8_S8_EEEEZZNS1_29radix_sort_onesweep_iterationIS3_Lb0ENS6_6detail15normal_iteratorINS6_10device_ptrIjEEEESG_NSD_INSE_IS9_EEEESI_jNS0_19identity_decomposerENS1_16block_id_wrapperIjLb0EEEEE10hipError_tT1_PNSt15iterator_traitsISN_E10value_typeET2_T3_PNSO_IST_E10value_typeET4_T5_PSY_SZ_PNS1_23onesweep_lookback_stateEbbT6_jjT7_P12ihipStream_tbENKUlT_T0_SN_SS_E_clISG_PjSI_PS9_EEDaS16_S17_SN_SS_EUlS16_E_NS1_11comp_targetILNS1_3genE2ELNS1_11target_archE906ELNS1_3gpuE6ELNS1_3repE0EEENS1_47radix_sort_onesweep_sort_config_static_selectorELNS0_4arch9wavefront6targetE0EEEvSN_: ; @_ZN7rocprim17ROCPRIM_400000_NS6detail17trampoline_kernelINS0_14default_configENS1_35radix_sort_onesweep_config_selectorIjN6thrust23THRUST_200600_302600_NS5tupleIffNS6_9null_typeES8_S8_S8_S8_S8_S8_S8_EEEEZZNS1_29radix_sort_onesweep_iterationIS3_Lb0ENS6_6detail15normal_iteratorINS6_10device_ptrIjEEEESG_NSD_INSE_IS9_EEEESI_jNS0_19identity_decomposerENS1_16block_id_wrapperIjLb0EEEEE10hipError_tT1_PNSt15iterator_traitsISN_E10value_typeET2_T3_PNSO_IST_E10value_typeET4_T5_PSY_SZ_PNS1_23onesweep_lookback_stateEbbT6_jjT7_P12ihipStream_tbENKUlT_T0_SN_SS_E_clISG_PjSI_PS9_EEDaS16_S17_SN_SS_EUlS16_E_NS1_11comp_targetILNS1_3genE2ELNS1_11target_archE906ELNS1_3gpuE6ELNS1_3repE0EEENS1_47radix_sort_onesweep_sort_config_static_selectorELNS0_4arch9wavefront6targetE0EEEvSN_
; %bb.0:
	.section	.rodata,"a",@progbits
	.p2align	6, 0x0
	.amdhsa_kernel _ZN7rocprim17ROCPRIM_400000_NS6detail17trampoline_kernelINS0_14default_configENS1_35radix_sort_onesweep_config_selectorIjN6thrust23THRUST_200600_302600_NS5tupleIffNS6_9null_typeES8_S8_S8_S8_S8_S8_S8_EEEEZZNS1_29radix_sort_onesweep_iterationIS3_Lb0ENS6_6detail15normal_iteratorINS6_10device_ptrIjEEEESG_NSD_INSE_IS9_EEEESI_jNS0_19identity_decomposerENS1_16block_id_wrapperIjLb0EEEEE10hipError_tT1_PNSt15iterator_traitsISN_E10value_typeET2_T3_PNSO_IST_E10value_typeET4_T5_PSY_SZ_PNS1_23onesweep_lookback_stateEbbT6_jjT7_P12ihipStream_tbENKUlT_T0_SN_SS_E_clISG_PjSI_PS9_EEDaS16_S17_SN_SS_EUlS16_E_NS1_11comp_targetILNS1_3genE2ELNS1_11target_archE906ELNS1_3gpuE6ELNS1_3repE0EEENS1_47radix_sort_onesweep_sort_config_static_selectorELNS0_4arch9wavefront6targetE0EEEvSN_
		.amdhsa_group_segment_fixed_size 0
		.amdhsa_private_segment_fixed_size 0
		.amdhsa_kernarg_size 88
		.amdhsa_user_sgpr_count 2
		.amdhsa_user_sgpr_dispatch_ptr 0
		.amdhsa_user_sgpr_queue_ptr 0
		.amdhsa_user_sgpr_kernarg_segment_ptr 1
		.amdhsa_user_sgpr_dispatch_id 0
		.amdhsa_user_sgpr_kernarg_preload_length 0
		.amdhsa_user_sgpr_kernarg_preload_offset 0
		.amdhsa_user_sgpr_private_segment_size 0
		.amdhsa_wavefront_size32 1
		.amdhsa_uses_dynamic_stack 0
		.amdhsa_enable_private_segment 0
		.amdhsa_system_sgpr_workgroup_id_x 1
		.amdhsa_system_sgpr_workgroup_id_y 0
		.amdhsa_system_sgpr_workgroup_id_z 0
		.amdhsa_system_sgpr_workgroup_info 0
		.amdhsa_system_vgpr_workitem_id 0
		.amdhsa_next_free_vgpr 1
		.amdhsa_next_free_sgpr 1
		.amdhsa_named_barrier_count 0
		.amdhsa_reserve_vcc 0
		.amdhsa_float_round_mode_32 0
		.amdhsa_float_round_mode_16_64 0
		.amdhsa_float_denorm_mode_32 3
		.amdhsa_float_denorm_mode_16_64 3
		.amdhsa_fp16_overflow 0
		.amdhsa_memory_ordered 1
		.amdhsa_forward_progress 1
		.amdhsa_inst_pref_size 0
		.amdhsa_round_robin_scheduling 0
		.amdhsa_exception_fp_ieee_invalid_op 0
		.amdhsa_exception_fp_denorm_src 0
		.amdhsa_exception_fp_ieee_div_zero 0
		.amdhsa_exception_fp_ieee_overflow 0
		.amdhsa_exception_fp_ieee_underflow 0
		.amdhsa_exception_fp_ieee_inexact 0
		.amdhsa_exception_int_div_zero 0
	.end_amdhsa_kernel
	.section	.text._ZN7rocprim17ROCPRIM_400000_NS6detail17trampoline_kernelINS0_14default_configENS1_35radix_sort_onesweep_config_selectorIjN6thrust23THRUST_200600_302600_NS5tupleIffNS6_9null_typeES8_S8_S8_S8_S8_S8_S8_EEEEZZNS1_29radix_sort_onesweep_iterationIS3_Lb0ENS6_6detail15normal_iteratorINS6_10device_ptrIjEEEESG_NSD_INSE_IS9_EEEESI_jNS0_19identity_decomposerENS1_16block_id_wrapperIjLb0EEEEE10hipError_tT1_PNSt15iterator_traitsISN_E10value_typeET2_T3_PNSO_IST_E10value_typeET4_T5_PSY_SZ_PNS1_23onesweep_lookback_stateEbbT6_jjT7_P12ihipStream_tbENKUlT_T0_SN_SS_E_clISG_PjSI_PS9_EEDaS16_S17_SN_SS_EUlS16_E_NS1_11comp_targetILNS1_3genE2ELNS1_11target_archE906ELNS1_3gpuE6ELNS1_3repE0EEENS1_47radix_sort_onesweep_sort_config_static_selectorELNS0_4arch9wavefront6targetE0EEEvSN_,"axG",@progbits,_ZN7rocprim17ROCPRIM_400000_NS6detail17trampoline_kernelINS0_14default_configENS1_35radix_sort_onesweep_config_selectorIjN6thrust23THRUST_200600_302600_NS5tupleIffNS6_9null_typeES8_S8_S8_S8_S8_S8_S8_EEEEZZNS1_29radix_sort_onesweep_iterationIS3_Lb0ENS6_6detail15normal_iteratorINS6_10device_ptrIjEEEESG_NSD_INSE_IS9_EEEESI_jNS0_19identity_decomposerENS1_16block_id_wrapperIjLb0EEEEE10hipError_tT1_PNSt15iterator_traitsISN_E10value_typeET2_T3_PNSO_IST_E10value_typeET4_T5_PSY_SZ_PNS1_23onesweep_lookback_stateEbbT6_jjT7_P12ihipStream_tbENKUlT_T0_SN_SS_E_clISG_PjSI_PS9_EEDaS16_S17_SN_SS_EUlS16_E_NS1_11comp_targetILNS1_3genE2ELNS1_11target_archE906ELNS1_3gpuE6ELNS1_3repE0EEENS1_47radix_sort_onesweep_sort_config_static_selectorELNS0_4arch9wavefront6targetE0EEEvSN_,comdat
.Lfunc_end214:
	.size	_ZN7rocprim17ROCPRIM_400000_NS6detail17trampoline_kernelINS0_14default_configENS1_35radix_sort_onesweep_config_selectorIjN6thrust23THRUST_200600_302600_NS5tupleIffNS6_9null_typeES8_S8_S8_S8_S8_S8_S8_EEEEZZNS1_29radix_sort_onesweep_iterationIS3_Lb0ENS6_6detail15normal_iteratorINS6_10device_ptrIjEEEESG_NSD_INSE_IS9_EEEESI_jNS0_19identity_decomposerENS1_16block_id_wrapperIjLb0EEEEE10hipError_tT1_PNSt15iterator_traitsISN_E10value_typeET2_T3_PNSO_IST_E10value_typeET4_T5_PSY_SZ_PNS1_23onesweep_lookback_stateEbbT6_jjT7_P12ihipStream_tbENKUlT_T0_SN_SS_E_clISG_PjSI_PS9_EEDaS16_S17_SN_SS_EUlS16_E_NS1_11comp_targetILNS1_3genE2ELNS1_11target_archE906ELNS1_3gpuE6ELNS1_3repE0EEENS1_47radix_sort_onesweep_sort_config_static_selectorELNS0_4arch9wavefront6targetE0EEEvSN_, .Lfunc_end214-_ZN7rocprim17ROCPRIM_400000_NS6detail17trampoline_kernelINS0_14default_configENS1_35radix_sort_onesweep_config_selectorIjN6thrust23THRUST_200600_302600_NS5tupleIffNS6_9null_typeES8_S8_S8_S8_S8_S8_S8_EEEEZZNS1_29radix_sort_onesweep_iterationIS3_Lb0ENS6_6detail15normal_iteratorINS6_10device_ptrIjEEEESG_NSD_INSE_IS9_EEEESI_jNS0_19identity_decomposerENS1_16block_id_wrapperIjLb0EEEEE10hipError_tT1_PNSt15iterator_traitsISN_E10value_typeET2_T3_PNSO_IST_E10value_typeET4_T5_PSY_SZ_PNS1_23onesweep_lookback_stateEbbT6_jjT7_P12ihipStream_tbENKUlT_T0_SN_SS_E_clISG_PjSI_PS9_EEDaS16_S17_SN_SS_EUlS16_E_NS1_11comp_targetILNS1_3genE2ELNS1_11target_archE906ELNS1_3gpuE6ELNS1_3repE0EEENS1_47radix_sort_onesweep_sort_config_static_selectorELNS0_4arch9wavefront6targetE0EEEvSN_
                                        ; -- End function
	.set _ZN7rocprim17ROCPRIM_400000_NS6detail17trampoline_kernelINS0_14default_configENS1_35radix_sort_onesweep_config_selectorIjN6thrust23THRUST_200600_302600_NS5tupleIffNS6_9null_typeES8_S8_S8_S8_S8_S8_S8_EEEEZZNS1_29radix_sort_onesweep_iterationIS3_Lb0ENS6_6detail15normal_iteratorINS6_10device_ptrIjEEEESG_NSD_INSE_IS9_EEEESI_jNS0_19identity_decomposerENS1_16block_id_wrapperIjLb0EEEEE10hipError_tT1_PNSt15iterator_traitsISN_E10value_typeET2_T3_PNSO_IST_E10value_typeET4_T5_PSY_SZ_PNS1_23onesweep_lookback_stateEbbT6_jjT7_P12ihipStream_tbENKUlT_T0_SN_SS_E_clISG_PjSI_PS9_EEDaS16_S17_SN_SS_EUlS16_E_NS1_11comp_targetILNS1_3genE2ELNS1_11target_archE906ELNS1_3gpuE6ELNS1_3repE0EEENS1_47radix_sort_onesweep_sort_config_static_selectorELNS0_4arch9wavefront6targetE0EEEvSN_.num_vgpr, 0
	.set _ZN7rocprim17ROCPRIM_400000_NS6detail17trampoline_kernelINS0_14default_configENS1_35radix_sort_onesweep_config_selectorIjN6thrust23THRUST_200600_302600_NS5tupleIffNS6_9null_typeES8_S8_S8_S8_S8_S8_S8_EEEEZZNS1_29radix_sort_onesweep_iterationIS3_Lb0ENS6_6detail15normal_iteratorINS6_10device_ptrIjEEEESG_NSD_INSE_IS9_EEEESI_jNS0_19identity_decomposerENS1_16block_id_wrapperIjLb0EEEEE10hipError_tT1_PNSt15iterator_traitsISN_E10value_typeET2_T3_PNSO_IST_E10value_typeET4_T5_PSY_SZ_PNS1_23onesweep_lookback_stateEbbT6_jjT7_P12ihipStream_tbENKUlT_T0_SN_SS_E_clISG_PjSI_PS9_EEDaS16_S17_SN_SS_EUlS16_E_NS1_11comp_targetILNS1_3genE2ELNS1_11target_archE906ELNS1_3gpuE6ELNS1_3repE0EEENS1_47radix_sort_onesweep_sort_config_static_selectorELNS0_4arch9wavefront6targetE0EEEvSN_.num_agpr, 0
	.set _ZN7rocprim17ROCPRIM_400000_NS6detail17trampoline_kernelINS0_14default_configENS1_35radix_sort_onesweep_config_selectorIjN6thrust23THRUST_200600_302600_NS5tupleIffNS6_9null_typeES8_S8_S8_S8_S8_S8_S8_EEEEZZNS1_29radix_sort_onesweep_iterationIS3_Lb0ENS6_6detail15normal_iteratorINS6_10device_ptrIjEEEESG_NSD_INSE_IS9_EEEESI_jNS0_19identity_decomposerENS1_16block_id_wrapperIjLb0EEEEE10hipError_tT1_PNSt15iterator_traitsISN_E10value_typeET2_T3_PNSO_IST_E10value_typeET4_T5_PSY_SZ_PNS1_23onesweep_lookback_stateEbbT6_jjT7_P12ihipStream_tbENKUlT_T0_SN_SS_E_clISG_PjSI_PS9_EEDaS16_S17_SN_SS_EUlS16_E_NS1_11comp_targetILNS1_3genE2ELNS1_11target_archE906ELNS1_3gpuE6ELNS1_3repE0EEENS1_47radix_sort_onesweep_sort_config_static_selectorELNS0_4arch9wavefront6targetE0EEEvSN_.numbered_sgpr, 0
	.set _ZN7rocprim17ROCPRIM_400000_NS6detail17trampoline_kernelINS0_14default_configENS1_35radix_sort_onesweep_config_selectorIjN6thrust23THRUST_200600_302600_NS5tupleIffNS6_9null_typeES8_S8_S8_S8_S8_S8_S8_EEEEZZNS1_29radix_sort_onesweep_iterationIS3_Lb0ENS6_6detail15normal_iteratorINS6_10device_ptrIjEEEESG_NSD_INSE_IS9_EEEESI_jNS0_19identity_decomposerENS1_16block_id_wrapperIjLb0EEEEE10hipError_tT1_PNSt15iterator_traitsISN_E10value_typeET2_T3_PNSO_IST_E10value_typeET4_T5_PSY_SZ_PNS1_23onesweep_lookback_stateEbbT6_jjT7_P12ihipStream_tbENKUlT_T0_SN_SS_E_clISG_PjSI_PS9_EEDaS16_S17_SN_SS_EUlS16_E_NS1_11comp_targetILNS1_3genE2ELNS1_11target_archE906ELNS1_3gpuE6ELNS1_3repE0EEENS1_47radix_sort_onesweep_sort_config_static_selectorELNS0_4arch9wavefront6targetE0EEEvSN_.num_named_barrier, 0
	.set _ZN7rocprim17ROCPRIM_400000_NS6detail17trampoline_kernelINS0_14default_configENS1_35radix_sort_onesweep_config_selectorIjN6thrust23THRUST_200600_302600_NS5tupleIffNS6_9null_typeES8_S8_S8_S8_S8_S8_S8_EEEEZZNS1_29radix_sort_onesweep_iterationIS3_Lb0ENS6_6detail15normal_iteratorINS6_10device_ptrIjEEEESG_NSD_INSE_IS9_EEEESI_jNS0_19identity_decomposerENS1_16block_id_wrapperIjLb0EEEEE10hipError_tT1_PNSt15iterator_traitsISN_E10value_typeET2_T3_PNSO_IST_E10value_typeET4_T5_PSY_SZ_PNS1_23onesweep_lookback_stateEbbT6_jjT7_P12ihipStream_tbENKUlT_T0_SN_SS_E_clISG_PjSI_PS9_EEDaS16_S17_SN_SS_EUlS16_E_NS1_11comp_targetILNS1_3genE2ELNS1_11target_archE906ELNS1_3gpuE6ELNS1_3repE0EEENS1_47radix_sort_onesweep_sort_config_static_selectorELNS0_4arch9wavefront6targetE0EEEvSN_.private_seg_size, 0
	.set _ZN7rocprim17ROCPRIM_400000_NS6detail17trampoline_kernelINS0_14default_configENS1_35radix_sort_onesweep_config_selectorIjN6thrust23THRUST_200600_302600_NS5tupleIffNS6_9null_typeES8_S8_S8_S8_S8_S8_S8_EEEEZZNS1_29radix_sort_onesweep_iterationIS3_Lb0ENS6_6detail15normal_iteratorINS6_10device_ptrIjEEEESG_NSD_INSE_IS9_EEEESI_jNS0_19identity_decomposerENS1_16block_id_wrapperIjLb0EEEEE10hipError_tT1_PNSt15iterator_traitsISN_E10value_typeET2_T3_PNSO_IST_E10value_typeET4_T5_PSY_SZ_PNS1_23onesweep_lookback_stateEbbT6_jjT7_P12ihipStream_tbENKUlT_T0_SN_SS_E_clISG_PjSI_PS9_EEDaS16_S17_SN_SS_EUlS16_E_NS1_11comp_targetILNS1_3genE2ELNS1_11target_archE906ELNS1_3gpuE6ELNS1_3repE0EEENS1_47radix_sort_onesweep_sort_config_static_selectorELNS0_4arch9wavefront6targetE0EEEvSN_.uses_vcc, 0
	.set _ZN7rocprim17ROCPRIM_400000_NS6detail17trampoline_kernelINS0_14default_configENS1_35radix_sort_onesweep_config_selectorIjN6thrust23THRUST_200600_302600_NS5tupleIffNS6_9null_typeES8_S8_S8_S8_S8_S8_S8_EEEEZZNS1_29radix_sort_onesweep_iterationIS3_Lb0ENS6_6detail15normal_iteratorINS6_10device_ptrIjEEEESG_NSD_INSE_IS9_EEEESI_jNS0_19identity_decomposerENS1_16block_id_wrapperIjLb0EEEEE10hipError_tT1_PNSt15iterator_traitsISN_E10value_typeET2_T3_PNSO_IST_E10value_typeET4_T5_PSY_SZ_PNS1_23onesweep_lookback_stateEbbT6_jjT7_P12ihipStream_tbENKUlT_T0_SN_SS_E_clISG_PjSI_PS9_EEDaS16_S17_SN_SS_EUlS16_E_NS1_11comp_targetILNS1_3genE2ELNS1_11target_archE906ELNS1_3gpuE6ELNS1_3repE0EEENS1_47radix_sort_onesweep_sort_config_static_selectorELNS0_4arch9wavefront6targetE0EEEvSN_.uses_flat_scratch, 0
	.set _ZN7rocprim17ROCPRIM_400000_NS6detail17trampoline_kernelINS0_14default_configENS1_35radix_sort_onesweep_config_selectorIjN6thrust23THRUST_200600_302600_NS5tupleIffNS6_9null_typeES8_S8_S8_S8_S8_S8_S8_EEEEZZNS1_29radix_sort_onesweep_iterationIS3_Lb0ENS6_6detail15normal_iteratorINS6_10device_ptrIjEEEESG_NSD_INSE_IS9_EEEESI_jNS0_19identity_decomposerENS1_16block_id_wrapperIjLb0EEEEE10hipError_tT1_PNSt15iterator_traitsISN_E10value_typeET2_T3_PNSO_IST_E10value_typeET4_T5_PSY_SZ_PNS1_23onesweep_lookback_stateEbbT6_jjT7_P12ihipStream_tbENKUlT_T0_SN_SS_E_clISG_PjSI_PS9_EEDaS16_S17_SN_SS_EUlS16_E_NS1_11comp_targetILNS1_3genE2ELNS1_11target_archE906ELNS1_3gpuE6ELNS1_3repE0EEENS1_47radix_sort_onesweep_sort_config_static_selectorELNS0_4arch9wavefront6targetE0EEEvSN_.has_dyn_sized_stack, 0
	.set _ZN7rocprim17ROCPRIM_400000_NS6detail17trampoline_kernelINS0_14default_configENS1_35radix_sort_onesweep_config_selectorIjN6thrust23THRUST_200600_302600_NS5tupleIffNS6_9null_typeES8_S8_S8_S8_S8_S8_S8_EEEEZZNS1_29radix_sort_onesweep_iterationIS3_Lb0ENS6_6detail15normal_iteratorINS6_10device_ptrIjEEEESG_NSD_INSE_IS9_EEEESI_jNS0_19identity_decomposerENS1_16block_id_wrapperIjLb0EEEEE10hipError_tT1_PNSt15iterator_traitsISN_E10value_typeET2_T3_PNSO_IST_E10value_typeET4_T5_PSY_SZ_PNS1_23onesweep_lookback_stateEbbT6_jjT7_P12ihipStream_tbENKUlT_T0_SN_SS_E_clISG_PjSI_PS9_EEDaS16_S17_SN_SS_EUlS16_E_NS1_11comp_targetILNS1_3genE2ELNS1_11target_archE906ELNS1_3gpuE6ELNS1_3repE0EEENS1_47radix_sort_onesweep_sort_config_static_selectorELNS0_4arch9wavefront6targetE0EEEvSN_.has_recursion, 0
	.set _ZN7rocprim17ROCPRIM_400000_NS6detail17trampoline_kernelINS0_14default_configENS1_35radix_sort_onesweep_config_selectorIjN6thrust23THRUST_200600_302600_NS5tupleIffNS6_9null_typeES8_S8_S8_S8_S8_S8_S8_EEEEZZNS1_29radix_sort_onesweep_iterationIS3_Lb0ENS6_6detail15normal_iteratorINS6_10device_ptrIjEEEESG_NSD_INSE_IS9_EEEESI_jNS0_19identity_decomposerENS1_16block_id_wrapperIjLb0EEEEE10hipError_tT1_PNSt15iterator_traitsISN_E10value_typeET2_T3_PNSO_IST_E10value_typeET4_T5_PSY_SZ_PNS1_23onesweep_lookback_stateEbbT6_jjT7_P12ihipStream_tbENKUlT_T0_SN_SS_E_clISG_PjSI_PS9_EEDaS16_S17_SN_SS_EUlS16_E_NS1_11comp_targetILNS1_3genE2ELNS1_11target_archE906ELNS1_3gpuE6ELNS1_3repE0EEENS1_47radix_sort_onesweep_sort_config_static_selectorELNS0_4arch9wavefront6targetE0EEEvSN_.has_indirect_call, 0
	.section	.AMDGPU.csdata,"",@progbits
; Kernel info:
; codeLenInByte = 0
; TotalNumSgprs: 0
; NumVgprs: 0
; ScratchSize: 0
; MemoryBound: 0
; FloatMode: 240
; IeeeMode: 1
; LDSByteSize: 0 bytes/workgroup (compile time only)
; SGPRBlocks: 0
; VGPRBlocks: 0
; NumSGPRsForWavesPerEU: 1
; NumVGPRsForWavesPerEU: 1
; NamedBarCnt: 0
; Occupancy: 16
; WaveLimiterHint : 0
; COMPUTE_PGM_RSRC2:SCRATCH_EN: 0
; COMPUTE_PGM_RSRC2:USER_SGPR: 2
; COMPUTE_PGM_RSRC2:TRAP_HANDLER: 0
; COMPUTE_PGM_RSRC2:TGID_X_EN: 1
; COMPUTE_PGM_RSRC2:TGID_Y_EN: 0
; COMPUTE_PGM_RSRC2:TGID_Z_EN: 0
; COMPUTE_PGM_RSRC2:TIDIG_COMP_CNT: 0
	.section	.text._ZN7rocprim17ROCPRIM_400000_NS6detail17trampoline_kernelINS0_14default_configENS1_35radix_sort_onesweep_config_selectorIjN6thrust23THRUST_200600_302600_NS5tupleIffNS6_9null_typeES8_S8_S8_S8_S8_S8_S8_EEEEZZNS1_29radix_sort_onesweep_iterationIS3_Lb0ENS6_6detail15normal_iteratorINS6_10device_ptrIjEEEESG_NSD_INSE_IS9_EEEESI_jNS0_19identity_decomposerENS1_16block_id_wrapperIjLb0EEEEE10hipError_tT1_PNSt15iterator_traitsISN_E10value_typeET2_T3_PNSO_IST_E10value_typeET4_T5_PSY_SZ_PNS1_23onesweep_lookback_stateEbbT6_jjT7_P12ihipStream_tbENKUlT_T0_SN_SS_E_clISG_PjSI_PS9_EEDaS16_S17_SN_SS_EUlS16_E_NS1_11comp_targetILNS1_3genE4ELNS1_11target_archE910ELNS1_3gpuE8ELNS1_3repE0EEENS1_47radix_sort_onesweep_sort_config_static_selectorELNS0_4arch9wavefront6targetE0EEEvSN_,"axG",@progbits,_ZN7rocprim17ROCPRIM_400000_NS6detail17trampoline_kernelINS0_14default_configENS1_35radix_sort_onesweep_config_selectorIjN6thrust23THRUST_200600_302600_NS5tupleIffNS6_9null_typeES8_S8_S8_S8_S8_S8_S8_EEEEZZNS1_29radix_sort_onesweep_iterationIS3_Lb0ENS6_6detail15normal_iteratorINS6_10device_ptrIjEEEESG_NSD_INSE_IS9_EEEESI_jNS0_19identity_decomposerENS1_16block_id_wrapperIjLb0EEEEE10hipError_tT1_PNSt15iterator_traitsISN_E10value_typeET2_T3_PNSO_IST_E10value_typeET4_T5_PSY_SZ_PNS1_23onesweep_lookback_stateEbbT6_jjT7_P12ihipStream_tbENKUlT_T0_SN_SS_E_clISG_PjSI_PS9_EEDaS16_S17_SN_SS_EUlS16_E_NS1_11comp_targetILNS1_3genE4ELNS1_11target_archE910ELNS1_3gpuE8ELNS1_3repE0EEENS1_47radix_sort_onesweep_sort_config_static_selectorELNS0_4arch9wavefront6targetE0EEEvSN_,comdat
	.protected	_ZN7rocprim17ROCPRIM_400000_NS6detail17trampoline_kernelINS0_14default_configENS1_35radix_sort_onesweep_config_selectorIjN6thrust23THRUST_200600_302600_NS5tupleIffNS6_9null_typeES8_S8_S8_S8_S8_S8_S8_EEEEZZNS1_29radix_sort_onesweep_iterationIS3_Lb0ENS6_6detail15normal_iteratorINS6_10device_ptrIjEEEESG_NSD_INSE_IS9_EEEESI_jNS0_19identity_decomposerENS1_16block_id_wrapperIjLb0EEEEE10hipError_tT1_PNSt15iterator_traitsISN_E10value_typeET2_T3_PNSO_IST_E10value_typeET4_T5_PSY_SZ_PNS1_23onesweep_lookback_stateEbbT6_jjT7_P12ihipStream_tbENKUlT_T0_SN_SS_E_clISG_PjSI_PS9_EEDaS16_S17_SN_SS_EUlS16_E_NS1_11comp_targetILNS1_3genE4ELNS1_11target_archE910ELNS1_3gpuE8ELNS1_3repE0EEENS1_47radix_sort_onesweep_sort_config_static_selectorELNS0_4arch9wavefront6targetE0EEEvSN_ ; -- Begin function _ZN7rocprim17ROCPRIM_400000_NS6detail17trampoline_kernelINS0_14default_configENS1_35radix_sort_onesweep_config_selectorIjN6thrust23THRUST_200600_302600_NS5tupleIffNS6_9null_typeES8_S8_S8_S8_S8_S8_S8_EEEEZZNS1_29radix_sort_onesweep_iterationIS3_Lb0ENS6_6detail15normal_iteratorINS6_10device_ptrIjEEEESG_NSD_INSE_IS9_EEEESI_jNS0_19identity_decomposerENS1_16block_id_wrapperIjLb0EEEEE10hipError_tT1_PNSt15iterator_traitsISN_E10value_typeET2_T3_PNSO_IST_E10value_typeET4_T5_PSY_SZ_PNS1_23onesweep_lookback_stateEbbT6_jjT7_P12ihipStream_tbENKUlT_T0_SN_SS_E_clISG_PjSI_PS9_EEDaS16_S17_SN_SS_EUlS16_E_NS1_11comp_targetILNS1_3genE4ELNS1_11target_archE910ELNS1_3gpuE8ELNS1_3repE0EEENS1_47radix_sort_onesweep_sort_config_static_selectorELNS0_4arch9wavefront6targetE0EEEvSN_
	.globl	_ZN7rocprim17ROCPRIM_400000_NS6detail17trampoline_kernelINS0_14default_configENS1_35radix_sort_onesweep_config_selectorIjN6thrust23THRUST_200600_302600_NS5tupleIffNS6_9null_typeES8_S8_S8_S8_S8_S8_S8_EEEEZZNS1_29radix_sort_onesweep_iterationIS3_Lb0ENS6_6detail15normal_iteratorINS6_10device_ptrIjEEEESG_NSD_INSE_IS9_EEEESI_jNS0_19identity_decomposerENS1_16block_id_wrapperIjLb0EEEEE10hipError_tT1_PNSt15iterator_traitsISN_E10value_typeET2_T3_PNSO_IST_E10value_typeET4_T5_PSY_SZ_PNS1_23onesweep_lookback_stateEbbT6_jjT7_P12ihipStream_tbENKUlT_T0_SN_SS_E_clISG_PjSI_PS9_EEDaS16_S17_SN_SS_EUlS16_E_NS1_11comp_targetILNS1_3genE4ELNS1_11target_archE910ELNS1_3gpuE8ELNS1_3repE0EEENS1_47radix_sort_onesweep_sort_config_static_selectorELNS0_4arch9wavefront6targetE0EEEvSN_
	.p2align	8
	.type	_ZN7rocprim17ROCPRIM_400000_NS6detail17trampoline_kernelINS0_14default_configENS1_35radix_sort_onesweep_config_selectorIjN6thrust23THRUST_200600_302600_NS5tupleIffNS6_9null_typeES8_S8_S8_S8_S8_S8_S8_EEEEZZNS1_29radix_sort_onesweep_iterationIS3_Lb0ENS6_6detail15normal_iteratorINS6_10device_ptrIjEEEESG_NSD_INSE_IS9_EEEESI_jNS0_19identity_decomposerENS1_16block_id_wrapperIjLb0EEEEE10hipError_tT1_PNSt15iterator_traitsISN_E10value_typeET2_T3_PNSO_IST_E10value_typeET4_T5_PSY_SZ_PNS1_23onesweep_lookback_stateEbbT6_jjT7_P12ihipStream_tbENKUlT_T0_SN_SS_E_clISG_PjSI_PS9_EEDaS16_S17_SN_SS_EUlS16_E_NS1_11comp_targetILNS1_3genE4ELNS1_11target_archE910ELNS1_3gpuE8ELNS1_3repE0EEENS1_47radix_sort_onesweep_sort_config_static_selectorELNS0_4arch9wavefront6targetE0EEEvSN_,@function
_ZN7rocprim17ROCPRIM_400000_NS6detail17trampoline_kernelINS0_14default_configENS1_35radix_sort_onesweep_config_selectorIjN6thrust23THRUST_200600_302600_NS5tupleIffNS6_9null_typeES8_S8_S8_S8_S8_S8_S8_EEEEZZNS1_29radix_sort_onesweep_iterationIS3_Lb0ENS6_6detail15normal_iteratorINS6_10device_ptrIjEEEESG_NSD_INSE_IS9_EEEESI_jNS0_19identity_decomposerENS1_16block_id_wrapperIjLb0EEEEE10hipError_tT1_PNSt15iterator_traitsISN_E10value_typeET2_T3_PNSO_IST_E10value_typeET4_T5_PSY_SZ_PNS1_23onesweep_lookback_stateEbbT6_jjT7_P12ihipStream_tbENKUlT_T0_SN_SS_E_clISG_PjSI_PS9_EEDaS16_S17_SN_SS_EUlS16_E_NS1_11comp_targetILNS1_3genE4ELNS1_11target_archE910ELNS1_3gpuE8ELNS1_3repE0EEENS1_47radix_sort_onesweep_sort_config_static_selectorELNS0_4arch9wavefront6targetE0EEEvSN_: ; @_ZN7rocprim17ROCPRIM_400000_NS6detail17trampoline_kernelINS0_14default_configENS1_35radix_sort_onesweep_config_selectorIjN6thrust23THRUST_200600_302600_NS5tupleIffNS6_9null_typeES8_S8_S8_S8_S8_S8_S8_EEEEZZNS1_29radix_sort_onesweep_iterationIS3_Lb0ENS6_6detail15normal_iteratorINS6_10device_ptrIjEEEESG_NSD_INSE_IS9_EEEESI_jNS0_19identity_decomposerENS1_16block_id_wrapperIjLb0EEEEE10hipError_tT1_PNSt15iterator_traitsISN_E10value_typeET2_T3_PNSO_IST_E10value_typeET4_T5_PSY_SZ_PNS1_23onesweep_lookback_stateEbbT6_jjT7_P12ihipStream_tbENKUlT_T0_SN_SS_E_clISG_PjSI_PS9_EEDaS16_S17_SN_SS_EUlS16_E_NS1_11comp_targetILNS1_3genE4ELNS1_11target_archE910ELNS1_3gpuE8ELNS1_3repE0EEENS1_47radix_sort_onesweep_sort_config_static_selectorELNS0_4arch9wavefront6targetE0EEEvSN_
; %bb.0:
	.section	.rodata,"a",@progbits
	.p2align	6, 0x0
	.amdhsa_kernel _ZN7rocprim17ROCPRIM_400000_NS6detail17trampoline_kernelINS0_14default_configENS1_35radix_sort_onesweep_config_selectorIjN6thrust23THRUST_200600_302600_NS5tupleIffNS6_9null_typeES8_S8_S8_S8_S8_S8_S8_EEEEZZNS1_29radix_sort_onesweep_iterationIS3_Lb0ENS6_6detail15normal_iteratorINS6_10device_ptrIjEEEESG_NSD_INSE_IS9_EEEESI_jNS0_19identity_decomposerENS1_16block_id_wrapperIjLb0EEEEE10hipError_tT1_PNSt15iterator_traitsISN_E10value_typeET2_T3_PNSO_IST_E10value_typeET4_T5_PSY_SZ_PNS1_23onesweep_lookback_stateEbbT6_jjT7_P12ihipStream_tbENKUlT_T0_SN_SS_E_clISG_PjSI_PS9_EEDaS16_S17_SN_SS_EUlS16_E_NS1_11comp_targetILNS1_3genE4ELNS1_11target_archE910ELNS1_3gpuE8ELNS1_3repE0EEENS1_47radix_sort_onesweep_sort_config_static_selectorELNS0_4arch9wavefront6targetE0EEEvSN_
		.amdhsa_group_segment_fixed_size 0
		.amdhsa_private_segment_fixed_size 0
		.amdhsa_kernarg_size 88
		.amdhsa_user_sgpr_count 2
		.amdhsa_user_sgpr_dispatch_ptr 0
		.amdhsa_user_sgpr_queue_ptr 0
		.amdhsa_user_sgpr_kernarg_segment_ptr 1
		.amdhsa_user_sgpr_dispatch_id 0
		.amdhsa_user_sgpr_kernarg_preload_length 0
		.amdhsa_user_sgpr_kernarg_preload_offset 0
		.amdhsa_user_sgpr_private_segment_size 0
		.amdhsa_wavefront_size32 1
		.amdhsa_uses_dynamic_stack 0
		.amdhsa_enable_private_segment 0
		.amdhsa_system_sgpr_workgroup_id_x 1
		.amdhsa_system_sgpr_workgroup_id_y 0
		.amdhsa_system_sgpr_workgroup_id_z 0
		.amdhsa_system_sgpr_workgroup_info 0
		.amdhsa_system_vgpr_workitem_id 0
		.amdhsa_next_free_vgpr 1
		.amdhsa_next_free_sgpr 1
		.amdhsa_named_barrier_count 0
		.amdhsa_reserve_vcc 0
		.amdhsa_float_round_mode_32 0
		.amdhsa_float_round_mode_16_64 0
		.amdhsa_float_denorm_mode_32 3
		.amdhsa_float_denorm_mode_16_64 3
		.amdhsa_fp16_overflow 0
		.amdhsa_memory_ordered 1
		.amdhsa_forward_progress 1
		.amdhsa_inst_pref_size 0
		.amdhsa_round_robin_scheduling 0
		.amdhsa_exception_fp_ieee_invalid_op 0
		.amdhsa_exception_fp_denorm_src 0
		.amdhsa_exception_fp_ieee_div_zero 0
		.amdhsa_exception_fp_ieee_overflow 0
		.amdhsa_exception_fp_ieee_underflow 0
		.amdhsa_exception_fp_ieee_inexact 0
		.amdhsa_exception_int_div_zero 0
	.end_amdhsa_kernel
	.section	.text._ZN7rocprim17ROCPRIM_400000_NS6detail17trampoline_kernelINS0_14default_configENS1_35radix_sort_onesweep_config_selectorIjN6thrust23THRUST_200600_302600_NS5tupleIffNS6_9null_typeES8_S8_S8_S8_S8_S8_S8_EEEEZZNS1_29radix_sort_onesweep_iterationIS3_Lb0ENS6_6detail15normal_iteratorINS6_10device_ptrIjEEEESG_NSD_INSE_IS9_EEEESI_jNS0_19identity_decomposerENS1_16block_id_wrapperIjLb0EEEEE10hipError_tT1_PNSt15iterator_traitsISN_E10value_typeET2_T3_PNSO_IST_E10value_typeET4_T5_PSY_SZ_PNS1_23onesweep_lookback_stateEbbT6_jjT7_P12ihipStream_tbENKUlT_T0_SN_SS_E_clISG_PjSI_PS9_EEDaS16_S17_SN_SS_EUlS16_E_NS1_11comp_targetILNS1_3genE4ELNS1_11target_archE910ELNS1_3gpuE8ELNS1_3repE0EEENS1_47radix_sort_onesweep_sort_config_static_selectorELNS0_4arch9wavefront6targetE0EEEvSN_,"axG",@progbits,_ZN7rocprim17ROCPRIM_400000_NS6detail17trampoline_kernelINS0_14default_configENS1_35radix_sort_onesweep_config_selectorIjN6thrust23THRUST_200600_302600_NS5tupleIffNS6_9null_typeES8_S8_S8_S8_S8_S8_S8_EEEEZZNS1_29radix_sort_onesweep_iterationIS3_Lb0ENS6_6detail15normal_iteratorINS6_10device_ptrIjEEEESG_NSD_INSE_IS9_EEEESI_jNS0_19identity_decomposerENS1_16block_id_wrapperIjLb0EEEEE10hipError_tT1_PNSt15iterator_traitsISN_E10value_typeET2_T3_PNSO_IST_E10value_typeET4_T5_PSY_SZ_PNS1_23onesweep_lookback_stateEbbT6_jjT7_P12ihipStream_tbENKUlT_T0_SN_SS_E_clISG_PjSI_PS9_EEDaS16_S17_SN_SS_EUlS16_E_NS1_11comp_targetILNS1_3genE4ELNS1_11target_archE910ELNS1_3gpuE8ELNS1_3repE0EEENS1_47radix_sort_onesweep_sort_config_static_selectorELNS0_4arch9wavefront6targetE0EEEvSN_,comdat
.Lfunc_end215:
	.size	_ZN7rocprim17ROCPRIM_400000_NS6detail17trampoline_kernelINS0_14default_configENS1_35radix_sort_onesweep_config_selectorIjN6thrust23THRUST_200600_302600_NS5tupleIffNS6_9null_typeES8_S8_S8_S8_S8_S8_S8_EEEEZZNS1_29radix_sort_onesweep_iterationIS3_Lb0ENS6_6detail15normal_iteratorINS6_10device_ptrIjEEEESG_NSD_INSE_IS9_EEEESI_jNS0_19identity_decomposerENS1_16block_id_wrapperIjLb0EEEEE10hipError_tT1_PNSt15iterator_traitsISN_E10value_typeET2_T3_PNSO_IST_E10value_typeET4_T5_PSY_SZ_PNS1_23onesweep_lookback_stateEbbT6_jjT7_P12ihipStream_tbENKUlT_T0_SN_SS_E_clISG_PjSI_PS9_EEDaS16_S17_SN_SS_EUlS16_E_NS1_11comp_targetILNS1_3genE4ELNS1_11target_archE910ELNS1_3gpuE8ELNS1_3repE0EEENS1_47radix_sort_onesweep_sort_config_static_selectorELNS0_4arch9wavefront6targetE0EEEvSN_, .Lfunc_end215-_ZN7rocprim17ROCPRIM_400000_NS6detail17trampoline_kernelINS0_14default_configENS1_35radix_sort_onesweep_config_selectorIjN6thrust23THRUST_200600_302600_NS5tupleIffNS6_9null_typeES8_S8_S8_S8_S8_S8_S8_EEEEZZNS1_29radix_sort_onesweep_iterationIS3_Lb0ENS6_6detail15normal_iteratorINS6_10device_ptrIjEEEESG_NSD_INSE_IS9_EEEESI_jNS0_19identity_decomposerENS1_16block_id_wrapperIjLb0EEEEE10hipError_tT1_PNSt15iterator_traitsISN_E10value_typeET2_T3_PNSO_IST_E10value_typeET4_T5_PSY_SZ_PNS1_23onesweep_lookback_stateEbbT6_jjT7_P12ihipStream_tbENKUlT_T0_SN_SS_E_clISG_PjSI_PS9_EEDaS16_S17_SN_SS_EUlS16_E_NS1_11comp_targetILNS1_3genE4ELNS1_11target_archE910ELNS1_3gpuE8ELNS1_3repE0EEENS1_47radix_sort_onesweep_sort_config_static_selectorELNS0_4arch9wavefront6targetE0EEEvSN_
                                        ; -- End function
	.set _ZN7rocprim17ROCPRIM_400000_NS6detail17trampoline_kernelINS0_14default_configENS1_35radix_sort_onesweep_config_selectorIjN6thrust23THRUST_200600_302600_NS5tupleIffNS6_9null_typeES8_S8_S8_S8_S8_S8_S8_EEEEZZNS1_29radix_sort_onesweep_iterationIS3_Lb0ENS6_6detail15normal_iteratorINS6_10device_ptrIjEEEESG_NSD_INSE_IS9_EEEESI_jNS0_19identity_decomposerENS1_16block_id_wrapperIjLb0EEEEE10hipError_tT1_PNSt15iterator_traitsISN_E10value_typeET2_T3_PNSO_IST_E10value_typeET4_T5_PSY_SZ_PNS1_23onesweep_lookback_stateEbbT6_jjT7_P12ihipStream_tbENKUlT_T0_SN_SS_E_clISG_PjSI_PS9_EEDaS16_S17_SN_SS_EUlS16_E_NS1_11comp_targetILNS1_3genE4ELNS1_11target_archE910ELNS1_3gpuE8ELNS1_3repE0EEENS1_47radix_sort_onesweep_sort_config_static_selectorELNS0_4arch9wavefront6targetE0EEEvSN_.num_vgpr, 0
	.set _ZN7rocprim17ROCPRIM_400000_NS6detail17trampoline_kernelINS0_14default_configENS1_35radix_sort_onesweep_config_selectorIjN6thrust23THRUST_200600_302600_NS5tupleIffNS6_9null_typeES8_S8_S8_S8_S8_S8_S8_EEEEZZNS1_29radix_sort_onesweep_iterationIS3_Lb0ENS6_6detail15normal_iteratorINS6_10device_ptrIjEEEESG_NSD_INSE_IS9_EEEESI_jNS0_19identity_decomposerENS1_16block_id_wrapperIjLb0EEEEE10hipError_tT1_PNSt15iterator_traitsISN_E10value_typeET2_T3_PNSO_IST_E10value_typeET4_T5_PSY_SZ_PNS1_23onesweep_lookback_stateEbbT6_jjT7_P12ihipStream_tbENKUlT_T0_SN_SS_E_clISG_PjSI_PS9_EEDaS16_S17_SN_SS_EUlS16_E_NS1_11comp_targetILNS1_3genE4ELNS1_11target_archE910ELNS1_3gpuE8ELNS1_3repE0EEENS1_47radix_sort_onesweep_sort_config_static_selectorELNS0_4arch9wavefront6targetE0EEEvSN_.num_agpr, 0
	.set _ZN7rocprim17ROCPRIM_400000_NS6detail17trampoline_kernelINS0_14default_configENS1_35radix_sort_onesweep_config_selectorIjN6thrust23THRUST_200600_302600_NS5tupleIffNS6_9null_typeES8_S8_S8_S8_S8_S8_S8_EEEEZZNS1_29radix_sort_onesweep_iterationIS3_Lb0ENS6_6detail15normal_iteratorINS6_10device_ptrIjEEEESG_NSD_INSE_IS9_EEEESI_jNS0_19identity_decomposerENS1_16block_id_wrapperIjLb0EEEEE10hipError_tT1_PNSt15iterator_traitsISN_E10value_typeET2_T3_PNSO_IST_E10value_typeET4_T5_PSY_SZ_PNS1_23onesweep_lookback_stateEbbT6_jjT7_P12ihipStream_tbENKUlT_T0_SN_SS_E_clISG_PjSI_PS9_EEDaS16_S17_SN_SS_EUlS16_E_NS1_11comp_targetILNS1_3genE4ELNS1_11target_archE910ELNS1_3gpuE8ELNS1_3repE0EEENS1_47radix_sort_onesweep_sort_config_static_selectorELNS0_4arch9wavefront6targetE0EEEvSN_.numbered_sgpr, 0
	.set _ZN7rocprim17ROCPRIM_400000_NS6detail17trampoline_kernelINS0_14default_configENS1_35radix_sort_onesweep_config_selectorIjN6thrust23THRUST_200600_302600_NS5tupleIffNS6_9null_typeES8_S8_S8_S8_S8_S8_S8_EEEEZZNS1_29radix_sort_onesweep_iterationIS3_Lb0ENS6_6detail15normal_iteratorINS6_10device_ptrIjEEEESG_NSD_INSE_IS9_EEEESI_jNS0_19identity_decomposerENS1_16block_id_wrapperIjLb0EEEEE10hipError_tT1_PNSt15iterator_traitsISN_E10value_typeET2_T3_PNSO_IST_E10value_typeET4_T5_PSY_SZ_PNS1_23onesweep_lookback_stateEbbT6_jjT7_P12ihipStream_tbENKUlT_T0_SN_SS_E_clISG_PjSI_PS9_EEDaS16_S17_SN_SS_EUlS16_E_NS1_11comp_targetILNS1_3genE4ELNS1_11target_archE910ELNS1_3gpuE8ELNS1_3repE0EEENS1_47radix_sort_onesweep_sort_config_static_selectorELNS0_4arch9wavefront6targetE0EEEvSN_.num_named_barrier, 0
	.set _ZN7rocprim17ROCPRIM_400000_NS6detail17trampoline_kernelINS0_14default_configENS1_35radix_sort_onesweep_config_selectorIjN6thrust23THRUST_200600_302600_NS5tupleIffNS6_9null_typeES8_S8_S8_S8_S8_S8_S8_EEEEZZNS1_29radix_sort_onesweep_iterationIS3_Lb0ENS6_6detail15normal_iteratorINS6_10device_ptrIjEEEESG_NSD_INSE_IS9_EEEESI_jNS0_19identity_decomposerENS1_16block_id_wrapperIjLb0EEEEE10hipError_tT1_PNSt15iterator_traitsISN_E10value_typeET2_T3_PNSO_IST_E10value_typeET4_T5_PSY_SZ_PNS1_23onesweep_lookback_stateEbbT6_jjT7_P12ihipStream_tbENKUlT_T0_SN_SS_E_clISG_PjSI_PS9_EEDaS16_S17_SN_SS_EUlS16_E_NS1_11comp_targetILNS1_3genE4ELNS1_11target_archE910ELNS1_3gpuE8ELNS1_3repE0EEENS1_47radix_sort_onesweep_sort_config_static_selectorELNS0_4arch9wavefront6targetE0EEEvSN_.private_seg_size, 0
	.set _ZN7rocprim17ROCPRIM_400000_NS6detail17trampoline_kernelINS0_14default_configENS1_35radix_sort_onesweep_config_selectorIjN6thrust23THRUST_200600_302600_NS5tupleIffNS6_9null_typeES8_S8_S8_S8_S8_S8_S8_EEEEZZNS1_29radix_sort_onesweep_iterationIS3_Lb0ENS6_6detail15normal_iteratorINS6_10device_ptrIjEEEESG_NSD_INSE_IS9_EEEESI_jNS0_19identity_decomposerENS1_16block_id_wrapperIjLb0EEEEE10hipError_tT1_PNSt15iterator_traitsISN_E10value_typeET2_T3_PNSO_IST_E10value_typeET4_T5_PSY_SZ_PNS1_23onesweep_lookback_stateEbbT6_jjT7_P12ihipStream_tbENKUlT_T0_SN_SS_E_clISG_PjSI_PS9_EEDaS16_S17_SN_SS_EUlS16_E_NS1_11comp_targetILNS1_3genE4ELNS1_11target_archE910ELNS1_3gpuE8ELNS1_3repE0EEENS1_47radix_sort_onesweep_sort_config_static_selectorELNS0_4arch9wavefront6targetE0EEEvSN_.uses_vcc, 0
	.set _ZN7rocprim17ROCPRIM_400000_NS6detail17trampoline_kernelINS0_14default_configENS1_35radix_sort_onesweep_config_selectorIjN6thrust23THRUST_200600_302600_NS5tupleIffNS6_9null_typeES8_S8_S8_S8_S8_S8_S8_EEEEZZNS1_29radix_sort_onesweep_iterationIS3_Lb0ENS6_6detail15normal_iteratorINS6_10device_ptrIjEEEESG_NSD_INSE_IS9_EEEESI_jNS0_19identity_decomposerENS1_16block_id_wrapperIjLb0EEEEE10hipError_tT1_PNSt15iterator_traitsISN_E10value_typeET2_T3_PNSO_IST_E10value_typeET4_T5_PSY_SZ_PNS1_23onesweep_lookback_stateEbbT6_jjT7_P12ihipStream_tbENKUlT_T0_SN_SS_E_clISG_PjSI_PS9_EEDaS16_S17_SN_SS_EUlS16_E_NS1_11comp_targetILNS1_3genE4ELNS1_11target_archE910ELNS1_3gpuE8ELNS1_3repE0EEENS1_47radix_sort_onesweep_sort_config_static_selectorELNS0_4arch9wavefront6targetE0EEEvSN_.uses_flat_scratch, 0
	.set _ZN7rocprim17ROCPRIM_400000_NS6detail17trampoline_kernelINS0_14default_configENS1_35radix_sort_onesweep_config_selectorIjN6thrust23THRUST_200600_302600_NS5tupleIffNS6_9null_typeES8_S8_S8_S8_S8_S8_S8_EEEEZZNS1_29radix_sort_onesweep_iterationIS3_Lb0ENS6_6detail15normal_iteratorINS6_10device_ptrIjEEEESG_NSD_INSE_IS9_EEEESI_jNS0_19identity_decomposerENS1_16block_id_wrapperIjLb0EEEEE10hipError_tT1_PNSt15iterator_traitsISN_E10value_typeET2_T3_PNSO_IST_E10value_typeET4_T5_PSY_SZ_PNS1_23onesweep_lookback_stateEbbT6_jjT7_P12ihipStream_tbENKUlT_T0_SN_SS_E_clISG_PjSI_PS9_EEDaS16_S17_SN_SS_EUlS16_E_NS1_11comp_targetILNS1_3genE4ELNS1_11target_archE910ELNS1_3gpuE8ELNS1_3repE0EEENS1_47radix_sort_onesweep_sort_config_static_selectorELNS0_4arch9wavefront6targetE0EEEvSN_.has_dyn_sized_stack, 0
	.set _ZN7rocprim17ROCPRIM_400000_NS6detail17trampoline_kernelINS0_14default_configENS1_35radix_sort_onesweep_config_selectorIjN6thrust23THRUST_200600_302600_NS5tupleIffNS6_9null_typeES8_S8_S8_S8_S8_S8_S8_EEEEZZNS1_29radix_sort_onesweep_iterationIS3_Lb0ENS6_6detail15normal_iteratorINS6_10device_ptrIjEEEESG_NSD_INSE_IS9_EEEESI_jNS0_19identity_decomposerENS1_16block_id_wrapperIjLb0EEEEE10hipError_tT1_PNSt15iterator_traitsISN_E10value_typeET2_T3_PNSO_IST_E10value_typeET4_T5_PSY_SZ_PNS1_23onesweep_lookback_stateEbbT6_jjT7_P12ihipStream_tbENKUlT_T0_SN_SS_E_clISG_PjSI_PS9_EEDaS16_S17_SN_SS_EUlS16_E_NS1_11comp_targetILNS1_3genE4ELNS1_11target_archE910ELNS1_3gpuE8ELNS1_3repE0EEENS1_47radix_sort_onesweep_sort_config_static_selectorELNS0_4arch9wavefront6targetE0EEEvSN_.has_recursion, 0
	.set _ZN7rocprim17ROCPRIM_400000_NS6detail17trampoline_kernelINS0_14default_configENS1_35radix_sort_onesweep_config_selectorIjN6thrust23THRUST_200600_302600_NS5tupleIffNS6_9null_typeES8_S8_S8_S8_S8_S8_S8_EEEEZZNS1_29radix_sort_onesweep_iterationIS3_Lb0ENS6_6detail15normal_iteratorINS6_10device_ptrIjEEEESG_NSD_INSE_IS9_EEEESI_jNS0_19identity_decomposerENS1_16block_id_wrapperIjLb0EEEEE10hipError_tT1_PNSt15iterator_traitsISN_E10value_typeET2_T3_PNSO_IST_E10value_typeET4_T5_PSY_SZ_PNS1_23onesweep_lookback_stateEbbT6_jjT7_P12ihipStream_tbENKUlT_T0_SN_SS_E_clISG_PjSI_PS9_EEDaS16_S17_SN_SS_EUlS16_E_NS1_11comp_targetILNS1_3genE4ELNS1_11target_archE910ELNS1_3gpuE8ELNS1_3repE0EEENS1_47radix_sort_onesweep_sort_config_static_selectorELNS0_4arch9wavefront6targetE0EEEvSN_.has_indirect_call, 0
	.section	.AMDGPU.csdata,"",@progbits
; Kernel info:
; codeLenInByte = 0
; TotalNumSgprs: 0
; NumVgprs: 0
; ScratchSize: 0
; MemoryBound: 0
; FloatMode: 240
; IeeeMode: 1
; LDSByteSize: 0 bytes/workgroup (compile time only)
; SGPRBlocks: 0
; VGPRBlocks: 0
; NumSGPRsForWavesPerEU: 1
; NumVGPRsForWavesPerEU: 1
; NamedBarCnt: 0
; Occupancy: 16
; WaveLimiterHint : 0
; COMPUTE_PGM_RSRC2:SCRATCH_EN: 0
; COMPUTE_PGM_RSRC2:USER_SGPR: 2
; COMPUTE_PGM_RSRC2:TRAP_HANDLER: 0
; COMPUTE_PGM_RSRC2:TGID_X_EN: 1
; COMPUTE_PGM_RSRC2:TGID_Y_EN: 0
; COMPUTE_PGM_RSRC2:TGID_Z_EN: 0
; COMPUTE_PGM_RSRC2:TIDIG_COMP_CNT: 0
	.section	.text._ZN7rocprim17ROCPRIM_400000_NS6detail17trampoline_kernelINS0_14default_configENS1_35radix_sort_onesweep_config_selectorIjN6thrust23THRUST_200600_302600_NS5tupleIffNS6_9null_typeES8_S8_S8_S8_S8_S8_S8_EEEEZZNS1_29radix_sort_onesweep_iterationIS3_Lb0ENS6_6detail15normal_iteratorINS6_10device_ptrIjEEEESG_NSD_INSE_IS9_EEEESI_jNS0_19identity_decomposerENS1_16block_id_wrapperIjLb0EEEEE10hipError_tT1_PNSt15iterator_traitsISN_E10value_typeET2_T3_PNSO_IST_E10value_typeET4_T5_PSY_SZ_PNS1_23onesweep_lookback_stateEbbT6_jjT7_P12ihipStream_tbENKUlT_T0_SN_SS_E_clISG_PjSI_PS9_EEDaS16_S17_SN_SS_EUlS16_E_NS1_11comp_targetILNS1_3genE3ELNS1_11target_archE908ELNS1_3gpuE7ELNS1_3repE0EEENS1_47radix_sort_onesweep_sort_config_static_selectorELNS0_4arch9wavefront6targetE0EEEvSN_,"axG",@progbits,_ZN7rocprim17ROCPRIM_400000_NS6detail17trampoline_kernelINS0_14default_configENS1_35radix_sort_onesweep_config_selectorIjN6thrust23THRUST_200600_302600_NS5tupleIffNS6_9null_typeES8_S8_S8_S8_S8_S8_S8_EEEEZZNS1_29radix_sort_onesweep_iterationIS3_Lb0ENS6_6detail15normal_iteratorINS6_10device_ptrIjEEEESG_NSD_INSE_IS9_EEEESI_jNS0_19identity_decomposerENS1_16block_id_wrapperIjLb0EEEEE10hipError_tT1_PNSt15iterator_traitsISN_E10value_typeET2_T3_PNSO_IST_E10value_typeET4_T5_PSY_SZ_PNS1_23onesweep_lookback_stateEbbT6_jjT7_P12ihipStream_tbENKUlT_T0_SN_SS_E_clISG_PjSI_PS9_EEDaS16_S17_SN_SS_EUlS16_E_NS1_11comp_targetILNS1_3genE3ELNS1_11target_archE908ELNS1_3gpuE7ELNS1_3repE0EEENS1_47radix_sort_onesweep_sort_config_static_selectorELNS0_4arch9wavefront6targetE0EEEvSN_,comdat
	.protected	_ZN7rocprim17ROCPRIM_400000_NS6detail17trampoline_kernelINS0_14default_configENS1_35radix_sort_onesweep_config_selectorIjN6thrust23THRUST_200600_302600_NS5tupleIffNS6_9null_typeES8_S8_S8_S8_S8_S8_S8_EEEEZZNS1_29radix_sort_onesweep_iterationIS3_Lb0ENS6_6detail15normal_iteratorINS6_10device_ptrIjEEEESG_NSD_INSE_IS9_EEEESI_jNS0_19identity_decomposerENS1_16block_id_wrapperIjLb0EEEEE10hipError_tT1_PNSt15iterator_traitsISN_E10value_typeET2_T3_PNSO_IST_E10value_typeET4_T5_PSY_SZ_PNS1_23onesweep_lookback_stateEbbT6_jjT7_P12ihipStream_tbENKUlT_T0_SN_SS_E_clISG_PjSI_PS9_EEDaS16_S17_SN_SS_EUlS16_E_NS1_11comp_targetILNS1_3genE3ELNS1_11target_archE908ELNS1_3gpuE7ELNS1_3repE0EEENS1_47radix_sort_onesweep_sort_config_static_selectorELNS0_4arch9wavefront6targetE0EEEvSN_ ; -- Begin function _ZN7rocprim17ROCPRIM_400000_NS6detail17trampoline_kernelINS0_14default_configENS1_35radix_sort_onesweep_config_selectorIjN6thrust23THRUST_200600_302600_NS5tupleIffNS6_9null_typeES8_S8_S8_S8_S8_S8_S8_EEEEZZNS1_29radix_sort_onesweep_iterationIS3_Lb0ENS6_6detail15normal_iteratorINS6_10device_ptrIjEEEESG_NSD_INSE_IS9_EEEESI_jNS0_19identity_decomposerENS1_16block_id_wrapperIjLb0EEEEE10hipError_tT1_PNSt15iterator_traitsISN_E10value_typeET2_T3_PNSO_IST_E10value_typeET4_T5_PSY_SZ_PNS1_23onesweep_lookback_stateEbbT6_jjT7_P12ihipStream_tbENKUlT_T0_SN_SS_E_clISG_PjSI_PS9_EEDaS16_S17_SN_SS_EUlS16_E_NS1_11comp_targetILNS1_3genE3ELNS1_11target_archE908ELNS1_3gpuE7ELNS1_3repE0EEENS1_47radix_sort_onesweep_sort_config_static_selectorELNS0_4arch9wavefront6targetE0EEEvSN_
	.globl	_ZN7rocprim17ROCPRIM_400000_NS6detail17trampoline_kernelINS0_14default_configENS1_35radix_sort_onesweep_config_selectorIjN6thrust23THRUST_200600_302600_NS5tupleIffNS6_9null_typeES8_S8_S8_S8_S8_S8_S8_EEEEZZNS1_29radix_sort_onesweep_iterationIS3_Lb0ENS6_6detail15normal_iteratorINS6_10device_ptrIjEEEESG_NSD_INSE_IS9_EEEESI_jNS0_19identity_decomposerENS1_16block_id_wrapperIjLb0EEEEE10hipError_tT1_PNSt15iterator_traitsISN_E10value_typeET2_T3_PNSO_IST_E10value_typeET4_T5_PSY_SZ_PNS1_23onesweep_lookback_stateEbbT6_jjT7_P12ihipStream_tbENKUlT_T0_SN_SS_E_clISG_PjSI_PS9_EEDaS16_S17_SN_SS_EUlS16_E_NS1_11comp_targetILNS1_3genE3ELNS1_11target_archE908ELNS1_3gpuE7ELNS1_3repE0EEENS1_47radix_sort_onesweep_sort_config_static_selectorELNS0_4arch9wavefront6targetE0EEEvSN_
	.p2align	8
	.type	_ZN7rocprim17ROCPRIM_400000_NS6detail17trampoline_kernelINS0_14default_configENS1_35radix_sort_onesweep_config_selectorIjN6thrust23THRUST_200600_302600_NS5tupleIffNS6_9null_typeES8_S8_S8_S8_S8_S8_S8_EEEEZZNS1_29radix_sort_onesweep_iterationIS3_Lb0ENS6_6detail15normal_iteratorINS6_10device_ptrIjEEEESG_NSD_INSE_IS9_EEEESI_jNS0_19identity_decomposerENS1_16block_id_wrapperIjLb0EEEEE10hipError_tT1_PNSt15iterator_traitsISN_E10value_typeET2_T3_PNSO_IST_E10value_typeET4_T5_PSY_SZ_PNS1_23onesweep_lookback_stateEbbT6_jjT7_P12ihipStream_tbENKUlT_T0_SN_SS_E_clISG_PjSI_PS9_EEDaS16_S17_SN_SS_EUlS16_E_NS1_11comp_targetILNS1_3genE3ELNS1_11target_archE908ELNS1_3gpuE7ELNS1_3repE0EEENS1_47radix_sort_onesweep_sort_config_static_selectorELNS0_4arch9wavefront6targetE0EEEvSN_,@function
_ZN7rocprim17ROCPRIM_400000_NS6detail17trampoline_kernelINS0_14default_configENS1_35radix_sort_onesweep_config_selectorIjN6thrust23THRUST_200600_302600_NS5tupleIffNS6_9null_typeES8_S8_S8_S8_S8_S8_S8_EEEEZZNS1_29radix_sort_onesweep_iterationIS3_Lb0ENS6_6detail15normal_iteratorINS6_10device_ptrIjEEEESG_NSD_INSE_IS9_EEEESI_jNS0_19identity_decomposerENS1_16block_id_wrapperIjLb0EEEEE10hipError_tT1_PNSt15iterator_traitsISN_E10value_typeET2_T3_PNSO_IST_E10value_typeET4_T5_PSY_SZ_PNS1_23onesweep_lookback_stateEbbT6_jjT7_P12ihipStream_tbENKUlT_T0_SN_SS_E_clISG_PjSI_PS9_EEDaS16_S17_SN_SS_EUlS16_E_NS1_11comp_targetILNS1_3genE3ELNS1_11target_archE908ELNS1_3gpuE7ELNS1_3repE0EEENS1_47radix_sort_onesweep_sort_config_static_selectorELNS0_4arch9wavefront6targetE0EEEvSN_: ; @_ZN7rocprim17ROCPRIM_400000_NS6detail17trampoline_kernelINS0_14default_configENS1_35radix_sort_onesweep_config_selectorIjN6thrust23THRUST_200600_302600_NS5tupleIffNS6_9null_typeES8_S8_S8_S8_S8_S8_S8_EEEEZZNS1_29radix_sort_onesweep_iterationIS3_Lb0ENS6_6detail15normal_iteratorINS6_10device_ptrIjEEEESG_NSD_INSE_IS9_EEEESI_jNS0_19identity_decomposerENS1_16block_id_wrapperIjLb0EEEEE10hipError_tT1_PNSt15iterator_traitsISN_E10value_typeET2_T3_PNSO_IST_E10value_typeET4_T5_PSY_SZ_PNS1_23onesweep_lookback_stateEbbT6_jjT7_P12ihipStream_tbENKUlT_T0_SN_SS_E_clISG_PjSI_PS9_EEDaS16_S17_SN_SS_EUlS16_E_NS1_11comp_targetILNS1_3genE3ELNS1_11target_archE908ELNS1_3gpuE7ELNS1_3repE0EEENS1_47radix_sort_onesweep_sort_config_static_selectorELNS0_4arch9wavefront6targetE0EEEvSN_
; %bb.0:
	.section	.rodata,"a",@progbits
	.p2align	6, 0x0
	.amdhsa_kernel _ZN7rocprim17ROCPRIM_400000_NS6detail17trampoline_kernelINS0_14default_configENS1_35radix_sort_onesweep_config_selectorIjN6thrust23THRUST_200600_302600_NS5tupleIffNS6_9null_typeES8_S8_S8_S8_S8_S8_S8_EEEEZZNS1_29radix_sort_onesweep_iterationIS3_Lb0ENS6_6detail15normal_iteratorINS6_10device_ptrIjEEEESG_NSD_INSE_IS9_EEEESI_jNS0_19identity_decomposerENS1_16block_id_wrapperIjLb0EEEEE10hipError_tT1_PNSt15iterator_traitsISN_E10value_typeET2_T3_PNSO_IST_E10value_typeET4_T5_PSY_SZ_PNS1_23onesweep_lookback_stateEbbT6_jjT7_P12ihipStream_tbENKUlT_T0_SN_SS_E_clISG_PjSI_PS9_EEDaS16_S17_SN_SS_EUlS16_E_NS1_11comp_targetILNS1_3genE3ELNS1_11target_archE908ELNS1_3gpuE7ELNS1_3repE0EEENS1_47radix_sort_onesweep_sort_config_static_selectorELNS0_4arch9wavefront6targetE0EEEvSN_
		.amdhsa_group_segment_fixed_size 0
		.amdhsa_private_segment_fixed_size 0
		.amdhsa_kernarg_size 88
		.amdhsa_user_sgpr_count 2
		.amdhsa_user_sgpr_dispatch_ptr 0
		.amdhsa_user_sgpr_queue_ptr 0
		.amdhsa_user_sgpr_kernarg_segment_ptr 1
		.amdhsa_user_sgpr_dispatch_id 0
		.amdhsa_user_sgpr_kernarg_preload_length 0
		.amdhsa_user_sgpr_kernarg_preload_offset 0
		.amdhsa_user_sgpr_private_segment_size 0
		.amdhsa_wavefront_size32 1
		.amdhsa_uses_dynamic_stack 0
		.amdhsa_enable_private_segment 0
		.amdhsa_system_sgpr_workgroup_id_x 1
		.amdhsa_system_sgpr_workgroup_id_y 0
		.amdhsa_system_sgpr_workgroup_id_z 0
		.amdhsa_system_sgpr_workgroup_info 0
		.amdhsa_system_vgpr_workitem_id 0
		.amdhsa_next_free_vgpr 1
		.amdhsa_next_free_sgpr 1
		.amdhsa_named_barrier_count 0
		.amdhsa_reserve_vcc 0
		.amdhsa_float_round_mode_32 0
		.amdhsa_float_round_mode_16_64 0
		.amdhsa_float_denorm_mode_32 3
		.amdhsa_float_denorm_mode_16_64 3
		.amdhsa_fp16_overflow 0
		.amdhsa_memory_ordered 1
		.amdhsa_forward_progress 1
		.amdhsa_inst_pref_size 0
		.amdhsa_round_robin_scheduling 0
		.amdhsa_exception_fp_ieee_invalid_op 0
		.amdhsa_exception_fp_denorm_src 0
		.amdhsa_exception_fp_ieee_div_zero 0
		.amdhsa_exception_fp_ieee_overflow 0
		.amdhsa_exception_fp_ieee_underflow 0
		.amdhsa_exception_fp_ieee_inexact 0
		.amdhsa_exception_int_div_zero 0
	.end_amdhsa_kernel
	.section	.text._ZN7rocprim17ROCPRIM_400000_NS6detail17trampoline_kernelINS0_14default_configENS1_35radix_sort_onesweep_config_selectorIjN6thrust23THRUST_200600_302600_NS5tupleIffNS6_9null_typeES8_S8_S8_S8_S8_S8_S8_EEEEZZNS1_29radix_sort_onesweep_iterationIS3_Lb0ENS6_6detail15normal_iteratorINS6_10device_ptrIjEEEESG_NSD_INSE_IS9_EEEESI_jNS0_19identity_decomposerENS1_16block_id_wrapperIjLb0EEEEE10hipError_tT1_PNSt15iterator_traitsISN_E10value_typeET2_T3_PNSO_IST_E10value_typeET4_T5_PSY_SZ_PNS1_23onesweep_lookback_stateEbbT6_jjT7_P12ihipStream_tbENKUlT_T0_SN_SS_E_clISG_PjSI_PS9_EEDaS16_S17_SN_SS_EUlS16_E_NS1_11comp_targetILNS1_3genE3ELNS1_11target_archE908ELNS1_3gpuE7ELNS1_3repE0EEENS1_47radix_sort_onesweep_sort_config_static_selectorELNS0_4arch9wavefront6targetE0EEEvSN_,"axG",@progbits,_ZN7rocprim17ROCPRIM_400000_NS6detail17trampoline_kernelINS0_14default_configENS1_35radix_sort_onesweep_config_selectorIjN6thrust23THRUST_200600_302600_NS5tupleIffNS6_9null_typeES8_S8_S8_S8_S8_S8_S8_EEEEZZNS1_29radix_sort_onesweep_iterationIS3_Lb0ENS6_6detail15normal_iteratorINS6_10device_ptrIjEEEESG_NSD_INSE_IS9_EEEESI_jNS0_19identity_decomposerENS1_16block_id_wrapperIjLb0EEEEE10hipError_tT1_PNSt15iterator_traitsISN_E10value_typeET2_T3_PNSO_IST_E10value_typeET4_T5_PSY_SZ_PNS1_23onesweep_lookback_stateEbbT6_jjT7_P12ihipStream_tbENKUlT_T0_SN_SS_E_clISG_PjSI_PS9_EEDaS16_S17_SN_SS_EUlS16_E_NS1_11comp_targetILNS1_3genE3ELNS1_11target_archE908ELNS1_3gpuE7ELNS1_3repE0EEENS1_47radix_sort_onesweep_sort_config_static_selectorELNS0_4arch9wavefront6targetE0EEEvSN_,comdat
.Lfunc_end216:
	.size	_ZN7rocprim17ROCPRIM_400000_NS6detail17trampoline_kernelINS0_14default_configENS1_35radix_sort_onesweep_config_selectorIjN6thrust23THRUST_200600_302600_NS5tupleIffNS6_9null_typeES8_S8_S8_S8_S8_S8_S8_EEEEZZNS1_29radix_sort_onesweep_iterationIS3_Lb0ENS6_6detail15normal_iteratorINS6_10device_ptrIjEEEESG_NSD_INSE_IS9_EEEESI_jNS0_19identity_decomposerENS1_16block_id_wrapperIjLb0EEEEE10hipError_tT1_PNSt15iterator_traitsISN_E10value_typeET2_T3_PNSO_IST_E10value_typeET4_T5_PSY_SZ_PNS1_23onesweep_lookback_stateEbbT6_jjT7_P12ihipStream_tbENKUlT_T0_SN_SS_E_clISG_PjSI_PS9_EEDaS16_S17_SN_SS_EUlS16_E_NS1_11comp_targetILNS1_3genE3ELNS1_11target_archE908ELNS1_3gpuE7ELNS1_3repE0EEENS1_47radix_sort_onesweep_sort_config_static_selectorELNS0_4arch9wavefront6targetE0EEEvSN_, .Lfunc_end216-_ZN7rocprim17ROCPRIM_400000_NS6detail17trampoline_kernelINS0_14default_configENS1_35radix_sort_onesweep_config_selectorIjN6thrust23THRUST_200600_302600_NS5tupleIffNS6_9null_typeES8_S8_S8_S8_S8_S8_S8_EEEEZZNS1_29radix_sort_onesweep_iterationIS3_Lb0ENS6_6detail15normal_iteratorINS6_10device_ptrIjEEEESG_NSD_INSE_IS9_EEEESI_jNS0_19identity_decomposerENS1_16block_id_wrapperIjLb0EEEEE10hipError_tT1_PNSt15iterator_traitsISN_E10value_typeET2_T3_PNSO_IST_E10value_typeET4_T5_PSY_SZ_PNS1_23onesweep_lookback_stateEbbT6_jjT7_P12ihipStream_tbENKUlT_T0_SN_SS_E_clISG_PjSI_PS9_EEDaS16_S17_SN_SS_EUlS16_E_NS1_11comp_targetILNS1_3genE3ELNS1_11target_archE908ELNS1_3gpuE7ELNS1_3repE0EEENS1_47radix_sort_onesweep_sort_config_static_selectorELNS0_4arch9wavefront6targetE0EEEvSN_
                                        ; -- End function
	.set _ZN7rocprim17ROCPRIM_400000_NS6detail17trampoline_kernelINS0_14default_configENS1_35radix_sort_onesweep_config_selectorIjN6thrust23THRUST_200600_302600_NS5tupleIffNS6_9null_typeES8_S8_S8_S8_S8_S8_S8_EEEEZZNS1_29radix_sort_onesweep_iterationIS3_Lb0ENS6_6detail15normal_iteratorINS6_10device_ptrIjEEEESG_NSD_INSE_IS9_EEEESI_jNS0_19identity_decomposerENS1_16block_id_wrapperIjLb0EEEEE10hipError_tT1_PNSt15iterator_traitsISN_E10value_typeET2_T3_PNSO_IST_E10value_typeET4_T5_PSY_SZ_PNS1_23onesweep_lookback_stateEbbT6_jjT7_P12ihipStream_tbENKUlT_T0_SN_SS_E_clISG_PjSI_PS9_EEDaS16_S17_SN_SS_EUlS16_E_NS1_11comp_targetILNS1_3genE3ELNS1_11target_archE908ELNS1_3gpuE7ELNS1_3repE0EEENS1_47radix_sort_onesweep_sort_config_static_selectorELNS0_4arch9wavefront6targetE0EEEvSN_.num_vgpr, 0
	.set _ZN7rocprim17ROCPRIM_400000_NS6detail17trampoline_kernelINS0_14default_configENS1_35radix_sort_onesweep_config_selectorIjN6thrust23THRUST_200600_302600_NS5tupleIffNS6_9null_typeES8_S8_S8_S8_S8_S8_S8_EEEEZZNS1_29radix_sort_onesweep_iterationIS3_Lb0ENS6_6detail15normal_iteratorINS6_10device_ptrIjEEEESG_NSD_INSE_IS9_EEEESI_jNS0_19identity_decomposerENS1_16block_id_wrapperIjLb0EEEEE10hipError_tT1_PNSt15iterator_traitsISN_E10value_typeET2_T3_PNSO_IST_E10value_typeET4_T5_PSY_SZ_PNS1_23onesweep_lookback_stateEbbT6_jjT7_P12ihipStream_tbENKUlT_T0_SN_SS_E_clISG_PjSI_PS9_EEDaS16_S17_SN_SS_EUlS16_E_NS1_11comp_targetILNS1_3genE3ELNS1_11target_archE908ELNS1_3gpuE7ELNS1_3repE0EEENS1_47radix_sort_onesweep_sort_config_static_selectorELNS0_4arch9wavefront6targetE0EEEvSN_.num_agpr, 0
	.set _ZN7rocprim17ROCPRIM_400000_NS6detail17trampoline_kernelINS0_14default_configENS1_35radix_sort_onesweep_config_selectorIjN6thrust23THRUST_200600_302600_NS5tupleIffNS6_9null_typeES8_S8_S8_S8_S8_S8_S8_EEEEZZNS1_29radix_sort_onesweep_iterationIS3_Lb0ENS6_6detail15normal_iteratorINS6_10device_ptrIjEEEESG_NSD_INSE_IS9_EEEESI_jNS0_19identity_decomposerENS1_16block_id_wrapperIjLb0EEEEE10hipError_tT1_PNSt15iterator_traitsISN_E10value_typeET2_T3_PNSO_IST_E10value_typeET4_T5_PSY_SZ_PNS1_23onesweep_lookback_stateEbbT6_jjT7_P12ihipStream_tbENKUlT_T0_SN_SS_E_clISG_PjSI_PS9_EEDaS16_S17_SN_SS_EUlS16_E_NS1_11comp_targetILNS1_3genE3ELNS1_11target_archE908ELNS1_3gpuE7ELNS1_3repE0EEENS1_47radix_sort_onesweep_sort_config_static_selectorELNS0_4arch9wavefront6targetE0EEEvSN_.numbered_sgpr, 0
	.set _ZN7rocprim17ROCPRIM_400000_NS6detail17trampoline_kernelINS0_14default_configENS1_35radix_sort_onesweep_config_selectorIjN6thrust23THRUST_200600_302600_NS5tupleIffNS6_9null_typeES8_S8_S8_S8_S8_S8_S8_EEEEZZNS1_29radix_sort_onesweep_iterationIS3_Lb0ENS6_6detail15normal_iteratorINS6_10device_ptrIjEEEESG_NSD_INSE_IS9_EEEESI_jNS0_19identity_decomposerENS1_16block_id_wrapperIjLb0EEEEE10hipError_tT1_PNSt15iterator_traitsISN_E10value_typeET2_T3_PNSO_IST_E10value_typeET4_T5_PSY_SZ_PNS1_23onesweep_lookback_stateEbbT6_jjT7_P12ihipStream_tbENKUlT_T0_SN_SS_E_clISG_PjSI_PS9_EEDaS16_S17_SN_SS_EUlS16_E_NS1_11comp_targetILNS1_3genE3ELNS1_11target_archE908ELNS1_3gpuE7ELNS1_3repE0EEENS1_47radix_sort_onesweep_sort_config_static_selectorELNS0_4arch9wavefront6targetE0EEEvSN_.num_named_barrier, 0
	.set _ZN7rocprim17ROCPRIM_400000_NS6detail17trampoline_kernelINS0_14default_configENS1_35radix_sort_onesweep_config_selectorIjN6thrust23THRUST_200600_302600_NS5tupleIffNS6_9null_typeES8_S8_S8_S8_S8_S8_S8_EEEEZZNS1_29radix_sort_onesweep_iterationIS3_Lb0ENS6_6detail15normal_iteratorINS6_10device_ptrIjEEEESG_NSD_INSE_IS9_EEEESI_jNS0_19identity_decomposerENS1_16block_id_wrapperIjLb0EEEEE10hipError_tT1_PNSt15iterator_traitsISN_E10value_typeET2_T3_PNSO_IST_E10value_typeET4_T5_PSY_SZ_PNS1_23onesweep_lookback_stateEbbT6_jjT7_P12ihipStream_tbENKUlT_T0_SN_SS_E_clISG_PjSI_PS9_EEDaS16_S17_SN_SS_EUlS16_E_NS1_11comp_targetILNS1_3genE3ELNS1_11target_archE908ELNS1_3gpuE7ELNS1_3repE0EEENS1_47radix_sort_onesweep_sort_config_static_selectorELNS0_4arch9wavefront6targetE0EEEvSN_.private_seg_size, 0
	.set _ZN7rocprim17ROCPRIM_400000_NS6detail17trampoline_kernelINS0_14default_configENS1_35radix_sort_onesweep_config_selectorIjN6thrust23THRUST_200600_302600_NS5tupleIffNS6_9null_typeES8_S8_S8_S8_S8_S8_S8_EEEEZZNS1_29radix_sort_onesweep_iterationIS3_Lb0ENS6_6detail15normal_iteratorINS6_10device_ptrIjEEEESG_NSD_INSE_IS9_EEEESI_jNS0_19identity_decomposerENS1_16block_id_wrapperIjLb0EEEEE10hipError_tT1_PNSt15iterator_traitsISN_E10value_typeET2_T3_PNSO_IST_E10value_typeET4_T5_PSY_SZ_PNS1_23onesweep_lookback_stateEbbT6_jjT7_P12ihipStream_tbENKUlT_T0_SN_SS_E_clISG_PjSI_PS9_EEDaS16_S17_SN_SS_EUlS16_E_NS1_11comp_targetILNS1_3genE3ELNS1_11target_archE908ELNS1_3gpuE7ELNS1_3repE0EEENS1_47radix_sort_onesweep_sort_config_static_selectorELNS0_4arch9wavefront6targetE0EEEvSN_.uses_vcc, 0
	.set _ZN7rocprim17ROCPRIM_400000_NS6detail17trampoline_kernelINS0_14default_configENS1_35radix_sort_onesweep_config_selectorIjN6thrust23THRUST_200600_302600_NS5tupleIffNS6_9null_typeES8_S8_S8_S8_S8_S8_S8_EEEEZZNS1_29radix_sort_onesweep_iterationIS3_Lb0ENS6_6detail15normal_iteratorINS6_10device_ptrIjEEEESG_NSD_INSE_IS9_EEEESI_jNS0_19identity_decomposerENS1_16block_id_wrapperIjLb0EEEEE10hipError_tT1_PNSt15iterator_traitsISN_E10value_typeET2_T3_PNSO_IST_E10value_typeET4_T5_PSY_SZ_PNS1_23onesweep_lookback_stateEbbT6_jjT7_P12ihipStream_tbENKUlT_T0_SN_SS_E_clISG_PjSI_PS9_EEDaS16_S17_SN_SS_EUlS16_E_NS1_11comp_targetILNS1_3genE3ELNS1_11target_archE908ELNS1_3gpuE7ELNS1_3repE0EEENS1_47radix_sort_onesweep_sort_config_static_selectorELNS0_4arch9wavefront6targetE0EEEvSN_.uses_flat_scratch, 0
	.set _ZN7rocprim17ROCPRIM_400000_NS6detail17trampoline_kernelINS0_14default_configENS1_35radix_sort_onesweep_config_selectorIjN6thrust23THRUST_200600_302600_NS5tupleIffNS6_9null_typeES8_S8_S8_S8_S8_S8_S8_EEEEZZNS1_29radix_sort_onesweep_iterationIS3_Lb0ENS6_6detail15normal_iteratorINS6_10device_ptrIjEEEESG_NSD_INSE_IS9_EEEESI_jNS0_19identity_decomposerENS1_16block_id_wrapperIjLb0EEEEE10hipError_tT1_PNSt15iterator_traitsISN_E10value_typeET2_T3_PNSO_IST_E10value_typeET4_T5_PSY_SZ_PNS1_23onesweep_lookback_stateEbbT6_jjT7_P12ihipStream_tbENKUlT_T0_SN_SS_E_clISG_PjSI_PS9_EEDaS16_S17_SN_SS_EUlS16_E_NS1_11comp_targetILNS1_3genE3ELNS1_11target_archE908ELNS1_3gpuE7ELNS1_3repE0EEENS1_47radix_sort_onesweep_sort_config_static_selectorELNS0_4arch9wavefront6targetE0EEEvSN_.has_dyn_sized_stack, 0
	.set _ZN7rocprim17ROCPRIM_400000_NS6detail17trampoline_kernelINS0_14default_configENS1_35radix_sort_onesweep_config_selectorIjN6thrust23THRUST_200600_302600_NS5tupleIffNS6_9null_typeES8_S8_S8_S8_S8_S8_S8_EEEEZZNS1_29radix_sort_onesweep_iterationIS3_Lb0ENS6_6detail15normal_iteratorINS6_10device_ptrIjEEEESG_NSD_INSE_IS9_EEEESI_jNS0_19identity_decomposerENS1_16block_id_wrapperIjLb0EEEEE10hipError_tT1_PNSt15iterator_traitsISN_E10value_typeET2_T3_PNSO_IST_E10value_typeET4_T5_PSY_SZ_PNS1_23onesweep_lookback_stateEbbT6_jjT7_P12ihipStream_tbENKUlT_T0_SN_SS_E_clISG_PjSI_PS9_EEDaS16_S17_SN_SS_EUlS16_E_NS1_11comp_targetILNS1_3genE3ELNS1_11target_archE908ELNS1_3gpuE7ELNS1_3repE0EEENS1_47radix_sort_onesweep_sort_config_static_selectorELNS0_4arch9wavefront6targetE0EEEvSN_.has_recursion, 0
	.set _ZN7rocprim17ROCPRIM_400000_NS6detail17trampoline_kernelINS0_14default_configENS1_35radix_sort_onesweep_config_selectorIjN6thrust23THRUST_200600_302600_NS5tupleIffNS6_9null_typeES8_S8_S8_S8_S8_S8_S8_EEEEZZNS1_29radix_sort_onesweep_iterationIS3_Lb0ENS6_6detail15normal_iteratorINS6_10device_ptrIjEEEESG_NSD_INSE_IS9_EEEESI_jNS0_19identity_decomposerENS1_16block_id_wrapperIjLb0EEEEE10hipError_tT1_PNSt15iterator_traitsISN_E10value_typeET2_T3_PNSO_IST_E10value_typeET4_T5_PSY_SZ_PNS1_23onesweep_lookback_stateEbbT6_jjT7_P12ihipStream_tbENKUlT_T0_SN_SS_E_clISG_PjSI_PS9_EEDaS16_S17_SN_SS_EUlS16_E_NS1_11comp_targetILNS1_3genE3ELNS1_11target_archE908ELNS1_3gpuE7ELNS1_3repE0EEENS1_47radix_sort_onesweep_sort_config_static_selectorELNS0_4arch9wavefront6targetE0EEEvSN_.has_indirect_call, 0
	.section	.AMDGPU.csdata,"",@progbits
; Kernel info:
; codeLenInByte = 0
; TotalNumSgprs: 0
; NumVgprs: 0
; ScratchSize: 0
; MemoryBound: 0
; FloatMode: 240
; IeeeMode: 1
; LDSByteSize: 0 bytes/workgroup (compile time only)
; SGPRBlocks: 0
; VGPRBlocks: 0
; NumSGPRsForWavesPerEU: 1
; NumVGPRsForWavesPerEU: 1
; NamedBarCnt: 0
; Occupancy: 16
; WaveLimiterHint : 0
; COMPUTE_PGM_RSRC2:SCRATCH_EN: 0
; COMPUTE_PGM_RSRC2:USER_SGPR: 2
; COMPUTE_PGM_RSRC2:TRAP_HANDLER: 0
; COMPUTE_PGM_RSRC2:TGID_X_EN: 1
; COMPUTE_PGM_RSRC2:TGID_Y_EN: 0
; COMPUTE_PGM_RSRC2:TGID_Z_EN: 0
; COMPUTE_PGM_RSRC2:TIDIG_COMP_CNT: 0
	.section	.text._ZN7rocprim17ROCPRIM_400000_NS6detail17trampoline_kernelINS0_14default_configENS1_35radix_sort_onesweep_config_selectorIjN6thrust23THRUST_200600_302600_NS5tupleIffNS6_9null_typeES8_S8_S8_S8_S8_S8_S8_EEEEZZNS1_29radix_sort_onesweep_iterationIS3_Lb0ENS6_6detail15normal_iteratorINS6_10device_ptrIjEEEESG_NSD_INSE_IS9_EEEESI_jNS0_19identity_decomposerENS1_16block_id_wrapperIjLb0EEEEE10hipError_tT1_PNSt15iterator_traitsISN_E10value_typeET2_T3_PNSO_IST_E10value_typeET4_T5_PSY_SZ_PNS1_23onesweep_lookback_stateEbbT6_jjT7_P12ihipStream_tbENKUlT_T0_SN_SS_E_clISG_PjSI_PS9_EEDaS16_S17_SN_SS_EUlS16_E_NS1_11comp_targetILNS1_3genE10ELNS1_11target_archE1201ELNS1_3gpuE5ELNS1_3repE0EEENS1_47radix_sort_onesweep_sort_config_static_selectorELNS0_4arch9wavefront6targetE0EEEvSN_,"axG",@progbits,_ZN7rocprim17ROCPRIM_400000_NS6detail17trampoline_kernelINS0_14default_configENS1_35radix_sort_onesweep_config_selectorIjN6thrust23THRUST_200600_302600_NS5tupleIffNS6_9null_typeES8_S8_S8_S8_S8_S8_S8_EEEEZZNS1_29radix_sort_onesweep_iterationIS3_Lb0ENS6_6detail15normal_iteratorINS6_10device_ptrIjEEEESG_NSD_INSE_IS9_EEEESI_jNS0_19identity_decomposerENS1_16block_id_wrapperIjLb0EEEEE10hipError_tT1_PNSt15iterator_traitsISN_E10value_typeET2_T3_PNSO_IST_E10value_typeET4_T5_PSY_SZ_PNS1_23onesweep_lookback_stateEbbT6_jjT7_P12ihipStream_tbENKUlT_T0_SN_SS_E_clISG_PjSI_PS9_EEDaS16_S17_SN_SS_EUlS16_E_NS1_11comp_targetILNS1_3genE10ELNS1_11target_archE1201ELNS1_3gpuE5ELNS1_3repE0EEENS1_47radix_sort_onesweep_sort_config_static_selectorELNS0_4arch9wavefront6targetE0EEEvSN_,comdat
	.protected	_ZN7rocprim17ROCPRIM_400000_NS6detail17trampoline_kernelINS0_14default_configENS1_35radix_sort_onesweep_config_selectorIjN6thrust23THRUST_200600_302600_NS5tupleIffNS6_9null_typeES8_S8_S8_S8_S8_S8_S8_EEEEZZNS1_29radix_sort_onesweep_iterationIS3_Lb0ENS6_6detail15normal_iteratorINS6_10device_ptrIjEEEESG_NSD_INSE_IS9_EEEESI_jNS0_19identity_decomposerENS1_16block_id_wrapperIjLb0EEEEE10hipError_tT1_PNSt15iterator_traitsISN_E10value_typeET2_T3_PNSO_IST_E10value_typeET4_T5_PSY_SZ_PNS1_23onesweep_lookback_stateEbbT6_jjT7_P12ihipStream_tbENKUlT_T0_SN_SS_E_clISG_PjSI_PS9_EEDaS16_S17_SN_SS_EUlS16_E_NS1_11comp_targetILNS1_3genE10ELNS1_11target_archE1201ELNS1_3gpuE5ELNS1_3repE0EEENS1_47radix_sort_onesweep_sort_config_static_selectorELNS0_4arch9wavefront6targetE0EEEvSN_ ; -- Begin function _ZN7rocprim17ROCPRIM_400000_NS6detail17trampoline_kernelINS0_14default_configENS1_35radix_sort_onesweep_config_selectorIjN6thrust23THRUST_200600_302600_NS5tupleIffNS6_9null_typeES8_S8_S8_S8_S8_S8_S8_EEEEZZNS1_29radix_sort_onesweep_iterationIS3_Lb0ENS6_6detail15normal_iteratorINS6_10device_ptrIjEEEESG_NSD_INSE_IS9_EEEESI_jNS0_19identity_decomposerENS1_16block_id_wrapperIjLb0EEEEE10hipError_tT1_PNSt15iterator_traitsISN_E10value_typeET2_T3_PNSO_IST_E10value_typeET4_T5_PSY_SZ_PNS1_23onesweep_lookback_stateEbbT6_jjT7_P12ihipStream_tbENKUlT_T0_SN_SS_E_clISG_PjSI_PS9_EEDaS16_S17_SN_SS_EUlS16_E_NS1_11comp_targetILNS1_3genE10ELNS1_11target_archE1201ELNS1_3gpuE5ELNS1_3repE0EEENS1_47radix_sort_onesweep_sort_config_static_selectorELNS0_4arch9wavefront6targetE0EEEvSN_
	.globl	_ZN7rocprim17ROCPRIM_400000_NS6detail17trampoline_kernelINS0_14default_configENS1_35radix_sort_onesweep_config_selectorIjN6thrust23THRUST_200600_302600_NS5tupleIffNS6_9null_typeES8_S8_S8_S8_S8_S8_S8_EEEEZZNS1_29radix_sort_onesweep_iterationIS3_Lb0ENS6_6detail15normal_iteratorINS6_10device_ptrIjEEEESG_NSD_INSE_IS9_EEEESI_jNS0_19identity_decomposerENS1_16block_id_wrapperIjLb0EEEEE10hipError_tT1_PNSt15iterator_traitsISN_E10value_typeET2_T3_PNSO_IST_E10value_typeET4_T5_PSY_SZ_PNS1_23onesweep_lookback_stateEbbT6_jjT7_P12ihipStream_tbENKUlT_T0_SN_SS_E_clISG_PjSI_PS9_EEDaS16_S17_SN_SS_EUlS16_E_NS1_11comp_targetILNS1_3genE10ELNS1_11target_archE1201ELNS1_3gpuE5ELNS1_3repE0EEENS1_47radix_sort_onesweep_sort_config_static_selectorELNS0_4arch9wavefront6targetE0EEEvSN_
	.p2align	8
	.type	_ZN7rocprim17ROCPRIM_400000_NS6detail17trampoline_kernelINS0_14default_configENS1_35radix_sort_onesweep_config_selectorIjN6thrust23THRUST_200600_302600_NS5tupleIffNS6_9null_typeES8_S8_S8_S8_S8_S8_S8_EEEEZZNS1_29radix_sort_onesweep_iterationIS3_Lb0ENS6_6detail15normal_iteratorINS6_10device_ptrIjEEEESG_NSD_INSE_IS9_EEEESI_jNS0_19identity_decomposerENS1_16block_id_wrapperIjLb0EEEEE10hipError_tT1_PNSt15iterator_traitsISN_E10value_typeET2_T3_PNSO_IST_E10value_typeET4_T5_PSY_SZ_PNS1_23onesweep_lookback_stateEbbT6_jjT7_P12ihipStream_tbENKUlT_T0_SN_SS_E_clISG_PjSI_PS9_EEDaS16_S17_SN_SS_EUlS16_E_NS1_11comp_targetILNS1_3genE10ELNS1_11target_archE1201ELNS1_3gpuE5ELNS1_3repE0EEENS1_47radix_sort_onesweep_sort_config_static_selectorELNS0_4arch9wavefront6targetE0EEEvSN_,@function
_ZN7rocprim17ROCPRIM_400000_NS6detail17trampoline_kernelINS0_14default_configENS1_35radix_sort_onesweep_config_selectorIjN6thrust23THRUST_200600_302600_NS5tupleIffNS6_9null_typeES8_S8_S8_S8_S8_S8_S8_EEEEZZNS1_29radix_sort_onesweep_iterationIS3_Lb0ENS6_6detail15normal_iteratorINS6_10device_ptrIjEEEESG_NSD_INSE_IS9_EEEESI_jNS0_19identity_decomposerENS1_16block_id_wrapperIjLb0EEEEE10hipError_tT1_PNSt15iterator_traitsISN_E10value_typeET2_T3_PNSO_IST_E10value_typeET4_T5_PSY_SZ_PNS1_23onesweep_lookback_stateEbbT6_jjT7_P12ihipStream_tbENKUlT_T0_SN_SS_E_clISG_PjSI_PS9_EEDaS16_S17_SN_SS_EUlS16_E_NS1_11comp_targetILNS1_3genE10ELNS1_11target_archE1201ELNS1_3gpuE5ELNS1_3repE0EEENS1_47radix_sort_onesweep_sort_config_static_selectorELNS0_4arch9wavefront6targetE0EEEvSN_: ; @_ZN7rocprim17ROCPRIM_400000_NS6detail17trampoline_kernelINS0_14default_configENS1_35radix_sort_onesweep_config_selectorIjN6thrust23THRUST_200600_302600_NS5tupleIffNS6_9null_typeES8_S8_S8_S8_S8_S8_S8_EEEEZZNS1_29radix_sort_onesweep_iterationIS3_Lb0ENS6_6detail15normal_iteratorINS6_10device_ptrIjEEEESG_NSD_INSE_IS9_EEEESI_jNS0_19identity_decomposerENS1_16block_id_wrapperIjLb0EEEEE10hipError_tT1_PNSt15iterator_traitsISN_E10value_typeET2_T3_PNSO_IST_E10value_typeET4_T5_PSY_SZ_PNS1_23onesweep_lookback_stateEbbT6_jjT7_P12ihipStream_tbENKUlT_T0_SN_SS_E_clISG_PjSI_PS9_EEDaS16_S17_SN_SS_EUlS16_E_NS1_11comp_targetILNS1_3genE10ELNS1_11target_archE1201ELNS1_3gpuE5ELNS1_3repE0EEENS1_47radix_sort_onesweep_sort_config_static_selectorELNS0_4arch9wavefront6targetE0EEEvSN_
; %bb.0:
	.section	.rodata,"a",@progbits
	.p2align	6, 0x0
	.amdhsa_kernel _ZN7rocprim17ROCPRIM_400000_NS6detail17trampoline_kernelINS0_14default_configENS1_35radix_sort_onesweep_config_selectorIjN6thrust23THRUST_200600_302600_NS5tupleIffNS6_9null_typeES8_S8_S8_S8_S8_S8_S8_EEEEZZNS1_29radix_sort_onesweep_iterationIS3_Lb0ENS6_6detail15normal_iteratorINS6_10device_ptrIjEEEESG_NSD_INSE_IS9_EEEESI_jNS0_19identity_decomposerENS1_16block_id_wrapperIjLb0EEEEE10hipError_tT1_PNSt15iterator_traitsISN_E10value_typeET2_T3_PNSO_IST_E10value_typeET4_T5_PSY_SZ_PNS1_23onesweep_lookback_stateEbbT6_jjT7_P12ihipStream_tbENKUlT_T0_SN_SS_E_clISG_PjSI_PS9_EEDaS16_S17_SN_SS_EUlS16_E_NS1_11comp_targetILNS1_3genE10ELNS1_11target_archE1201ELNS1_3gpuE5ELNS1_3repE0EEENS1_47radix_sort_onesweep_sort_config_static_selectorELNS0_4arch9wavefront6targetE0EEEvSN_
		.amdhsa_group_segment_fixed_size 0
		.amdhsa_private_segment_fixed_size 0
		.amdhsa_kernarg_size 88
		.amdhsa_user_sgpr_count 2
		.amdhsa_user_sgpr_dispatch_ptr 0
		.amdhsa_user_sgpr_queue_ptr 0
		.amdhsa_user_sgpr_kernarg_segment_ptr 1
		.amdhsa_user_sgpr_dispatch_id 0
		.amdhsa_user_sgpr_kernarg_preload_length 0
		.amdhsa_user_sgpr_kernarg_preload_offset 0
		.amdhsa_user_sgpr_private_segment_size 0
		.amdhsa_wavefront_size32 1
		.amdhsa_uses_dynamic_stack 0
		.amdhsa_enable_private_segment 0
		.amdhsa_system_sgpr_workgroup_id_x 1
		.amdhsa_system_sgpr_workgroup_id_y 0
		.amdhsa_system_sgpr_workgroup_id_z 0
		.amdhsa_system_sgpr_workgroup_info 0
		.amdhsa_system_vgpr_workitem_id 0
		.amdhsa_next_free_vgpr 1
		.amdhsa_next_free_sgpr 1
		.amdhsa_named_barrier_count 0
		.amdhsa_reserve_vcc 0
		.amdhsa_float_round_mode_32 0
		.amdhsa_float_round_mode_16_64 0
		.amdhsa_float_denorm_mode_32 3
		.amdhsa_float_denorm_mode_16_64 3
		.amdhsa_fp16_overflow 0
		.amdhsa_memory_ordered 1
		.amdhsa_forward_progress 1
		.amdhsa_inst_pref_size 0
		.amdhsa_round_robin_scheduling 0
		.amdhsa_exception_fp_ieee_invalid_op 0
		.amdhsa_exception_fp_denorm_src 0
		.amdhsa_exception_fp_ieee_div_zero 0
		.amdhsa_exception_fp_ieee_overflow 0
		.amdhsa_exception_fp_ieee_underflow 0
		.amdhsa_exception_fp_ieee_inexact 0
		.amdhsa_exception_int_div_zero 0
	.end_amdhsa_kernel
	.section	.text._ZN7rocprim17ROCPRIM_400000_NS6detail17trampoline_kernelINS0_14default_configENS1_35radix_sort_onesweep_config_selectorIjN6thrust23THRUST_200600_302600_NS5tupleIffNS6_9null_typeES8_S8_S8_S8_S8_S8_S8_EEEEZZNS1_29radix_sort_onesweep_iterationIS3_Lb0ENS6_6detail15normal_iteratorINS6_10device_ptrIjEEEESG_NSD_INSE_IS9_EEEESI_jNS0_19identity_decomposerENS1_16block_id_wrapperIjLb0EEEEE10hipError_tT1_PNSt15iterator_traitsISN_E10value_typeET2_T3_PNSO_IST_E10value_typeET4_T5_PSY_SZ_PNS1_23onesweep_lookback_stateEbbT6_jjT7_P12ihipStream_tbENKUlT_T0_SN_SS_E_clISG_PjSI_PS9_EEDaS16_S17_SN_SS_EUlS16_E_NS1_11comp_targetILNS1_3genE10ELNS1_11target_archE1201ELNS1_3gpuE5ELNS1_3repE0EEENS1_47radix_sort_onesweep_sort_config_static_selectorELNS0_4arch9wavefront6targetE0EEEvSN_,"axG",@progbits,_ZN7rocprim17ROCPRIM_400000_NS6detail17trampoline_kernelINS0_14default_configENS1_35radix_sort_onesweep_config_selectorIjN6thrust23THRUST_200600_302600_NS5tupleIffNS6_9null_typeES8_S8_S8_S8_S8_S8_S8_EEEEZZNS1_29radix_sort_onesweep_iterationIS3_Lb0ENS6_6detail15normal_iteratorINS6_10device_ptrIjEEEESG_NSD_INSE_IS9_EEEESI_jNS0_19identity_decomposerENS1_16block_id_wrapperIjLb0EEEEE10hipError_tT1_PNSt15iterator_traitsISN_E10value_typeET2_T3_PNSO_IST_E10value_typeET4_T5_PSY_SZ_PNS1_23onesweep_lookback_stateEbbT6_jjT7_P12ihipStream_tbENKUlT_T0_SN_SS_E_clISG_PjSI_PS9_EEDaS16_S17_SN_SS_EUlS16_E_NS1_11comp_targetILNS1_3genE10ELNS1_11target_archE1201ELNS1_3gpuE5ELNS1_3repE0EEENS1_47radix_sort_onesweep_sort_config_static_selectorELNS0_4arch9wavefront6targetE0EEEvSN_,comdat
.Lfunc_end217:
	.size	_ZN7rocprim17ROCPRIM_400000_NS6detail17trampoline_kernelINS0_14default_configENS1_35radix_sort_onesweep_config_selectorIjN6thrust23THRUST_200600_302600_NS5tupleIffNS6_9null_typeES8_S8_S8_S8_S8_S8_S8_EEEEZZNS1_29radix_sort_onesweep_iterationIS3_Lb0ENS6_6detail15normal_iteratorINS6_10device_ptrIjEEEESG_NSD_INSE_IS9_EEEESI_jNS0_19identity_decomposerENS1_16block_id_wrapperIjLb0EEEEE10hipError_tT1_PNSt15iterator_traitsISN_E10value_typeET2_T3_PNSO_IST_E10value_typeET4_T5_PSY_SZ_PNS1_23onesweep_lookback_stateEbbT6_jjT7_P12ihipStream_tbENKUlT_T0_SN_SS_E_clISG_PjSI_PS9_EEDaS16_S17_SN_SS_EUlS16_E_NS1_11comp_targetILNS1_3genE10ELNS1_11target_archE1201ELNS1_3gpuE5ELNS1_3repE0EEENS1_47radix_sort_onesweep_sort_config_static_selectorELNS0_4arch9wavefront6targetE0EEEvSN_, .Lfunc_end217-_ZN7rocprim17ROCPRIM_400000_NS6detail17trampoline_kernelINS0_14default_configENS1_35radix_sort_onesweep_config_selectorIjN6thrust23THRUST_200600_302600_NS5tupleIffNS6_9null_typeES8_S8_S8_S8_S8_S8_S8_EEEEZZNS1_29radix_sort_onesweep_iterationIS3_Lb0ENS6_6detail15normal_iteratorINS6_10device_ptrIjEEEESG_NSD_INSE_IS9_EEEESI_jNS0_19identity_decomposerENS1_16block_id_wrapperIjLb0EEEEE10hipError_tT1_PNSt15iterator_traitsISN_E10value_typeET2_T3_PNSO_IST_E10value_typeET4_T5_PSY_SZ_PNS1_23onesweep_lookback_stateEbbT6_jjT7_P12ihipStream_tbENKUlT_T0_SN_SS_E_clISG_PjSI_PS9_EEDaS16_S17_SN_SS_EUlS16_E_NS1_11comp_targetILNS1_3genE10ELNS1_11target_archE1201ELNS1_3gpuE5ELNS1_3repE0EEENS1_47radix_sort_onesweep_sort_config_static_selectorELNS0_4arch9wavefront6targetE0EEEvSN_
                                        ; -- End function
	.set _ZN7rocprim17ROCPRIM_400000_NS6detail17trampoline_kernelINS0_14default_configENS1_35radix_sort_onesweep_config_selectorIjN6thrust23THRUST_200600_302600_NS5tupleIffNS6_9null_typeES8_S8_S8_S8_S8_S8_S8_EEEEZZNS1_29radix_sort_onesweep_iterationIS3_Lb0ENS6_6detail15normal_iteratorINS6_10device_ptrIjEEEESG_NSD_INSE_IS9_EEEESI_jNS0_19identity_decomposerENS1_16block_id_wrapperIjLb0EEEEE10hipError_tT1_PNSt15iterator_traitsISN_E10value_typeET2_T3_PNSO_IST_E10value_typeET4_T5_PSY_SZ_PNS1_23onesweep_lookback_stateEbbT6_jjT7_P12ihipStream_tbENKUlT_T0_SN_SS_E_clISG_PjSI_PS9_EEDaS16_S17_SN_SS_EUlS16_E_NS1_11comp_targetILNS1_3genE10ELNS1_11target_archE1201ELNS1_3gpuE5ELNS1_3repE0EEENS1_47radix_sort_onesweep_sort_config_static_selectorELNS0_4arch9wavefront6targetE0EEEvSN_.num_vgpr, 0
	.set _ZN7rocprim17ROCPRIM_400000_NS6detail17trampoline_kernelINS0_14default_configENS1_35radix_sort_onesweep_config_selectorIjN6thrust23THRUST_200600_302600_NS5tupleIffNS6_9null_typeES8_S8_S8_S8_S8_S8_S8_EEEEZZNS1_29radix_sort_onesweep_iterationIS3_Lb0ENS6_6detail15normal_iteratorINS6_10device_ptrIjEEEESG_NSD_INSE_IS9_EEEESI_jNS0_19identity_decomposerENS1_16block_id_wrapperIjLb0EEEEE10hipError_tT1_PNSt15iterator_traitsISN_E10value_typeET2_T3_PNSO_IST_E10value_typeET4_T5_PSY_SZ_PNS1_23onesweep_lookback_stateEbbT6_jjT7_P12ihipStream_tbENKUlT_T0_SN_SS_E_clISG_PjSI_PS9_EEDaS16_S17_SN_SS_EUlS16_E_NS1_11comp_targetILNS1_3genE10ELNS1_11target_archE1201ELNS1_3gpuE5ELNS1_3repE0EEENS1_47radix_sort_onesweep_sort_config_static_selectorELNS0_4arch9wavefront6targetE0EEEvSN_.num_agpr, 0
	.set _ZN7rocprim17ROCPRIM_400000_NS6detail17trampoline_kernelINS0_14default_configENS1_35radix_sort_onesweep_config_selectorIjN6thrust23THRUST_200600_302600_NS5tupleIffNS6_9null_typeES8_S8_S8_S8_S8_S8_S8_EEEEZZNS1_29radix_sort_onesweep_iterationIS3_Lb0ENS6_6detail15normal_iteratorINS6_10device_ptrIjEEEESG_NSD_INSE_IS9_EEEESI_jNS0_19identity_decomposerENS1_16block_id_wrapperIjLb0EEEEE10hipError_tT1_PNSt15iterator_traitsISN_E10value_typeET2_T3_PNSO_IST_E10value_typeET4_T5_PSY_SZ_PNS1_23onesweep_lookback_stateEbbT6_jjT7_P12ihipStream_tbENKUlT_T0_SN_SS_E_clISG_PjSI_PS9_EEDaS16_S17_SN_SS_EUlS16_E_NS1_11comp_targetILNS1_3genE10ELNS1_11target_archE1201ELNS1_3gpuE5ELNS1_3repE0EEENS1_47radix_sort_onesweep_sort_config_static_selectorELNS0_4arch9wavefront6targetE0EEEvSN_.numbered_sgpr, 0
	.set _ZN7rocprim17ROCPRIM_400000_NS6detail17trampoline_kernelINS0_14default_configENS1_35radix_sort_onesweep_config_selectorIjN6thrust23THRUST_200600_302600_NS5tupleIffNS6_9null_typeES8_S8_S8_S8_S8_S8_S8_EEEEZZNS1_29radix_sort_onesweep_iterationIS3_Lb0ENS6_6detail15normal_iteratorINS6_10device_ptrIjEEEESG_NSD_INSE_IS9_EEEESI_jNS0_19identity_decomposerENS1_16block_id_wrapperIjLb0EEEEE10hipError_tT1_PNSt15iterator_traitsISN_E10value_typeET2_T3_PNSO_IST_E10value_typeET4_T5_PSY_SZ_PNS1_23onesweep_lookback_stateEbbT6_jjT7_P12ihipStream_tbENKUlT_T0_SN_SS_E_clISG_PjSI_PS9_EEDaS16_S17_SN_SS_EUlS16_E_NS1_11comp_targetILNS1_3genE10ELNS1_11target_archE1201ELNS1_3gpuE5ELNS1_3repE0EEENS1_47radix_sort_onesweep_sort_config_static_selectorELNS0_4arch9wavefront6targetE0EEEvSN_.num_named_barrier, 0
	.set _ZN7rocprim17ROCPRIM_400000_NS6detail17trampoline_kernelINS0_14default_configENS1_35radix_sort_onesweep_config_selectorIjN6thrust23THRUST_200600_302600_NS5tupleIffNS6_9null_typeES8_S8_S8_S8_S8_S8_S8_EEEEZZNS1_29radix_sort_onesweep_iterationIS3_Lb0ENS6_6detail15normal_iteratorINS6_10device_ptrIjEEEESG_NSD_INSE_IS9_EEEESI_jNS0_19identity_decomposerENS1_16block_id_wrapperIjLb0EEEEE10hipError_tT1_PNSt15iterator_traitsISN_E10value_typeET2_T3_PNSO_IST_E10value_typeET4_T5_PSY_SZ_PNS1_23onesweep_lookback_stateEbbT6_jjT7_P12ihipStream_tbENKUlT_T0_SN_SS_E_clISG_PjSI_PS9_EEDaS16_S17_SN_SS_EUlS16_E_NS1_11comp_targetILNS1_3genE10ELNS1_11target_archE1201ELNS1_3gpuE5ELNS1_3repE0EEENS1_47radix_sort_onesweep_sort_config_static_selectorELNS0_4arch9wavefront6targetE0EEEvSN_.private_seg_size, 0
	.set _ZN7rocprim17ROCPRIM_400000_NS6detail17trampoline_kernelINS0_14default_configENS1_35radix_sort_onesweep_config_selectorIjN6thrust23THRUST_200600_302600_NS5tupleIffNS6_9null_typeES8_S8_S8_S8_S8_S8_S8_EEEEZZNS1_29radix_sort_onesweep_iterationIS3_Lb0ENS6_6detail15normal_iteratorINS6_10device_ptrIjEEEESG_NSD_INSE_IS9_EEEESI_jNS0_19identity_decomposerENS1_16block_id_wrapperIjLb0EEEEE10hipError_tT1_PNSt15iterator_traitsISN_E10value_typeET2_T3_PNSO_IST_E10value_typeET4_T5_PSY_SZ_PNS1_23onesweep_lookback_stateEbbT6_jjT7_P12ihipStream_tbENKUlT_T0_SN_SS_E_clISG_PjSI_PS9_EEDaS16_S17_SN_SS_EUlS16_E_NS1_11comp_targetILNS1_3genE10ELNS1_11target_archE1201ELNS1_3gpuE5ELNS1_3repE0EEENS1_47radix_sort_onesweep_sort_config_static_selectorELNS0_4arch9wavefront6targetE0EEEvSN_.uses_vcc, 0
	.set _ZN7rocprim17ROCPRIM_400000_NS6detail17trampoline_kernelINS0_14default_configENS1_35radix_sort_onesweep_config_selectorIjN6thrust23THRUST_200600_302600_NS5tupleIffNS6_9null_typeES8_S8_S8_S8_S8_S8_S8_EEEEZZNS1_29radix_sort_onesweep_iterationIS3_Lb0ENS6_6detail15normal_iteratorINS6_10device_ptrIjEEEESG_NSD_INSE_IS9_EEEESI_jNS0_19identity_decomposerENS1_16block_id_wrapperIjLb0EEEEE10hipError_tT1_PNSt15iterator_traitsISN_E10value_typeET2_T3_PNSO_IST_E10value_typeET4_T5_PSY_SZ_PNS1_23onesweep_lookback_stateEbbT6_jjT7_P12ihipStream_tbENKUlT_T0_SN_SS_E_clISG_PjSI_PS9_EEDaS16_S17_SN_SS_EUlS16_E_NS1_11comp_targetILNS1_3genE10ELNS1_11target_archE1201ELNS1_3gpuE5ELNS1_3repE0EEENS1_47radix_sort_onesweep_sort_config_static_selectorELNS0_4arch9wavefront6targetE0EEEvSN_.uses_flat_scratch, 0
	.set _ZN7rocprim17ROCPRIM_400000_NS6detail17trampoline_kernelINS0_14default_configENS1_35radix_sort_onesweep_config_selectorIjN6thrust23THRUST_200600_302600_NS5tupleIffNS6_9null_typeES8_S8_S8_S8_S8_S8_S8_EEEEZZNS1_29radix_sort_onesweep_iterationIS3_Lb0ENS6_6detail15normal_iteratorINS6_10device_ptrIjEEEESG_NSD_INSE_IS9_EEEESI_jNS0_19identity_decomposerENS1_16block_id_wrapperIjLb0EEEEE10hipError_tT1_PNSt15iterator_traitsISN_E10value_typeET2_T3_PNSO_IST_E10value_typeET4_T5_PSY_SZ_PNS1_23onesweep_lookback_stateEbbT6_jjT7_P12ihipStream_tbENKUlT_T0_SN_SS_E_clISG_PjSI_PS9_EEDaS16_S17_SN_SS_EUlS16_E_NS1_11comp_targetILNS1_3genE10ELNS1_11target_archE1201ELNS1_3gpuE5ELNS1_3repE0EEENS1_47radix_sort_onesweep_sort_config_static_selectorELNS0_4arch9wavefront6targetE0EEEvSN_.has_dyn_sized_stack, 0
	.set _ZN7rocprim17ROCPRIM_400000_NS6detail17trampoline_kernelINS0_14default_configENS1_35radix_sort_onesweep_config_selectorIjN6thrust23THRUST_200600_302600_NS5tupleIffNS6_9null_typeES8_S8_S8_S8_S8_S8_S8_EEEEZZNS1_29radix_sort_onesweep_iterationIS3_Lb0ENS6_6detail15normal_iteratorINS6_10device_ptrIjEEEESG_NSD_INSE_IS9_EEEESI_jNS0_19identity_decomposerENS1_16block_id_wrapperIjLb0EEEEE10hipError_tT1_PNSt15iterator_traitsISN_E10value_typeET2_T3_PNSO_IST_E10value_typeET4_T5_PSY_SZ_PNS1_23onesweep_lookback_stateEbbT6_jjT7_P12ihipStream_tbENKUlT_T0_SN_SS_E_clISG_PjSI_PS9_EEDaS16_S17_SN_SS_EUlS16_E_NS1_11comp_targetILNS1_3genE10ELNS1_11target_archE1201ELNS1_3gpuE5ELNS1_3repE0EEENS1_47radix_sort_onesweep_sort_config_static_selectorELNS0_4arch9wavefront6targetE0EEEvSN_.has_recursion, 0
	.set _ZN7rocprim17ROCPRIM_400000_NS6detail17trampoline_kernelINS0_14default_configENS1_35radix_sort_onesweep_config_selectorIjN6thrust23THRUST_200600_302600_NS5tupleIffNS6_9null_typeES8_S8_S8_S8_S8_S8_S8_EEEEZZNS1_29radix_sort_onesweep_iterationIS3_Lb0ENS6_6detail15normal_iteratorINS6_10device_ptrIjEEEESG_NSD_INSE_IS9_EEEESI_jNS0_19identity_decomposerENS1_16block_id_wrapperIjLb0EEEEE10hipError_tT1_PNSt15iterator_traitsISN_E10value_typeET2_T3_PNSO_IST_E10value_typeET4_T5_PSY_SZ_PNS1_23onesweep_lookback_stateEbbT6_jjT7_P12ihipStream_tbENKUlT_T0_SN_SS_E_clISG_PjSI_PS9_EEDaS16_S17_SN_SS_EUlS16_E_NS1_11comp_targetILNS1_3genE10ELNS1_11target_archE1201ELNS1_3gpuE5ELNS1_3repE0EEENS1_47radix_sort_onesweep_sort_config_static_selectorELNS0_4arch9wavefront6targetE0EEEvSN_.has_indirect_call, 0
	.section	.AMDGPU.csdata,"",@progbits
; Kernel info:
; codeLenInByte = 0
; TotalNumSgprs: 0
; NumVgprs: 0
; ScratchSize: 0
; MemoryBound: 0
; FloatMode: 240
; IeeeMode: 1
; LDSByteSize: 0 bytes/workgroup (compile time only)
; SGPRBlocks: 0
; VGPRBlocks: 0
; NumSGPRsForWavesPerEU: 1
; NumVGPRsForWavesPerEU: 1
; NamedBarCnt: 0
; Occupancy: 16
; WaveLimiterHint : 0
; COMPUTE_PGM_RSRC2:SCRATCH_EN: 0
; COMPUTE_PGM_RSRC2:USER_SGPR: 2
; COMPUTE_PGM_RSRC2:TRAP_HANDLER: 0
; COMPUTE_PGM_RSRC2:TGID_X_EN: 1
; COMPUTE_PGM_RSRC2:TGID_Y_EN: 0
; COMPUTE_PGM_RSRC2:TGID_Z_EN: 0
; COMPUTE_PGM_RSRC2:TIDIG_COMP_CNT: 0
	.section	.text._ZN7rocprim17ROCPRIM_400000_NS6detail17trampoline_kernelINS0_14default_configENS1_35radix_sort_onesweep_config_selectorIjN6thrust23THRUST_200600_302600_NS5tupleIffNS6_9null_typeES8_S8_S8_S8_S8_S8_S8_EEEEZZNS1_29radix_sort_onesweep_iterationIS3_Lb0ENS6_6detail15normal_iteratorINS6_10device_ptrIjEEEESG_NSD_INSE_IS9_EEEESI_jNS0_19identity_decomposerENS1_16block_id_wrapperIjLb0EEEEE10hipError_tT1_PNSt15iterator_traitsISN_E10value_typeET2_T3_PNSO_IST_E10value_typeET4_T5_PSY_SZ_PNS1_23onesweep_lookback_stateEbbT6_jjT7_P12ihipStream_tbENKUlT_T0_SN_SS_E_clISG_PjSI_PS9_EEDaS16_S17_SN_SS_EUlS16_E_NS1_11comp_targetILNS1_3genE9ELNS1_11target_archE1100ELNS1_3gpuE3ELNS1_3repE0EEENS1_47radix_sort_onesweep_sort_config_static_selectorELNS0_4arch9wavefront6targetE0EEEvSN_,"axG",@progbits,_ZN7rocprim17ROCPRIM_400000_NS6detail17trampoline_kernelINS0_14default_configENS1_35radix_sort_onesweep_config_selectorIjN6thrust23THRUST_200600_302600_NS5tupleIffNS6_9null_typeES8_S8_S8_S8_S8_S8_S8_EEEEZZNS1_29radix_sort_onesweep_iterationIS3_Lb0ENS6_6detail15normal_iteratorINS6_10device_ptrIjEEEESG_NSD_INSE_IS9_EEEESI_jNS0_19identity_decomposerENS1_16block_id_wrapperIjLb0EEEEE10hipError_tT1_PNSt15iterator_traitsISN_E10value_typeET2_T3_PNSO_IST_E10value_typeET4_T5_PSY_SZ_PNS1_23onesweep_lookback_stateEbbT6_jjT7_P12ihipStream_tbENKUlT_T0_SN_SS_E_clISG_PjSI_PS9_EEDaS16_S17_SN_SS_EUlS16_E_NS1_11comp_targetILNS1_3genE9ELNS1_11target_archE1100ELNS1_3gpuE3ELNS1_3repE0EEENS1_47radix_sort_onesweep_sort_config_static_selectorELNS0_4arch9wavefront6targetE0EEEvSN_,comdat
	.protected	_ZN7rocprim17ROCPRIM_400000_NS6detail17trampoline_kernelINS0_14default_configENS1_35radix_sort_onesweep_config_selectorIjN6thrust23THRUST_200600_302600_NS5tupleIffNS6_9null_typeES8_S8_S8_S8_S8_S8_S8_EEEEZZNS1_29radix_sort_onesweep_iterationIS3_Lb0ENS6_6detail15normal_iteratorINS6_10device_ptrIjEEEESG_NSD_INSE_IS9_EEEESI_jNS0_19identity_decomposerENS1_16block_id_wrapperIjLb0EEEEE10hipError_tT1_PNSt15iterator_traitsISN_E10value_typeET2_T3_PNSO_IST_E10value_typeET4_T5_PSY_SZ_PNS1_23onesweep_lookback_stateEbbT6_jjT7_P12ihipStream_tbENKUlT_T0_SN_SS_E_clISG_PjSI_PS9_EEDaS16_S17_SN_SS_EUlS16_E_NS1_11comp_targetILNS1_3genE9ELNS1_11target_archE1100ELNS1_3gpuE3ELNS1_3repE0EEENS1_47radix_sort_onesweep_sort_config_static_selectorELNS0_4arch9wavefront6targetE0EEEvSN_ ; -- Begin function _ZN7rocprim17ROCPRIM_400000_NS6detail17trampoline_kernelINS0_14default_configENS1_35radix_sort_onesweep_config_selectorIjN6thrust23THRUST_200600_302600_NS5tupleIffNS6_9null_typeES8_S8_S8_S8_S8_S8_S8_EEEEZZNS1_29radix_sort_onesweep_iterationIS3_Lb0ENS6_6detail15normal_iteratorINS6_10device_ptrIjEEEESG_NSD_INSE_IS9_EEEESI_jNS0_19identity_decomposerENS1_16block_id_wrapperIjLb0EEEEE10hipError_tT1_PNSt15iterator_traitsISN_E10value_typeET2_T3_PNSO_IST_E10value_typeET4_T5_PSY_SZ_PNS1_23onesweep_lookback_stateEbbT6_jjT7_P12ihipStream_tbENKUlT_T0_SN_SS_E_clISG_PjSI_PS9_EEDaS16_S17_SN_SS_EUlS16_E_NS1_11comp_targetILNS1_3genE9ELNS1_11target_archE1100ELNS1_3gpuE3ELNS1_3repE0EEENS1_47radix_sort_onesweep_sort_config_static_selectorELNS0_4arch9wavefront6targetE0EEEvSN_
	.globl	_ZN7rocprim17ROCPRIM_400000_NS6detail17trampoline_kernelINS0_14default_configENS1_35radix_sort_onesweep_config_selectorIjN6thrust23THRUST_200600_302600_NS5tupleIffNS6_9null_typeES8_S8_S8_S8_S8_S8_S8_EEEEZZNS1_29radix_sort_onesweep_iterationIS3_Lb0ENS6_6detail15normal_iteratorINS6_10device_ptrIjEEEESG_NSD_INSE_IS9_EEEESI_jNS0_19identity_decomposerENS1_16block_id_wrapperIjLb0EEEEE10hipError_tT1_PNSt15iterator_traitsISN_E10value_typeET2_T3_PNSO_IST_E10value_typeET4_T5_PSY_SZ_PNS1_23onesweep_lookback_stateEbbT6_jjT7_P12ihipStream_tbENKUlT_T0_SN_SS_E_clISG_PjSI_PS9_EEDaS16_S17_SN_SS_EUlS16_E_NS1_11comp_targetILNS1_3genE9ELNS1_11target_archE1100ELNS1_3gpuE3ELNS1_3repE0EEENS1_47radix_sort_onesweep_sort_config_static_selectorELNS0_4arch9wavefront6targetE0EEEvSN_
	.p2align	8
	.type	_ZN7rocprim17ROCPRIM_400000_NS6detail17trampoline_kernelINS0_14default_configENS1_35radix_sort_onesweep_config_selectorIjN6thrust23THRUST_200600_302600_NS5tupleIffNS6_9null_typeES8_S8_S8_S8_S8_S8_S8_EEEEZZNS1_29radix_sort_onesweep_iterationIS3_Lb0ENS6_6detail15normal_iteratorINS6_10device_ptrIjEEEESG_NSD_INSE_IS9_EEEESI_jNS0_19identity_decomposerENS1_16block_id_wrapperIjLb0EEEEE10hipError_tT1_PNSt15iterator_traitsISN_E10value_typeET2_T3_PNSO_IST_E10value_typeET4_T5_PSY_SZ_PNS1_23onesweep_lookback_stateEbbT6_jjT7_P12ihipStream_tbENKUlT_T0_SN_SS_E_clISG_PjSI_PS9_EEDaS16_S17_SN_SS_EUlS16_E_NS1_11comp_targetILNS1_3genE9ELNS1_11target_archE1100ELNS1_3gpuE3ELNS1_3repE0EEENS1_47radix_sort_onesweep_sort_config_static_selectorELNS0_4arch9wavefront6targetE0EEEvSN_,@function
_ZN7rocprim17ROCPRIM_400000_NS6detail17trampoline_kernelINS0_14default_configENS1_35radix_sort_onesweep_config_selectorIjN6thrust23THRUST_200600_302600_NS5tupleIffNS6_9null_typeES8_S8_S8_S8_S8_S8_S8_EEEEZZNS1_29radix_sort_onesweep_iterationIS3_Lb0ENS6_6detail15normal_iteratorINS6_10device_ptrIjEEEESG_NSD_INSE_IS9_EEEESI_jNS0_19identity_decomposerENS1_16block_id_wrapperIjLb0EEEEE10hipError_tT1_PNSt15iterator_traitsISN_E10value_typeET2_T3_PNSO_IST_E10value_typeET4_T5_PSY_SZ_PNS1_23onesweep_lookback_stateEbbT6_jjT7_P12ihipStream_tbENKUlT_T0_SN_SS_E_clISG_PjSI_PS9_EEDaS16_S17_SN_SS_EUlS16_E_NS1_11comp_targetILNS1_3genE9ELNS1_11target_archE1100ELNS1_3gpuE3ELNS1_3repE0EEENS1_47radix_sort_onesweep_sort_config_static_selectorELNS0_4arch9wavefront6targetE0EEEvSN_: ; @_ZN7rocprim17ROCPRIM_400000_NS6detail17trampoline_kernelINS0_14default_configENS1_35radix_sort_onesweep_config_selectorIjN6thrust23THRUST_200600_302600_NS5tupleIffNS6_9null_typeES8_S8_S8_S8_S8_S8_S8_EEEEZZNS1_29radix_sort_onesweep_iterationIS3_Lb0ENS6_6detail15normal_iteratorINS6_10device_ptrIjEEEESG_NSD_INSE_IS9_EEEESI_jNS0_19identity_decomposerENS1_16block_id_wrapperIjLb0EEEEE10hipError_tT1_PNSt15iterator_traitsISN_E10value_typeET2_T3_PNSO_IST_E10value_typeET4_T5_PSY_SZ_PNS1_23onesweep_lookback_stateEbbT6_jjT7_P12ihipStream_tbENKUlT_T0_SN_SS_E_clISG_PjSI_PS9_EEDaS16_S17_SN_SS_EUlS16_E_NS1_11comp_targetILNS1_3genE9ELNS1_11target_archE1100ELNS1_3gpuE3ELNS1_3repE0EEENS1_47radix_sort_onesweep_sort_config_static_selectorELNS0_4arch9wavefront6targetE0EEEvSN_
; %bb.0:
	.section	.rodata,"a",@progbits
	.p2align	6, 0x0
	.amdhsa_kernel _ZN7rocprim17ROCPRIM_400000_NS6detail17trampoline_kernelINS0_14default_configENS1_35radix_sort_onesweep_config_selectorIjN6thrust23THRUST_200600_302600_NS5tupleIffNS6_9null_typeES8_S8_S8_S8_S8_S8_S8_EEEEZZNS1_29radix_sort_onesweep_iterationIS3_Lb0ENS6_6detail15normal_iteratorINS6_10device_ptrIjEEEESG_NSD_INSE_IS9_EEEESI_jNS0_19identity_decomposerENS1_16block_id_wrapperIjLb0EEEEE10hipError_tT1_PNSt15iterator_traitsISN_E10value_typeET2_T3_PNSO_IST_E10value_typeET4_T5_PSY_SZ_PNS1_23onesweep_lookback_stateEbbT6_jjT7_P12ihipStream_tbENKUlT_T0_SN_SS_E_clISG_PjSI_PS9_EEDaS16_S17_SN_SS_EUlS16_E_NS1_11comp_targetILNS1_3genE9ELNS1_11target_archE1100ELNS1_3gpuE3ELNS1_3repE0EEENS1_47radix_sort_onesweep_sort_config_static_selectorELNS0_4arch9wavefront6targetE0EEEvSN_
		.amdhsa_group_segment_fixed_size 0
		.amdhsa_private_segment_fixed_size 0
		.amdhsa_kernarg_size 88
		.amdhsa_user_sgpr_count 2
		.amdhsa_user_sgpr_dispatch_ptr 0
		.amdhsa_user_sgpr_queue_ptr 0
		.amdhsa_user_sgpr_kernarg_segment_ptr 1
		.amdhsa_user_sgpr_dispatch_id 0
		.amdhsa_user_sgpr_kernarg_preload_length 0
		.amdhsa_user_sgpr_kernarg_preload_offset 0
		.amdhsa_user_sgpr_private_segment_size 0
		.amdhsa_wavefront_size32 1
		.amdhsa_uses_dynamic_stack 0
		.amdhsa_enable_private_segment 0
		.amdhsa_system_sgpr_workgroup_id_x 1
		.amdhsa_system_sgpr_workgroup_id_y 0
		.amdhsa_system_sgpr_workgroup_id_z 0
		.amdhsa_system_sgpr_workgroup_info 0
		.amdhsa_system_vgpr_workitem_id 0
		.amdhsa_next_free_vgpr 1
		.amdhsa_next_free_sgpr 1
		.amdhsa_named_barrier_count 0
		.amdhsa_reserve_vcc 0
		.amdhsa_float_round_mode_32 0
		.amdhsa_float_round_mode_16_64 0
		.amdhsa_float_denorm_mode_32 3
		.amdhsa_float_denorm_mode_16_64 3
		.amdhsa_fp16_overflow 0
		.amdhsa_memory_ordered 1
		.amdhsa_forward_progress 1
		.amdhsa_inst_pref_size 0
		.amdhsa_round_robin_scheduling 0
		.amdhsa_exception_fp_ieee_invalid_op 0
		.amdhsa_exception_fp_denorm_src 0
		.amdhsa_exception_fp_ieee_div_zero 0
		.amdhsa_exception_fp_ieee_overflow 0
		.amdhsa_exception_fp_ieee_underflow 0
		.amdhsa_exception_fp_ieee_inexact 0
		.amdhsa_exception_int_div_zero 0
	.end_amdhsa_kernel
	.section	.text._ZN7rocprim17ROCPRIM_400000_NS6detail17trampoline_kernelINS0_14default_configENS1_35radix_sort_onesweep_config_selectorIjN6thrust23THRUST_200600_302600_NS5tupleIffNS6_9null_typeES8_S8_S8_S8_S8_S8_S8_EEEEZZNS1_29radix_sort_onesweep_iterationIS3_Lb0ENS6_6detail15normal_iteratorINS6_10device_ptrIjEEEESG_NSD_INSE_IS9_EEEESI_jNS0_19identity_decomposerENS1_16block_id_wrapperIjLb0EEEEE10hipError_tT1_PNSt15iterator_traitsISN_E10value_typeET2_T3_PNSO_IST_E10value_typeET4_T5_PSY_SZ_PNS1_23onesweep_lookback_stateEbbT6_jjT7_P12ihipStream_tbENKUlT_T0_SN_SS_E_clISG_PjSI_PS9_EEDaS16_S17_SN_SS_EUlS16_E_NS1_11comp_targetILNS1_3genE9ELNS1_11target_archE1100ELNS1_3gpuE3ELNS1_3repE0EEENS1_47radix_sort_onesweep_sort_config_static_selectorELNS0_4arch9wavefront6targetE0EEEvSN_,"axG",@progbits,_ZN7rocprim17ROCPRIM_400000_NS6detail17trampoline_kernelINS0_14default_configENS1_35radix_sort_onesweep_config_selectorIjN6thrust23THRUST_200600_302600_NS5tupleIffNS6_9null_typeES8_S8_S8_S8_S8_S8_S8_EEEEZZNS1_29radix_sort_onesweep_iterationIS3_Lb0ENS6_6detail15normal_iteratorINS6_10device_ptrIjEEEESG_NSD_INSE_IS9_EEEESI_jNS0_19identity_decomposerENS1_16block_id_wrapperIjLb0EEEEE10hipError_tT1_PNSt15iterator_traitsISN_E10value_typeET2_T3_PNSO_IST_E10value_typeET4_T5_PSY_SZ_PNS1_23onesweep_lookback_stateEbbT6_jjT7_P12ihipStream_tbENKUlT_T0_SN_SS_E_clISG_PjSI_PS9_EEDaS16_S17_SN_SS_EUlS16_E_NS1_11comp_targetILNS1_3genE9ELNS1_11target_archE1100ELNS1_3gpuE3ELNS1_3repE0EEENS1_47radix_sort_onesweep_sort_config_static_selectorELNS0_4arch9wavefront6targetE0EEEvSN_,comdat
.Lfunc_end218:
	.size	_ZN7rocprim17ROCPRIM_400000_NS6detail17trampoline_kernelINS0_14default_configENS1_35radix_sort_onesweep_config_selectorIjN6thrust23THRUST_200600_302600_NS5tupleIffNS6_9null_typeES8_S8_S8_S8_S8_S8_S8_EEEEZZNS1_29radix_sort_onesweep_iterationIS3_Lb0ENS6_6detail15normal_iteratorINS6_10device_ptrIjEEEESG_NSD_INSE_IS9_EEEESI_jNS0_19identity_decomposerENS1_16block_id_wrapperIjLb0EEEEE10hipError_tT1_PNSt15iterator_traitsISN_E10value_typeET2_T3_PNSO_IST_E10value_typeET4_T5_PSY_SZ_PNS1_23onesweep_lookback_stateEbbT6_jjT7_P12ihipStream_tbENKUlT_T0_SN_SS_E_clISG_PjSI_PS9_EEDaS16_S17_SN_SS_EUlS16_E_NS1_11comp_targetILNS1_3genE9ELNS1_11target_archE1100ELNS1_3gpuE3ELNS1_3repE0EEENS1_47radix_sort_onesweep_sort_config_static_selectorELNS0_4arch9wavefront6targetE0EEEvSN_, .Lfunc_end218-_ZN7rocprim17ROCPRIM_400000_NS6detail17trampoline_kernelINS0_14default_configENS1_35radix_sort_onesweep_config_selectorIjN6thrust23THRUST_200600_302600_NS5tupleIffNS6_9null_typeES8_S8_S8_S8_S8_S8_S8_EEEEZZNS1_29radix_sort_onesweep_iterationIS3_Lb0ENS6_6detail15normal_iteratorINS6_10device_ptrIjEEEESG_NSD_INSE_IS9_EEEESI_jNS0_19identity_decomposerENS1_16block_id_wrapperIjLb0EEEEE10hipError_tT1_PNSt15iterator_traitsISN_E10value_typeET2_T3_PNSO_IST_E10value_typeET4_T5_PSY_SZ_PNS1_23onesweep_lookback_stateEbbT6_jjT7_P12ihipStream_tbENKUlT_T0_SN_SS_E_clISG_PjSI_PS9_EEDaS16_S17_SN_SS_EUlS16_E_NS1_11comp_targetILNS1_3genE9ELNS1_11target_archE1100ELNS1_3gpuE3ELNS1_3repE0EEENS1_47radix_sort_onesweep_sort_config_static_selectorELNS0_4arch9wavefront6targetE0EEEvSN_
                                        ; -- End function
	.set _ZN7rocprim17ROCPRIM_400000_NS6detail17trampoline_kernelINS0_14default_configENS1_35radix_sort_onesweep_config_selectorIjN6thrust23THRUST_200600_302600_NS5tupleIffNS6_9null_typeES8_S8_S8_S8_S8_S8_S8_EEEEZZNS1_29radix_sort_onesweep_iterationIS3_Lb0ENS6_6detail15normal_iteratorINS6_10device_ptrIjEEEESG_NSD_INSE_IS9_EEEESI_jNS0_19identity_decomposerENS1_16block_id_wrapperIjLb0EEEEE10hipError_tT1_PNSt15iterator_traitsISN_E10value_typeET2_T3_PNSO_IST_E10value_typeET4_T5_PSY_SZ_PNS1_23onesweep_lookback_stateEbbT6_jjT7_P12ihipStream_tbENKUlT_T0_SN_SS_E_clISG_PjSI_PS9_EEDaS16_S17_SN_SS_EUlS16_E_NS1_11comp_targetILNS1_3genE9ELNS1_11target_archE1100ELNS1_3gpuE3ELNS1_3repE0EEENS1_47radix_sort_onesweep_sort_config_static_selectorELNS0_4arch9wavefront6targetE0EEEvSN_.num_vgpr, 0
	.set _ZN7rocprim17ROCPRIM_400000_NS6detail17trampoline_kernelINS0_14default_configENS1_35radix_sort_onesweep_config_selectorIjN6thrust23THRUST_200600_302600_NS5tupleIffNS6_9null_typeES8_S8_S8_S8_S8_S8_S8_EEEEZZNS1_29radix_sort_onesweep_iterationIS3_Lb0ENS6_6detail15normal_iteratorINS6_10device_ptrIjEEEESG_NSD_INSE_IS9_EEEESI_jNS0_19identity_decomposerENS1_16block_id_wrapperIjLb0EEEEE10hipError_tT1_PNSt15iterator_traitsISN_E10value_typeET2_T3_PNSO_IST_E10value_typeET4_T5_PSY_SZ_PNS1_23onesweep_lookback_stateEbbT6_jjT7_P12ihipStream_tbENKUlT_T0_SN_SS_E_clISG_PjSI_PS9_EEDaS16_S17_SN_SS_EUlS16_E_NS1_11comp_targetILNS1_3genE9ELNS1_11target_archE1100ELNS1_3gpuE3ELNS1_3repE0EEENS1_47radix_sort_onesweep_sort_config_static_selectorELNS0_4arch9wavefront6targetE0EEEvSN_.num_agpr, 0
	.set _ZN7rocprim17ROCPRIM_400000_NS6detail17trampoline_kernelINS0_14default_configENS1_35radix_sort_onesweep_config_selectorIjN6thrust23THRUST_200600_302600_NS5tupleIffNS6_9null_typeES8_S8_S8_S8_S8_S8_S8_EEEEZZNS1_29radix_sort_onesweep_iterationIS3_Lb0ENS6_6detail15normal_iteratorINS6_10device_ptrIjEEEESG_NSD_INSE_IS9_EEEESI_jNS0_19identity_decomposerENS1_16block_id_wrapperIjLb0EEEEE10hipError_tT1_PNSt15iterator_traitsISN_E10value_typeET2_T3_PNSO_IST_E10value_typeET4_T5_PSY_SZ_PNS1_23onesweep_lookback_stateEbbT6_jjT7_P12ihipStream_tbENKUlT_T0_SN_SS_E_clISG_PjSI_PS9_EEDaS16_S17_SN_SS_EUlS16_E_NS1_11comp_targetILNS1_3genE9ELNS1_11target_archE1100ELNS1_3gpuE3ELNS1_3repE0EEENS1_47radix_sort_onesweep_sort_config_static_selectorELNS0_4arch9wavefront6targetE0EEEvSN_.numbered_sgpr, 0
	.set _ZN7rocprim17ROCPRIM_400000_NS6detail17trampoline_kernelINS0_14default_configENS1_35radix_sort_onesweep_config_selectorIjN6thrust23THRUST_200600_302600_NS5tupleIffNS6_9null_typeES8_S8_S8_S8_S8_S8_S8_EEEEZZNS1_29radix_sort_onesweep_iterationIS3_Lb0ENS6_6detail15normal_iteratorINS6_10device_ptrIjEEEESG_NSD_INSE_IS9_EEEESI_jNS0_19identity_decomposerENS1_16block_id_wrapperIjLb0EEEEE10hipError_tT1_PNSt15iterator_traitsISN_E10value_typeET2_T3_PNSO_IST_E10value_typeET4_T5_PSY_SZ_PNS1_23onesweep_lookback_stateEbbT6_jjT7_P12ihipStream_tbENKUlT_T0_SN_SS_E_clISG_PjSI_PS9_EEDaS16_S17_SN_SS_EUlS16_E_NS1_11comp_targetILNS1_3genE9ELNS1_11target_archE1100ELNS1_3gpuE3ELNS1_3repE0EEENS1_47radix_sort_onesweep_sort_config_static_selectorELNS0_4arch9wavefront6targetE0EEEvSN_.num_named_barrier, 0
	.set _ZN7rocprim17ROCPRIM_400000_NS6detail17trampoline_kernelINS0_14default_configENS1_35radix_sort_onesweep_config_selectorIjN6thrust23THRUST_200600_302600_NS5tupleIffNS6_9null_typeES8_S8_S8_S8_S8_S8_S8_EEEEZZNS1_29radix_sort_onesweep_iterationIS3_Lb0ENS6_6detail15normal_iteratorINS6_10device_ptrIjEEEESG_NSD_INSE_IS9_EEEESI_jNS0_19identity_decomposerENS1_16block_id_wrapperIjLb0EEEEE10hipError_tT1_PNSt15iterator_traitsISN_E10value_typeET2_T3_PNSO_IST_E10value_typeET4_T5_PSY_SZ_PNS1_23onesweep_lookback_stateEbbT6_jjT7_P12ihipStream_tbENKUlT_T0_SN_SS_E_clISG_PjSI_PS9_EEDaS16_S17_SN_SS_EUlS16_E_NS1_11comp_targetILNS1_3genE9ELNS1_11target_archE1100ELNS1_3gpuE3ELNS1_3repE0EEENS1_47radix_sort_onesweep_sort_config_static_selectorELNS0_4arch9wavefront6targetE0EEEvSN_.private_seg_size, 0
	.set _ZN7rocprim17ROCPRIM_400000_NS6detail17trampoline_kernelINS0_14default_configENS1_35radix_sort_onesweep_config_selectorIjN6thrust23THRUST_200600_302600_NS5tupleIffNS6_9null_typeES8_S8_S8_S8_S8_S8_S8_EEEEZZNS1_29radix_sort_onesweep_iterationIS3_Lb0ENS6_6detail15normal_iteratorINS6_10device_ptrIjEEEESG_NSD_INSE_IS9_EEEESI_jNS0_19identity_decomposerENS1_16block_id_wrapperIjLb0EEEEE10hipError_tT1_PNSt15iterator_traitsISN_E10value_typeET2_T3_PNSO_IST_E10value_typeET4_T5_PSY_SZ_PNS1_23onesweep_lookback_stateEbbT6_jjT7_P12ihipStream_tbENKUlT_T0_SN_SS_E_clISG_PjSI_PS9_EEDaS16_S17_SN_SS_EUlS16_E_NS1_11comp_targetILNS1_3genE9ELNS1_11target_archE1100ELNS1_3gpuE3ELNS1_3repE0EEENS1_47radix_sort_onesweep_sort_config_static_selectorELNS0_4arch9wavefront6targetE0EEEvSN_.uses_vcc, 0
	.set _ZN7rocprim17ROCPRIM_400000_NS6detail17trampoline_kernelINS0_14default_configENS1_35radix_sort_onesweep_config_selectorIjN6thrust23THRUST_200600_302600_NS5tupleIffNS6_9null_typeES8_S8_S8_S8_S8_S8_S8_EEEEZZNS1_29radix_sort_onesweep_iterationIS3_Lb0ENS6_6detail15normal_iteratorINS6_10device_ptrIjEEEESG_NSD_INSE_IS9_EEEESI_jNS0_19identity_decomposerENS1_16block_id_wrapperIjLb0EEEEE10hipError_tT1_PNSt15iterator_traitsISN_E10value_typeET2_T3_PNSO_IST_E10value_typeET4_T5_PSY_SZ_PNS1_23onesweep_lookback_stateEbbT6_jjT7_P12ihipStream_tbENKUlT_T0_SN_SS_E_clISG_PjSI_PS9_EEDaS16_S17_SN_SS_EUlS16_E_NS1_11comp_targetILNS1_3genE9ELNS1_11target_archE1100ELNS1_3gpuE3ELNS1_3repE0EEENS1_47radix_sort_onesweep_sort_config_static_selectorELNS0_4arch9wavefront6targetE0EEEvSN_.uses_flat_scratch, 0
	.set _ZN7rocprim17ROCPRIM_400000_NS6detail17trampoline_kernelINS0_14default_configENS1_35radix_sort_onesweep_config_selectorIjN6thrust23THRUST_200600_302600_NS5tupleIffNS6_9null_typeES8_S8_S8_S8_S8_S8_S8_EEEEZZNS1_29radix_sort_onesweep_iterationIS3_Lb0ENS6_6detail15normal_iteratorINS6_10device_ptrIjEEEESG_NSD_INSE_IS9_EEEESI_jNS0_19identity_decomposerENS1_16block_id_wrapperIjLb0EEEEE10hipError_tT1_PNSt15iterator_traitsISN_E10value_typeET2_T3_PNSO_IST_E10value_typeET4_T5_PSY_SZ_PNS1_23onesweep_lookback_stateEbbT6_jjT7_P12ihipStream_tbENKUlT_T0_SN_SS_E_clISG_PjSI_PS9_EEDaS16_S17_SN_SS_EUlS16_E_NS1_11comp_targetILNS1_3genE9ELNS1_11target_archE1100ELNS1_3gpuE3ELNS1_3repE0EEENS1_47radix_sort_onesweep_sort_config_static_selectorELNS0_4arch9wavefront6targetE0EEEvSN_.has_dyn_sized_stack, 0
	.set _ZN7rocprim17ROCPRIM_400000_NS6detail17trampoline_kernelINS0_14default_configENS1_35radix_sort_onesweep_config_selectorIjN6thrust23THRUST_200600_302600_NS5tupleIffNS6_9null_typeES8_S8_S8_S8_S8_S8_S8_EEEEZZNS1_29radix_sort_onesweep_iterationIS3_Lb0ENS6_6detail15normal_iteratorINS6_10device_ptrIjEEEESG_NSD_INSE_IS9_EEEESI_jNS0_19identity_decomposerENS1_16block_id_wrapperIjLb0EEEEE10hipError_tT1_PNSt15iterator_traitsISN_E10value_typeET2_T3_PNSO_IST_E10value_typeET4_T5_PSY_SZ_PNS1_23onesweep_lookback_stateEbbT6_jjT7_P12ihipStream_tbENKUlT_T0_SN_SS_E_clISG_PjSI_PS9_EEDaS16_S17_SN_SS_EUlS16_E_NS1_11comp_targetILNS1_3genE9ELNS1_11target_archE1100ELNS1_3gpuE3ELNS1_3repE0EEENS1_47radix_sort_onesweep_sort_config_static_selectorELNS0_4arch9wavefront6targetE0EEEvSN_.has_recursion, 0
	.set _ZN7rocprim17ROCPRIM_400000_NS6detail17trampoline_kernelINS0_14default_configENS1_35radix_sort_onesweep_config_selectorIjN6thrust23THRUST_200600_302600_NS5tupleIffNS6_9null_typeES8_S8_S8_S8_S8_S8_S8_EEEEZZNS1_29radix_sort_onesweep_iterationIS3_Lb0ENS6_6detail15normal_iteratorINS6_10device_ptrIjEEEESG_NSD_INSE_IS9_EEEESI_jNS0_19identity_decomposerENS1_16block_id_wrapperIjLb0EEEEE10hipError_tT1_PNSt15iterator_traitsISN_E10value_typeET2_T3_PNSO_IST_E10value_typeET4_T5_PSY_SZ_PNS1_23onesweep_lookback_stateEbbT6_jjT7_P12ihipStream_tbENKUlT_T0_SN_SS_E_clISG_PjSI_PS9_EEDaS16_S17_SN_SS_EUlS16_E_NS1_11comp_targetILNS1_3genE9ELNS1_11target_archE1100ELNS1_3gpuE3ELNS1_3repE0EEENS1_47radix_sort_onesweep_sort_config_static_selectorELNS0_4arch9wavefront6targetE0EEEvSN_.has_indirect_call, 0
	.section	.AMDGPU.csdata,"",@progbits
; Kernel info:
; codeLenInByte = 0
; TotalNumSgprs: 0
; NumVgprs: 0
; ScratchSize: 0
; MemoryBound: 0
; FloatMode: 240
; IeeeMode: 1
; LDSByteSize: 0 bytes/workgroup (compile time only)
; SGPRBlocks: 0
; VGPRBlocks: 0
; NumSGPRsForWavesPerEU: 1
; NumVGPRsForWavesPerEU: 1
; NamedBarCnt: 0
; Occupancy: 16
; WaveLimiterHint : 0
; COMPUTE_PGM_RSRC2:SCRATCH_EN: 0
; COMPUTE_PGM_RSRC2:USER_SGPR: 2
; COMPUTE_PGM_RSRC2:TRAP_HANDLER: 0
; COMPUTE_PGM_RSRC2:TGID_X_EN: 1
; COMPUTE_PGM_RSRC2:TGID_Y_EN: 0
; COMPUTE_PGM_RSRC2:TGID_Z_EN: 0
; COMPUTE_PGM_RSRC2:TIDIG_COMP_CNT: 0
	.section	.text._ZN7rocprim17ROCPRIM_400000_NS6detail17trampoline_kernelINS0_14default_configENS1_35radix_sort_onesweep_config_selectorIjN6thrust23THRUST_200600_302600_NS5tupleIffNS6_9null_typeES8_S8_S8_S8_S8_S8_S8_EEEEZZNS1_29radix_sort_onesweep_iterationIS3_Lb0ENS6_6detail15normal_iteratorINS6_10device_ptrIjEEEESG_NSD_INSE_IS9_EEEESI_jNS0_19identity_decomposerENS1_16block_id_wrapperIjLb0EEEEE10hipError_tT1_PNSt15iterator_traitsISN_E10value_typeET2_T3_PNSO_IST_E10value_typeET4_T5_PSY_SZ_PNS1_23onesweep_lookback_stateEbbT6_jjT7_P12ihipStream_tbENKUlT_T0_SN_SS_E_clISG_PjSI_PS9_EEDaS16_S17_SN_SS_EUlS16_E_NS1_11comp_targetILNS1_3genE8ELNS1_11target_archE1030ELNS1_3gpuE2ELNS1_3repE0EEENS1_47radix_sort_onesweep_sort_config_static_selectorELNS0_4arch9wavefront6targetE0EEEvSN_,"axG",@progbits,_ZN7rocprim17ROCPRIM_400000_NS6detail17trampoline_kernelINS0_14default_configENS1_35radix_sort_onesweep_config_selectorIjN6thrust23THRUST_200600_302600_NS5tupleIffNS6_9null_typeES8_S8_S8_S8_S8_S8_S8_EEEEZZNS1_29radix_sort_onesweep_iterationIS3_Lb0ENS6_6detail15normal_iteratorINS6_10device_ptrIjEEEESG_NSD_INSE_IS9_EEEESI_jNS0_19identity_decomposerENS1_16block_id_wrapperIjLb0EEEEE10hipError_tT1_PNSt15iterator_traitsISN_E10value_typeET2_T3_PNSO_IST_E10value_typeET4_T5_PSY_SZ_PNS1_23onesweep_lookback_stateEbbT6_jjT7_P12ihipStream_tbENKUlT_T0_SN_SS_E_clISG_PjSI_PS9_EEDaS16_S17_SN_SS_EUlS16_E_NS1_11comp_targetILNS1_3genE8ELNS1_11target_archE1030ELNS1_3gpuE2ELNS1_3repE0EEENS1_47radix_sort_onesweep_sort_config_static_selectorELNS0_4arch9wavefront6targetE0EEEvSN_,comdat
	.protected	_ZN7rocprim17ROCPRIM_400000_NS6detail17trampoline_kernelINS0_14default_configENS1_35radix_sort_onesweep_config_selectorIjN6thrust23THRUST_200600_302600_NS5tupleIffNS6_9null_typeES8_S8_S8_S8_S8_S8_S8_EEEEZZNS1_29radix_sort_onesweep_iterationIS3_Lb0ENS6_6detail15normal_iteratorINS6_10device_ptrIjEEEESG_NSD_INSE_IS9_EEEESI_jNS0_19identity_decomposerENS1_16block_id_wrapperIjLb0EEEEE10hipError_tT1_PNSt15iterator_traitsISN_E10value_typeET2_T3_PNSO_IST_E10value_typeET4_T5_PSY_SZ_PNS1_23onesweep_lookback_stateEbbT6_jjT7_P12ihipStream_tbENKUlT_T0_SN_SS_E_clISG_PjSI_PS9_EEDaS16_S17_SN_SS_EUlS16_E_NS1_11comp_targetILNS1_3genE8ELNS1_11target_archE1030ELNS1_3gpuE2ELNS1_3repE0EEENS1_47radix_sort_onesweep_sort_config_static_selectorELNS0_4arch9wavefront6targetE0EEEvSN_ ; -- Begin function _ZN7rocprim17ROCPRIM_400000_NS6detail17trampoline_kernelINS0_14default_configENS1_35radix_sort_onesweep_config_selectorIjN6thrust23THRUST_200600_302600_NS5tupleIffNS6_9null_typeES8_S8_S8_S8_S8_S8_S8_EEEEZZNS1_29radix_sort_onesweep_iterationIS3_Lb0ENS6_6detail15normal_iteratorINS6_10device_ptrIjEEEESG_NSD_INSE_IS9_EEEESI_jNS0_19identity_decomposerENS1_16block_id_wrapperIjLb0EEEEE10hipError_tT1_PNSt15iterator_traitsISN_E10value_typeET2_T3_PNSO_IST_E10value_typeET4_T5_PSY_SZ_PNS1_23onesweep_lookback_stateEbbT6_jjT7_P12ihipStream_tbENKUlT_T0_SN_SS_E_clISG_PjSI_PS9_EEDaS16_S17_SN_SS_EUlS16_E_NS1_11comp_targetILNS1_3genE8ELNS1_11target_archE1030ELNS1_3gpuE2ELNS1_3repE0EEENS1_47radix_sort_onesweep_sort_config_static_selectorELNS0_4arch9wavefront6targetE0EEEvSN_
	.globl	_ZN7rocprim17ROCPRIM_400000_NS6detail17trampoline_kernelINS0_14default_configENS1_35radix_sort_onesweep_config_selectorIjN6thrust23THRUST_200600_302600_NS5tupleIffNS6_9null_typeES8_S8_S8_S8_S8_S8_S8_EEEEZZNS1_29radix_sort_onesweep_iterationIS3_Lb0ENS6_6detail15normal_iteratorINS6_10device_ptrIjEEEESG_NSD_INSE_IS9_EEEESI_jNS0_19identity_decomposerENS1_16block_id_wrapperIjLb0EEEEE10hipError_tT1_PNSt15iterator_traitsISN_E10value_typeET2_T3_PNSO_IST_E10value_typeET4_T5_PSY_SZ_PNS1_23onesweep_lookback_stateEbbT6_jjT7_P12ihipStream_tbENKUlT_T0_SN_SS_E_clISG_PjSI_PS9_EEDaS16_S17_SN_SS_EUlS16_E_NS1_11comp_targetILNS1_3genE8ELNS1_11target_archE1030ELNS1_3gpuE2ELNS1_3repE0EEENS1_47radix_sort_onesweep_sort_config_static_selectorELNS0_4arch9wavefront6targetE0EEEvSN_
	.p2align	8
	.type	_ZN7rocprim17ROCPRIM_400000_NS6detail17trampoline_kernelINS0_14default_configENS1_35radix_sort_onesweep_config_selectorIjN6thrust23THRUST_200600_302600_NS5tupleIffNS6_9null_typeES8_S8_S8_S8_S8_S8_S8_EEEEZZNS1_29radix_sort_onesweep_iterationIS3_Lb0ENS6_6detail15normal_iteratorINS6_10device_ptrIjEEEESG_NSD_INSE_IS9_EEEESI_jNS0_19identity_decomposerENS1_16block_id_wrapperIjLb0EEEEE10hipError_tT1_PNSt15iterator_traitsISN_E10value_typeET2_T3_PNSO_IST_E10value_typeET4_T5_PSY_SZ_PNS1_23onesweep_lookback_stateEbbT6_jjT7_P12ihipStream_tbENKUlT_T0_SN_SS_E_clISG_PjSI_PS9_EEDaS16_S17_SN_SS_EUlS16_E_NS1_11comp_targetILNS1_3genE8ELNS1_11target_archE1030ELNS1_3gpuE2ELNS1_3repE0EEENS1_47radix_sort_onesweep_sort_config_static_selectorELNS0_4arch9wavefront6targetE0EEEvSN_,@function
_ZN7rocprim17ROCPRIM_400000_NS6detail17trampoline_kernelINS0_14default_configENS1_35radix_sort_onesweep_config_selectorIjN6thrust23THRUST_200600_302600_NS5tupleIffNS6_9null_typeES8_S8_S8_S8_S8_S8_S8_EEEEZZNS1_29radix_sort_onesweep_iterationIS3_Lb0ENS6_6detail15normal_iteratorINS6_10device_ptrIjEEEESG_NSD_INSE_IS9_EEEESI_jNS0_19identity_decomposerENS1_16block_id_wrapperIjLb0EEEEE10hipError_tT1_PNSt15iterator_traitsISN_E10value_typeET2_T3_PNSO_IST_E10value_typeET4_T5_PSY_SZ_PNS1_23onesweep_lookback_stateEbbT6_jjT7_P12ihipStream_tbENKUlT_T0_SN_SS_E_clISG_PjSI_PS9_EEDaS16_S17_SN_SS_EUlS16_E_NS1_11comp_targetILNS1_3genE8ELNS1_11target_archE1030ELNS1_3gpuE2ELNS1_3repE0EEENS1_47radix_sort_onesweep_sort_config_static_selectorELNS0_4arch9wavefront6targetE0EEEvSN_: ; @_ZN7rocprim17ROCPRIM_400000_NS6detail17trampoline_kernelINS0_14default_configENS1_35radix_sort_onesweep_config_selectorIjN6thrust23THRUST_200600_302600_NS5tupleIffNS6_9null_typeES8_S8_S8_S8_S8_S8_S8_EEEEZZNS1_29radix_sort_onesweep_iterationIS3_Lb0ENS6_6detail15normal_iteratorINS6_10device_ptrIjEEEESG_NSD_INSE_IS9_EEEESI_jNS0_19identity_decomposerENS1_16block_id_wrapperIjLb0EEEEE10hipError_tT1_PNSt15iterator_traitsISN_E10value_typeET2_T3_PNSO_IST_E10value_typeET4_T5_PSY_SZ_PNS1_23onesweep_lookback_stateEbbT6_jjT7_P12ihipStream_tbENKUlT_T0_SN_SS_E_clISG_PjSI_PS9_EEDaS16_S17_SN_SS_EUlS16_E_NS1_11comp_targetILNS1_3genE8ELNS1_11target_archE1030ELNS1_3gpuE2ELNS1_3repE0EEENS1_47radix_sort_onesweep_sort_config_static_selectorELNS0_4arch9wavefront6targetE0EEEvSN_
; %bb.0:
	.section	.rodata,"a",@progbits
	.p2align	6, 0x0
	.amdhsa_kernel _ZN7rocprim17ROCPRIM_400000_NS6detail17trampoline_kernelINS0_14default_configENS1_35radix_sort_onesweep_config_selectorIjN6thrust23THRUST_200600_302600_NS5tupleIffNS6_9null_typeES8_S8_S8_S8_S8_S8_S8_EEEEZZNS1_29radix_sort_onesweep_iterationIS3_Lb0ENS6_6detail15normal_iteratorINS6_10device_ptrIjEEEESG_NSD_INSE_IS9_EEEESI_jNS0_19identity_decomposerENS1_16block_id_wrapperIjLb0EEEEE10hipError_tT1_PNSt15iterator_traitsISN_E10value_typeET2_T3_PNSO_IST_E10value_typeET4_T5_PSY_SZ_PNS1_23onesweep_lookback_stateEbbT6_jjT7_P12ihipStream_tbENKUlT_T0_SN_SS_E_clISG_PjSI_PS9_EEDaS16_S17_SN_SS_EUlS16_E_NS1_11comp_targetILNS1_3genE8ELNS1_11target_archE1030ELNS1_3gpuE2ELNS1_3repE0EEENS1_47radix_sort_onesweep_sort_config_static_selectorELNS0_4arch9wavefront6targetE0EEEvSN_
		.amdhsa_group_segment_fixed_size 0
		.amdhsa_private_segment_fixed_size 0
		.amdhsa_kernarg_size 88
		.amdhsa_user_sgpr_count 2
		.amdhsa_user_sgpr_dispatch_ptr 0
		.amdhsa_user_sgpr_queue_ptr 0
		.amdhsa_user_sgpr_kernarg_segment_ptr 1
		.amdhsa_user_sgpr_dispatch_id 0
		.amdhsa_user_sgpr_kernarg_preload_length 0
		.amdhsa_user_sgpr_kernarg_preload_offset 0
		.amdhsa_user_sgpr_private_segment_size 0
		.amdhsa_wavefront_size32 1
		.amdhsa_uses_dynamic_stack 0
		.amdhsa_enable_private_segment 0
		.amdhsa_system_sgpr_workgroup_id_x 1
		.amdhsa_system_sgpr_workgroup_id_y 0
		.amdhsa_system_sgpr_workgroup_id_z 0
		.amdhsa_system_sgpr_workgroup_info 0
		.amdhsa_system_vgpr_workitem_id 0
		.amdhsa_next_free_vgpr 1
		.amdhsa_next_free_sgpr 1
		.amdhsa_named_barrier_count 0
		.amdhsa_reserve_vcc 0
		.amdhsa_float_round_mode_32 0
		.amdhsa_float_round_mode_16_64 0
		.amdhsa_float_denorm_mode_32 3
		.amdhsa_float_denorm_mode_16_64 3
		.amdhsa_fp16_overflow 0
		.amdhsa_memory_ordered 1
		.amdhsa_forward_progress 1
		.amdhsa_inst_pref_size 0
		.amdhsa_round_robin_scheduling 0
		.amdhsa_exception_fp_ieee_invalid_op 0
		.amdhsa_exception_fp_denorm_src 0
		.amdhsa_exception_fp_ieee_div_zero 0
		.amdhsa_exception_fp_ieee_overflow 0
		.amdhsa_exception_fp_ieee_underflow 0
		.amdhsa_exception_fp_ieee_inexact 0
		.amdhsa_exception_int_div_zero 0
	.end_amdhsa_kernel
	.section	.text._ZN7rocprim17ROCPRIM_400000_NS6detail17trampoline_kernelINS0_14default_configENS1_35radix_sort_onesweep_config_selectorIjN6thrust23THRUST_200600_302600_NS5tupleIffNS6_9null_typeES8_S8_S8_S8_S8_S8_S8_EEEEZZNS1_29radix_sort_onesweep_iterationIS3_Lb0ENS6_6detail15normal_iteratorINS6_10device_ptrIjEEEESG_NSD_INSE_IS9_EEEESI_jNS0_19identity_decomposerENS1_16block_id_wrapperIjLb0EEEEE10hipError_tT1_PNSt15iterator_traitsISN_E10value_typeET2_T3_PNSO_IST_E10value_typeET4_T5_PSY_SZ_PNS1_23onesweep_lookback_stateEbbT6_jjT7_P12ihipStream_tbENKUlT_T0_SN_SS_E_clISG_PjSI_PS9_EEDaS16_S17_SN_SS_EUlS16_E_NS1_11comp_targetILNS1_3genE8ELNS1_11target_archE1030ELNS1_3gpuE2ELNS1_3repE0EEENS1_47radix_sort_onesweep_sort_config_static_selectorELNS0_4arch9wavefront6targetE0EEEvSN_,"axG",@progbits,_ZN7rocprim17ROCPRIM_400000_NS6detail17trampoline_kernelINS0_14default_configENS1_35radix_sort_onesweep_config_selectorIjN6thrust23THRUST_200600_302600_NS5tupleIffNS6_9null_typeES8_S8_S8_S8_S8_S8_S8_EEEEZZNS1_29radix_sort_onesweep_iterationIS3_Lb0ENS6_6detail15normal_iteratorINS6_10device_ptrIjEEEESG_NSD_INSE_IS9_EEEESI_jNS0_19identity_decomposerENS1_16block_id_wrapperIjLb0EEEEE10hipError_tT1_PNSt15iterator_traitsISN_E10value_typeET2_T3_PNSO_IST_E10value_typeET4_T5_PSY_SZ_PNS1_23onesweep_lookback_stateEbbT6_jjT7_P12ihipStream_tbENKUlT_T0_SN_SS_E_clISG_PjSI_PS9_EEDaS16_S17_SN_SS_EUlS16_E_NS1_11comp_targetILNS1_3genE8ELNS1_11target_archE1030ELNS1_3gpuE2ELNS1_3repE0EEENS1_47radix_sort_onesweep_sort_config_static_selectorELNS0_4arch9wavefront6targetE0EEEvSN_,comdat
.Lfunc_end219:
	.size	_ZN7rocprim17ROCPRIM_400000_NS6detail17trampoline_kernelINS0_14default_configENS1_35radix_sort_onesweep_config_selectorIjN6thrust23THRUST_200600_302600_NS5tupleIffNS6_9null_typeES8_S8_S8_S8_S8_S8_S8_EEEEZZNS1_29radix_sort_onesweep_iterationIS3_Lb0ENS6_6detail15normal_iteratorINS6_10device_ptrIjEEEESG_NSD_INSE_IS9_EEEESI_jNS0_19identity_decomposerENS1_16block_id_wrapperIjLb0EEEEE10hipError_tT1_PNSt15iterator_traitsISN_E10value_typeET2_T3_PNSO_IST_E10value_typeET4_T5_PSY_SZ_PNS1_23onesweep_lookback_stateEbbT6_jjT7_P12ihipStream_tbENKUlT_T0_SN_SS_E_clISG_PjSI_PS9_EEDaS16_S17_SN_SS_EUlS16_E_NS1_11comp_targetILNS1_3genE8ELNS1_11target_archE1030ELNS1_3gpuE2ELNS1_3repE0EEENS1_47radix_sort_onesweep_sort_config_static_selectorELNS0_4arch9wavefront6targetE0EEEvSN_, .Lfunc_end219-_ZN7rocprim17ROCPRIM_400000_NS6detail17trampoline_kernelINS0_14default_configENS1_35radix_sort_onesweep_config_selectorIjN6thrust23THRUST_200600_302600_NS5tupleIffNS6_9null_typeES8_S8_S8_S8_S8_S8_S8_EEEEZZNS1_29radix_sort_onesweep_iterationIS3_Lb0ENS6_6detail15normal_iteratorINS6_10device_ptrIjEEEESG_NSD_INSE_IS9_EEEESI_jNS0_19identity_decomposerENS1_16block_id_wrapperIjLb0EEEEE10hipError_tT1_PNSt15iterator_traitsISN_E10value_typeET2_T3_PNSO_IST_E10value_typeET4_T5_PSY_SZ_PNS1_23onesweep_lookback_stateEbbT6_jjT7_P12ihipStream_tbENKUlT_T0_SN_SS_E_clISG_PjSI_PS9_EEDaS16_S17_SN_SS_EUlS16_E_NS1_11comp_targetILNS1_3genE8ELNS1_11target_archE1030ELNS1_3gpuE2ELNS1_3repE0EEENS1_47radix_sort_onesweep_sort_config_static_selectorELNS0_4arch9wavefront6targetE0EEEvSN_
                                        ; -- End function
	.set _ZN7rocprim17ROCPRIM_400000_NS6detail17trampoline_kernelINS0_14default_configENS1_35radix_sort_onesweep_config_selectorIjN6thrust23THRUST_200600_302600_NS5tupleIffNS6_9null_typeES8_S8_S8_S8_S8_S8_S8_EEEEZZNS1_29radix_sort_onesweep_iterationIS3_Lb0ENS6_6detail15normal_iteratorINS6_10device_ptrIjEEEESG_NSD_INSE_IS9_EEEESI_jNS0_19identity_decomposerENS1_16block_id_wrapperIjLb0EEEEE10hipError_tT1_PNSt15iterator_traitsISN_E10value_typeET2_T3_PNSO_IST_E10value_typeET4_T5_PSY_SZ_PNS1_23onesweep_lookback_stateEbbT6_jjT7_P12ihipStream_tbENKUlT_T0_SN_SS_E_clISG_PjSI_PS9_EEDaS16_S17_SN_SS_EUlS16_E_NS1_11comp_targetILNS1_3genE8ELNS1_11target_archE1030ELNS1_3gpuE2ELNS1_3repE0EEENS1_47radix_sort_onesweep_sort_config_static_selectorELNS0_4arch9wavefront6targetE0EEEvSN_.num_vgpr, 0
	.set _ZN7rocprim17ROCPRIM_400000_NS6detail17trampoline_kernelINS0_14default_configENS1_35radix_sort_onesweep_config_selectorIjN6thrust23THRUST_200600_302600_NS5tupleIffNS6_9null_typeES8_S8_S8_S8_S8_S8_S8_EEEEZZNS1_29radix_sort_onesweep_iterationIS3_Lb0ENS6_6detail15normal_iteratorINS6_10device_ptrIjEEEESG_NSD_INSE_IS9_EEEESI_jNS0_19identity_decomposerENS1_16block_id_wrapperIjLb0EEEEE10hipError_tT1_PNSt15iterator_traitsISN_E10value_typeET2_T3_PNSO_IST_E10value_typeET4_T5_PSY_SZ_PNS1_23onesweep_lookback_stateEbbT6_jjT7_P12ihipStream_tbENKUlT_T0_SN_SS_E_clISG_PjSI_PS9_EEDaS16_S17_SN_SS_EUlS16_E_NS1_11comp_targetILNS1_3genE8ELNS1_11target_archE1030ELNS1_3gpuE2ELNS1_3repE0EEENS1_47radix_sort_onesweep_sort_config_static_selectorELNS0_4arch9wavefront6targetE0EEEvSN_.num_agpr, 0
	.set _ZN7rocprim17ROCPRIM_400000_NS6detail17trampoline_kernelINS0_14default_configENS1_35radix_sort_onesweep_config_selectorIjN6thrust23THRUST_200600_302600_NS5tupleIffNS6_9null_typeES8_S8_S8_S8_S8_S8_S8_EEEEZZNS1_29radix_sort_onesweep_iterationIS3_Lb0ENS6_6detail15normal_iteratorINS6_10device_ptrIjEEEESG_NSD_INSE_IS9_EEEESI_jNS0_19identity_decomposerENS1_16block_id_wrapperIjLb0EEEEE10hipError_tT1_PNSt15iterator_traitsISN_E10value_typeET2_T3_PNSO_IST_E10value_typeET4_T5_PSY_SZ_PNS1_23onesweep_lookback_stateEbbT6_jjT7_P12ihipStream_tbENKUlT_T0_SN_SS_E_clISG_PjSI_PS9_EEDaS16_S17_SN_SS_EUlS16_E_NS1_11comp_targetILNS1_3genE8ELNS1_11target_archE1030ELNS1_3gpuE2ELNS1_3repE0EEENS1_47radix_sort_onesweep_sort_config_static_selectorELNS0_4arch9wavefront6targetE0EEEvSN_.numbered_sgpr, 0
	.set _ZN7rocprim17ROCPRIM_400000_NS6detail17trampoline_kernelINS0_14default_configENS1_35radix_sort_onesweep_config_selectorIjN6thrust23THRUST_200600_302600_NS5tupleIffNS6_9null_typeES8_S8_S8_S8_S8_S8_S8_EEEEZZNS1_29radix_sort_onesweep_iterationIS3_Lb0ENS6_6detail15normal_iteratorINS6_10device_ptrIjEEEESG_NSD_INSE_IS9_EEEESI_jNS0_19identity_decomposerENS1_16block_id_wrapperIjLb0EEEEE10hipError_tT1_PNSt15iterator_traitsISN_E10value_typeET2_T3_PNSO_IST_E10value_typeET4_T5_PSY_SZ_PNS1_23onesweep_lookback_stateEbbT6_jjT7_P12ihipStream_tbENKUlT_T0_SN_SS_E_clISG_PjSI_PS9_EEDaS16_S17_SN_SS_EUlS16_E_NS1_11comp_targetILNS1_3genE8ELNS1_11target_archE1030ELNS1_3gpuE2ELNS1_3repE0EEENS1_47radix_sort_onesweep_sort_config_static_selectorELNS0_4arch9wavefront6targetE0EEEvSN_.num_named_barrier, 0
	.set _ZN7rocprim17ROCPRIM_400000_NS6detail17trampoline_kernelINS0_14default_configENS1_35radix_sort_onesweep_config_selectorIjN6thrust23THRUST_200600_302600_NS5tupleIffNS6_9null_typeES8_S8_S8_S8_S8_S8_S8_EEEEZZNS1_29radix_sort_onesweep_iterationIS3_Lb0ENS6_6detail15normal_iteratorINS6_10device_ptrIjEEEESG_NSD_INSE_IS9_EEEESI_jNS0_19identity_decomposerENS1_16block_id_wrapperIjLb0EEEEE10hipError_tT1_PNSt15iterator_traitsISN_E10value_typeET2_T3_PNSO_IST_E10value_typeET4_T5_PSY_SZ_PNS1_23onesweep_lookback_stateEbbT6_jjT7_P12ihipStream_tbENKUlT_T0_SN_SS_E_clISG_PjSI_PS9_EEDaS16_S17_SN_SS_EUlS16_E_NS1_11comp_targetILNS1_3genE8ELNS1_11target_archE1030ELNS1_3gpuE2ELNS1_3repE0EEENS1_47radix_sort_onesweep_sort_config_static_selectorELNS0_4arch9wavefront6targetE0EEEvSN_.private_seg_size, 0
	.set _ZN7rocprim17ROCPRIM_400000_NS6detail17trampoline_kernelINS0_14default_configENS1_35radix_sort_onesweep_config_selectorIjN6thrust23THRUST_200600_302600_NS5tupleIffNS6_9null_typeES8_S8_S8_S8_S8_S8_S8_EEEEZZNS1_29radix_sort_onesweep_iterationIS3_Lb0ENS6_6detail15normal_iteratorINS6_10device_ptrIjEEEESG_NSD_INSE_IS9_EEEESI_jNS0_19identity_decomposerENS1_16block_id_wrapperIjLb0EEEEE10hipError_tT1_PNSt15iterator_traitsISN_E10value_typeET2_T3_PNSO_IST_E10value_typeET4_T5_PSY_SZ_PNS1_23onesweep_lookback_stateEbbT6_jjT7_P12ihipStream_tbENKUlT_T0_SN_SS_E_clISG_PjSI_PS9_EEDaS16_S17_SN_SS_EUlS16_E_NS1_11comp_targetILNS1_3genE8ELNS1_11target_archE1030ELNS1_3gpuE2ELNS1_3repE0EEENS1_47radix_sort_onesweep_sort_config_static_selectorELNS0_4arch9wavefront6targetE0EEEvSN_.uses_vcc, 0
	.set _ZN7rocprim17ROCPRIM_400000_NS6detail17trampoline_kernelINS0_14default_configENS1_35radix_sort_onesweep_config_selectorIjN6thrust23THRUST_200600_302600_NS5tupleIffNS6_9null_typeES8_S8_S8_S8_S8_S8_S8_EEEEZZNS1_29radix_sort_onesweep_iterationIS3_Lb0ENS6_6detail15normal_iteratorINS6_10device_ptrIjEEEESG_NSD_INSE_IS9_EEEESI_jNS0_19identity_decomposerENS1_16block_id_wrapperIjLb0EEEEE10hipError_tT1_PNSt15iterator_traitsISN_E10value_typeET2_T3_PNSO_IST_E10value_typeET4_T5_PSY_SZ_PNS1_23onesweep_lookback_stateEbbT6_jjT7_P12ihipStream_tbENKUlT_T0_SN_SS_E_clISG_PjSI_PS9_EEDaS16_S17_SN_SS_EUlS16_E_NS1_11comp_targetILNS1_3genE8ELNS1_11target_archE1030ELNS1_3gpuE2ELNS1_3repE0EEENS1_47radix_sort_onesweep_sort_config_static_selectorELNS0_4arch9wavefront6targetE0EEEvSN_.uses_flat_scratch, 0
	.set _ZN7rocprim17ROCPRIM_400000_NS6detail17trampoline_kernelINS0_14default_configENS1_35radix_sort_onesweep_config_selectorIjN6thrust23THRUST_200600_302600_NS5tupleIffNS6_9null_typeES8_S8_S8_S8_S8_S8_S8_EEEEZZNS1_29radix_sort_onesweep_iterationIS3_Lb0ENS6_6detail15normal_iteratorINS6_10device_ptrIjEEEESG_NSD_INSE_IS9_EEEESI_jNS0_19identity_decomposerENS1_16block_id_wrapperIjLb0EEEEE10hipError_tT1_PNSt15iterator_traitsISN_E10value_typeET2_T3_PNSO_IST_E10value_typeET4_T5_PSY_SZ_PNS1_23onesweep_lookback_stateEbbT6_jjT7_P12ihipStream_tbENKUlT_T0_SN_SS_E_clISG_PjSI_PS9_EEDaS16_S17_SN_SS_EUlS16_E_NS1_11comp_targetILNS1_3genE8ELNS1_11target_archE1030ELNS1_3gpuE2ELNS1_3repE0EEENS1_47radix_sort_onesweep_sort_config_static_selectorELNS0_4arch9wavefront6targetE0EEEvSN_.has_dyn_sized_stack, 0
	.set _ZN7rocprim17ROCPRIM_400000_NS6detail17trampoline_kernelINS0_14default_configENS1_35radix_sort_onesweep_config_selectorIjN6thrust23THRUST_200600_302600_NS5tupleIffNS6_9null_typeES8_S8_S8_S8_S8_S8_S8_EEEEZZNS1_29radix_sort_onesweep_iterationIS3_Lb0ENS6_6detail15normal_iteratorINS6_10device_ptrIjEEEESG_NSD_INSE_IS9_EEEESI_jNS0_19identity_decomposerENS1_16block_id_wrapperIjLb0EEEEE10hipError_tT1_PNSt15iterator_traitsISN_E10value_typeET2_T3_PNSO_IST_E10value_typeET4_T5_PSY_SZ_PNS1_23onesweep_lookback_stateEbbT6_jjT7_P12ihipStream_tbENKUlT_T0_SN_SS_E_clISG_PjSI_PS9_EEDaS16_S17_SN_SS_EUlS16_E_NS1_11comp_targetILNS1_3genE8ELNS1_11target_archE1030ELNS1_3gpuE2ELNS1_3repE0EEENS1_47radix_sort_onesweep_sort_config_static_selectorELNS0_4arch9wavefront6targetE0EEEvSN_.has_recursion, 0
	.set _ZN7rocprim17ROCPRIM_400000_NS6detail17trampoline_kernelINS0_14default_configENS1_35radix_sort_onesweep_config_selectorIjN6thrust23THRUST_200600_302600_NS5tupleIffNS6_9null_typeES8_S8_S8_S8_S8_S8_S8_EEEEZZNS1_29radix_sort_onesweep_iterationIS3_Lb0ENS6_6detail15normal_iteratorINS6_10device_ptrIjEEEESG_NSD_INSE_IS9_EEEESI_jNS0_19identity_decomposerENS1_16block_id_wrapperIjLb0EEEEE10hipError_tT1_PNSt15iterator_traitsISN_E10value_typeET2_T3_PNSO_IST_E10value_typeET4_T5_PSY_SZ_PNS1_23onesweep_lookback_stateEbbT6_jjT7_P12ihipStream_tbENKUlT_T0_SN_SS_E_clISG_PjSI_PS9_EEDaS16_S17_SN_SS_EUlS16_E_NS1_11comp_targetILNS1_3genE8ELNS1_11target_archE1030ELNS1_3gpuE2ELNS1_3repE0EEENS1_47radix_sort_onesweep_sort_config_static_selectorELNS0_4arch9wavefront6targetE0EEEvSN_.has_indirect_call, 0
	.section	.AMDGPU.csdata,"",@progbits
; Kernel info:
; codeLenInByte = 0
; TotalNumSgprs: 0
; NumVgprs: 0
; ScratchSize: 0
; MemoryBound: 0
; FloatMode: 240
; IeeeMode: 1
; LDSByteSize: 0 bytes/workgroup (compile time only)
; SGPRBlocks: 0
; VGPRBlocks: 0
; NumSGPRsForWavesPerEU: 1
; NumVGPRsForWavesPerEU: 1
; NamedBarCnt: 0
; Occupancy: 16
; WaveLimiterHint : 0
; COMPUTE_PGM_RSRC2:SCRATCH_EN: 0
; COMPUTE_PGM_RSRC2:USER_SGPR: 2
; COMPUTE_PGM_RSRC2:TRAP_HANDLER: 0
; COMPUTE_PGM_RSRC2:TGID_X_EN: 1
; COMPUTE_PGM_RSRC2:TGID_Y_EN: 0
; COMPUTE_PGM_RSRC2:TGID_Z_EN: 0
; COMPUTE_PGM_RSRC2:TIDIG_COMP_CNT: 0
	.section	.text._ZN7rocprim17ROCPRIM_400000_NS6detail17trampoline_kernelINS0_14default_configENS1_35radix_sort_onesweep_config_selectorIjN6thrust23THRUST_200600_302600_NS5tupleIffNS6_9null_typeES8_S8_S8_S8_S8_S8_S8_EEEEZZNS1_29radix_sort_onesweep_iterationIS3_Lb0ENS6_6detail15normal_iteratorINS6_10device_ptrIjEEEESG_NSD_INSE_IS9_EEEESI_jNS0_19identity_decomposerENS1_16block_id_wrapperIjLb0EEEEE10hipError_tT1_PNSt15iterator_traitsISN_E10value_typeET2_T3_PNSO_IST_E10value_typeET4_T5_PSY_SZ_PNS1_23onesweep_lookback_stateEbbT6_jjT7_P12ihipStream_tbENKUlT_T0_SN_SS_E_clIPjSG_PS9_SI_EEDaS16_S17_SN_SS_EUlS16_E_NS1_11comp_targetILNS1_3genE0ELNS1_11target_archE4294967295ELNS1_3gpuE0ELNS1_3repE0EEENS1_47radix_sort_onesweep_sort_config_static_selectorELNS0_4arch9wavefront6targetE0EEEvSN_,"axG",@progbits,_ZN7rocprim17ROCPRIM_400000_NS6detail17trampoline_kernelINS0_14default_configENS1_35radix_sort_onesweep_config_selectorIjN6thrust23THRUST_200600_302600_NS5tupleIffNS6_9null_typeES8_S8_S8_S8_S8_S8_S8_EEEEZZNS1_29radix_sort_onesweep_iterationIS3_Lb0ENS6_6detail15normal_iteratorINS6_10device_ptrIjEEEESG_NSD_INSE_IS9_EEEESI_jNS0_19identity_decomposerENS1_16block_id_wrapperIjLb0EEEEE10hipError_tT1_PNSt15iterator_traitsISN_E10value_typeET2_T3_PNSO_IST_E10value_typeET4_T5_PSY_SZ_PNS1_23onesweep_lookback_stateEbbT6_jjT7_P12ihipStream_tbENKUlT_T0_SN_SS_E_clIPjSG_PS9_SI_EEDaS16_S17_SN_SS_EUlS16_E_NS1_11comp_targetILNS1_3genE0ELNS1_11target_archE4294967295ELNS1_3gpuE0ELNS1_3repE0EEENS1_47radix_sort_onesweep_sort_config_static_selectorELNS0_4arch9wavefront6targetE0EEEvSN_,comdat
	.protected	_ZN7rocprim17ROCPRIM_400000_NS6detail17trampoline_kernelINS0_14default_configENS1_35radix_sort_onesweep_config_selectorIjN6thrust23THRUST_200600_302600_NS5tupleIffNS6_9null_typeES8_S8_S8_S8_S8_S8_S8_EEEEZZNS1_29radix_sort_onesweep_iterationIS3_Lb0ENS6_6detail15normal_iteratorINS6_10device_ptrIjEEEESG_NSD_INSE_IS9_EEEESI_jNS0_19identity_decomposerENS1_16block_id_wrapperIjLb0EEEEE10hipError_tT1_PNSt15iterator_traitsISN_E10value_typeET2_T3_PNSO_IST_E10value_typeET4_T5_PSY_SZ_PNS1_23onesweep_lookback_stateEbbT6_jjT7_P12ihipStream_tbENKUlT_T0_SN_SS_E_clIPjSG_PS9_SI_EEDaS16_S17_SN_SS_EUlS16_E_NS1_11comp_targetILNS1_3genE0ELNS1_11target_archE4294967295ELNS1_3gpuE0ELNS1_3repE0EEENS1_47radix_sort_onesweep_sort_config_static_selectorELNS0_4arch9wavefront6targetE0EEEvSN_ ; -- Begin function _ZN7rocprim17ROCPRIM_400000_NS6detail17trampoline_kernelINS0_14default_configENS1_35radix_sort_onesweep_config_selectorIjN6thrust23THRUST_200600_302600_NS5tupleIffNS6_9null_typeES8_S8_S8_S8_S8_S8_S8_EEEEZZNS1_29radix_sort_onesweep_iterationIS3_Lb0ENS6_6detail15normal_iteratorINS6_10device_ptrIjEEEESG_NSD_INSE_IS9_EEEESI_jNS0_19identity_decomposerENS1_16block_id_wrapperIjLb0EEEEE10hipError_tT1_PNSt15iterator_traitsISN_E10value_typeET2_T3_PNSO_IST_E10value_typeET4_T5_PSY_SZ_PNS1_23onesweep_lookback_stateEbbT6_jjT7_P12ihipStream_tbENKUlT_T0_SN_SS_E_clIPjSG_PS9_SI_EEDaS16_S17_SN_SS_EUlS16_E_NS1_11comp_targetILNS1_3genE0ELNS1_11target_archE4294967295ELNS1_3gpuE0ELNS1_3repE0EEENS1_47radix_sort_onesweep_sort_config_static_selectorELNS0_4arch9wavefront6targetE0EEEvSN_
	.globl	_ZN7rocprim17ROCPRIM_400000_NS6detail17trampoline_kernelINS0_14default_configENS1_35radix_sort_onesweep_config_selectorIjN6thrust23THRUST_200600_302600_NS5tupleIffNS6_9null_typeES8_S8_S8_S8_S8_S8_S8_EEEEZZNS1_29radix_sort_onesweep_iterationIS3_Lb0ENS6_6detail15normal_iteratorINS6_10device_ptrIjEEEESG_NSD_INSE_IS9_EEEESI_jNS0_19identity_decomposerENS1_16block_id_wrapperIjLb0EEEEE10hipError_tT1_PNSt15iterator_traitsISN_E10value_typeET2_T3_PNSO_IST_E10value_typeET4_T5_PSY_SZ_PNS1_23onesweep_lookback_stateEbbT6_jjT7_P12ihipStream_tbENKUlT_T0_SN_SS_E_clIPjSG_PS9_SI_EEDaS16_S17_SN_SS_EUlS16_E_NS1_11comp_targetILNS1_3genE0ELNS1_11target_archE4294967295ELNS1_3gpuE0ELNS1_3repE0EEENS1_47radix_sort_onesweep_sort_config_static_selectorELNS0_4arch9wavefront6targetE0EEEvSN_
	.p2align	8
	.type	_ZN7rocprim17ROCPRIM_400000_NS6detail17trampoline_kernelINS0_14default_configENS1_35radix_sort_onesweep_config_selectorIjN6thrust23THRUST_200600_302600_NS5tupleIffNS6_9null_typeES8_S8_S8_S8_S8_S8_S8_EEEEZZNS1_29radix_sort_onesweep_iterationIS3_Lb0ENS6_6detail15normal_iteratorINS6_10device_ptrIjEEEESG_NSD_INSE_IS9_EEEESI_jNS0_19identity_decomposerENS1_16block_id_wrapperIjLb0EEEEE10hipError_tT1_PNSt15iterator_traitsISN_E10value_typeET2_T3_PNSO_IST_E10value_typeET4_T5_PSY_SZ_PNS1_23onesweep_lookback_stateEbbT6_jjT7_P12ihipStream_tbENKUlT_T0_SN_SS_E_clIPjSG_PS9_SI_EEDaS16_S17_SN_SS_EUlS16_E_NS1_11comp_targetILNS1_3genE0ELNS1_11target_archE4294967295ELNS1_3gpuE0ELNS1_3repE0EEENS1_47radix_sort_onesweep_sort_config_static_selectorELNS0_4arch9wavefront6targetE0EEEvSN_,@function
_ZN7rocprim17ROCPRIM_400000_NS6detail17trampoline_kernelINS0_14default_configENS1_35radix_sort_onesweep_config_selectorIjN6thrust23THRUST_200600_302600_NS5tupleIffNS6_9null_typeES8_S8_S8_S8_S8_S8_S8_EEEEZZNS1_29radix_sort_onesweep_iterationIS3_Lb0ENS6_6detail15normal_iteratorINS6_10device_ptrIjEEEESG_NSD_INSE_IS9_EEEESI_jNS0_19identity_decomposerENS1_16block_id_wrapperIjLb0EEEEE10hipError_tT1_PNSt15iterator_traitsISN_E10value_typeET2_T3_PNSO_IST_E10value_typeET4_T5_PSY_SZ_PNS1_23onesweep_lookback_stateEbbT6_jjT7_P12ihipStream_tbENKUlT_T0_SN_SS_E_clIPjSG_PS9_SI_EEDaS16_S17_SN_SS_EUlS16_E_NS1_11comp_targetILNS1_3genE0ELNS1_11target_archE4294967295ELNS1_3gpuE0ELNS1_3repE0EEENS1_47radix_sort_onesweep_sort_config_static_selectorELNS0_4arch9wavefront6targetE0EEEvSN_: ; @_ZN7rocprim17ROCPRIM_400000_NS6detail17trampoline_kernelINS0_14default_configENS1_35radix_sort_onesweep_config_selectorIjN6thrust23THRUST_200600_302600_NS5tupleIffNS6_9null_typeES8_S8_S8_S8_S8_S8_S8_EEEEZZNS1_29radix_sort_onesweep_iterationIS3_Lb0ENS6_6detail15normal_iteratorINS6_10device_ptrIjEEEESG_NSD_INSE_IS9_EEEESI_jNS0_19identity_decomposerENS1_16block_id_wrapperIjLb0EEEEE10hipError_tT1_PNSt15iterator_traitsISN_E10value_typeET2_T3_PNSO_IST_E10value_typeET4_T5_PSY_SZ_PNS1_23onesweep_lookback_stateEbbT6_jjT7_P12ihipStream_tbENKUlT_T0_SN_SS_E_clIPjSG_PS9_SI_EEDaS16_S17_SN_SS_EUlS16_E_NS1_11comp_targetILNS1_3genE0ELNS1_11target_archE4294967295ELNS1_3gpuE0ELNS1_3repE0EEENS1_47radix_sort_onesweep_sort_config_static_selectorELNS0_4arch9wavefront6targetE0EEEvSN_
; %bb.0:
	s_load_b64 s[4:5], s[0:1], 0x4
	s_clause 0x1
	s_load_b256 s[20:27], s[2:3], 0x0
	s_load_b96 s[36:38], s[2:3], 0x44
	v_and_b32_e32 v18, 0x3ff, v0
	s_clause 0x1
	s_load_b128 s[28:31], s[2:3], 0x28
	s_load_b64 s[18:19], s[2:3], 0x38
	v_bfe_u32 v21, v0, 10, 10
	s_wait_xcnt 0x0
	s_bfe_u32 s1, ttmp6, 0x4000c
	v_bfe_u32 v22, v0, 20, 10
	s_add_co_i32 s1, s1, 1
	s_and_b32 s0, ttmp6, 15
	s_mul_i32 s1, ttmp9, s1
	v_mbcnt_lo_u32_b32 v20, -1, 0
	s_add_co_i32 s0, s0, s1
	v_lshlrev_b32_e32 v23, 3, v18
	s_mov_b32 s41, 0
	s_add_nc_u64 s[34:35], s[2:3], 0x58
	s_wait_kmcnt 0x0
	s_lshr_b32 s4, s4, 16
	v_mul_u32_u24_e32 v0, s5, v21
	s_mul_i32 s4, s4, s5
	s_delay_alu instid0(SALU_CYCLE_1) | instskip(SKIP_1) | instid1(SALU_CYCLE_1)
	v_mul_lo_u32 v1, s4, v18
	s_getreg_b32 s4, hwreg(HW_REG_IB_STS2, 6, 4)
	s_cmp_eq_u32 s4, 0
	s_cselect_b32 s17, ttmp9, s0
	s_mov_b32 s0, -1
	s_cmp_ge_u32 s17, s38
	s_delay_alu instid0(VALU_DEP_1)
	v_add3_u32 v19, v1, v0, v22
	s_cbranch_scc0 .LBB220_98
; %bb.1:
	s_load_b32 s4, s[2:3], 0x20
	s_lshl_b32 s40, s17, 12
	v_dual_mov_b32 v1, 0 :: v_dual_lshlrev_b32 v0, 2, v20
	s_lshl_b64 s[0:1], s[40:41], 2
	v_and_b32_e32 v8, 0x1f00, v23
	s_add_nc_u64 s[0:1], s[20:21], s[0:1]
	v_dual_mov_b32 v9, -1 :: v_dual_mov_b32 v10, -1
	v_add_nc_u64_e32 v[4:5], s[0:1], v[0:1]
	s_delay_alu instid0(VALU_DEP_3) | instskip(SKIP_1) | instid1(VALU_DEP_1)
	v_dual_lshlrev_b32 v0, 2, v8 :: v_dual_bitop2_b32 v2, v20, v8 bitop3:0x54
	s_lshl_b32 s0, s38, 12
	v_add_nc_u64_e32 v[0:1], v[4:5], v[0:1]
	s_wait_kmcnt 0x0
	s_sub_co_i32 s33, s4, s0
	s_delay_alu instid0(SALU_CYCLE_1)
	v_cmp_gt_u32_e64 s8, s33, v2
	s_and_saveexec_b32 s0, s8
	s_cbranch_execz .LBB220_3
; %bb.2:
	global_load_b32 v10, v[0:1], off
.LBB220_3:
	s_wait_xcnt 0x0
	s_or_b32 exec_lo, exec_lo, s0
	v_or_b32_e32 v3, 32, v2
	s_delay_alu instid0(VALU_DEP_1)
	v_cmp_gt_u32_e64 s7, s33, v3
	s_and_saveexec_b32 s0, s7
	s_cbranch_execz .LBB220_5
; %bb.4:
	global_load_b32 v9, v[0:1], off offset:128
.LBB220_5:
	s_wait_xcnt 0x0
	s_or_b32 exec_lo, exec_lo, s0
	v_dual_mov_b32 v11, -1 :: v_dual_bitop2_b32 v3, 64, v2 bitop3:0x54
	v_mov_b32_e32 v12, -1
	s_delay_alu instid0(VALU_DEP_2)
	v_cmp_gt_u32_e64 s6, s33, v3
	s_and_saveexec_b32 s0, s6
	s_cbranch_execz .LBB220_7
; %bb.6:
	global_load_b32 v12, v[0:1], off offset:256
.LBB220_7:
	s_wait_xcnt 0x0
	s_or_b32 exec_lo, exec_lo, s0
	v_or_b32_e32 v3, 0x60, v2
	s_delay_alu instid0(VALU_DEP_1)
	v_cmp_gt_u32_e64 s5, s33, v3
	s_and_saveexec_b32 s0, s5
	s_cbranch_execz .LBB220_9
; %bb.8:
	global_load_b32 v11, v[0:1], off offset:384
.LBB220_9:
	s_wait_xcnt 0x0
	s_or_b32 exec_lo, exec_lo, s0
	v_or_b32_e32 v3, 0x80, v2
	v_dual_mov_b32 v13, -1 :: v_dual_mov_b32 v14, -1
	s_delay_alu instid0(VALU_DEP_2)
	v_cmp_gt_u32_e64 s4, s33, v3
	s_and_saveexec_b32 s0, s4
	s_cbranch_execz .LBB220_11
; %bb.10:
	global_load_b32 v14, v[0:1], off offset:512
.LBB220_11:
	s_wait_xcnt 0x0
	s_or_b32 exec_lo, exec_lo, s0
	v_or_b32_e32 v3, 0xa0, v2
	s_delay_alu instid0(VALU_DEP_1)
	v_cmp_gt_u32_e64 s1, s33, v3
	s_and_saveexec_b32 s0, s1
	s_cbranch_execz .LBB220_13
; %bb.12:
	global_load_b32 v13, v[0:1], off offset:640
.LBB220_13:
	s_wait_xcnt 0x0
	s_or_b32 exec_lo, exec_lo, s0
	v_or_b32_e32 v3, 0xc0, v2
	v_dual_mov_b32 v15, -1 :: v_dual_mov_b32 v16, -1
	s_delay_alu instid0(VALU_DEP_2)
	v_cmp_gt_u32_e64 s0, s33, v3
	s_and_saveexec_b32 s9, s0
	s_cbranch_execz .LBB220_15
; %bb.14:
	global_load_b32 v16, v[0:1], off offset:768
.LBB220_15:
	s_wait_xcnt 0x0
	s_or_b32 exec_lo, exec_lo, s9
	v_or_b32_e32 v2, 0xe0, v2
	s_delay_alu instid0(VALU_DEP_1)
	v_cmp_gt_u32_e32 vcc_lo, s33, v2
	s_and_saveexec_b32 s9, vcc_lo
	s_cbranch_execz .LBB220_17
; %bb.16:
	global_load_b32 v15, v[0:1], off offset:896
.LBB220_17:
	s_wait_xcnt 0x0
	s_or_b32 exec_lo, exec_lo, s9
	s_clause 0x1
	s_load_b32 s38, s[2:3], 0x58
	s_load_u16 s9, s[2:3], 0x66
	s_wait_loadcnt 0x0
	v_lshrrev_b32_e32 v0, s36, v10
	s_mov_b32 s11, 0
	s_wait_kmcnt 0x0
	s_cmp_lt_u32 s17, s38
	v_mad_u32_u24 v1, v22, s9, v21
	s_cselect_b32 s10, 12, 18
	s_lshl_b32 s39, -1, s37
	s_add_nc_u64 s[10:11], s[34:35], s[10:11]
	v_bitop3_b32 v2, v0, 1, s39 bitop3:0x40
	v_bitop3_b32 v0, v0, s39, v0 bitop3:0x30
	s_load_u16 s42, s[10:11], 0x0
	s_delay_alu instid0(VALU_DEP_2) | instskip(NEXT) | instid1(VALU_DEP_1)
	v_add_co_u32 v2, s9, v2, -1
	v_cndmask_b32_e64 v3, 0, 1, s9
	s_delay_alu instid0(VALU_DEP_3) | instskip(SKIP_1) | instid1(VALU_DEP_3)
	v_dual_lshlrev_b32 v4, 30, v0 :: v_dual_lshlrev_b32 v5, 29, v0
	v_dual_lshlrev_b32 v6, 28, v0 :: v_dual_lshlrev_b32 v7, 27, v0
	v_cmp_ne_u32_e64 s9, 0, v3
	s_delay_alu instid0(VALU_DEP_3) | instskip(SKIP_1) | instid1(VALU_DEP_3)
	v_not_b32_e32 v3, v4
	v_dual_lshlrev_b32 v17, 26, v0 :: v_dual_lshlrev_b32 v24, 25, v0
	v_dual_lshlrev_b32 v25, 24, v0 :: v_dual_bitop2_b32 v2, s9, v2 bitop3:0x14
	s_wait_xcnt 0x0
	v_cmp_gt_i32_e64 s10, 0, v4
	v_cmp_gt_i32_e64 s11, 0, v5
	v_not_b32_e32 v4, v5
	v_not_b32_e32 v5, v6
	v_ashrrev_i32_e32 v3, 31, v3
	v_cmp_gt_i32_e64 s12, 0, v6
	v_cmp_gt_i32_e64 s13, 0, v7
	v_not_b32_e32 v6, v7
	v_cmp_gt_i32_e64 s14, 0, v17
	v_not_b32_e32 v7, v17
	;; [unrolled: 2-line block ×3, first 2 shown]
	v_not_b32_e32 v24, v25
	v_dual_ashrrev_i32 v4, 31, v4 :: v_dual_ashrrev_i32 v5, 31, v5
	v_dual_ashrrev_i32 v6, 31, v6 :: v_dual_bitop2_b32 v3, s10, v3 bitop3:0x14
	v_cmp_gt_i32_e64 s16, 0, v25
	s_delay_alu instid0(VALU_DEP_3) | instskip(NEXT) | instid1(VALU_DEP_4)
	v_dual_ashrrev_i32 v7, 31, v7 :: v_dual_bitop2_b32 v4, s11, v4 bitop3:0x14
	v_xor_b32_e32 v5, s12, v5
	s_delay_alu instid0(VALU_DEP_4) | instskip(SKIP_1) | instid1(VALU_DEP_4)
	v_bitop3_b32 v2, v2, v3, exec_lo bitop3:0x80
	v_dual_ashrrev_i32 v3, 31, v17 :: v_dual_bitop2_b32 v6, s13, v6 bitop3:0x14
	v_dual_ashrrev_i32 v17, 31, v24 :: v_dual_bitop2_b32 v7, s14, v7 bitop3:0x14
	s_delay_alu instid0(VALU_DEP_3) | instskip(SKIP_2) | instid1(VALU_DEP_4)
	v_bitop3_b32 v2, v2, v5, v4 bitop3:0x80
	v_mov_b32_e32 v4, 0
	v_mul_u32_u24_e32 v24, 36, v18
	v_xor_b32_e32 v5, s16, v17
	s_wait_kmcnt 0x0
	v_mad_u32 v17, v1, s42, v18
	v_bitop3_b32 v1, v2, v7, v6 bitop3:0x80
	v_mul_lo_u32 v2, 0x44, v0
	v_xor_b32_e32 v3, s15, v3
	s_not_b32 s14, s39
	ds_store_2addr_b32 v24, v4, v4 offset0:16 offset1:17
	ds_store_2addr_b32 v24, v4, v4 offset0:18 offset1:19
	;; [unrolled: 1-line block ×4, first 2 shown]
	ds_store_b32 v24, v4 offset:96
	s_wait_dscnt 0x0
	s_barrier_signal -1
	s_barrier_wait -1
	v_lshrrev_b32_e32 v0, 3, v17
	; wave barrier
	s_delay_alu instid0(VALU_DEP_1) | instskip(NEXT) | instid1(VALU_DEP_1)
	v_and_b32_e32 v0, 0x1ffffffc, v0
	v_add_nc_u32_e32 v25, v0, v2
	v_bitop3_b32 v1, v1, v5, v3 bitop3:0x80
	s_delay_alu instid0(VALU_DEP_1) | instskip(SKIP_1) | instid1(VALU_DEP_2)
	v_mbcnt_lo_u32_b32 v17, v1, 0
	v_cmp_ne_u32_e64 s10, 0, v1
	v_cmp_eq_u32_e64 s9, 0, v17
	s_and_b32 s10, s10, s9
	s_delay_alu instid0(SALU_CYCLE_1)
	s_and_saveexec_b32 s9, s10
; %bb.18:
	v_bcnt_u32_b32 v1, v1, 0
	ds_store_b32 v25, v1 offset:64
; %bb.19:
	s_or_b32 exec_lo, exec_lo, s9
	v_lshrrev_b32_e32 v1, s36, v9
	; wave barrier
	s_delay_alu instid0(VALU_DEP_1) | instskip(NEXT) | instid1(VALU_DEP_1)
	v_and_b32_e32 v2, s14, v1
	v_lshlrev_b32_e32 v5, 30, v2
	v_bitop3_b32 v1, v1, 1, s14 bitop3:0x80
	s_delay_alu instid0(VALU_DEP_2) | instskip(NEXT) | instid1(VALU_DEP_2)
	v_cmp_gt_i32_e64 s10, 0, v5
	v_add_co_u32 v1, s9, v1, -1
	s_delay_alu instid0(VALU_DEP_1) | instskip(NEXT) | instid1(VALU_DEP_1)
	v_cndmask_b32_e64 v4, 0, 1, s9
	v_cmp_ne_u32_e64 s9, 0, v4
	v_not_b32_e32 v4, v5
	s_delay_alu instid0(VALU_DEP_1) | instskip(SKIP_3) | instid1(VALU_DEP_4)
	v_dual_ashrrev_i32 v4, 31, v4 :: v_dual_lshlrev_b32 v6, 29, v2
	v_dual_lshlrev_b32 v7, 28, v2 :: v_dual_lshlrev_b32 v26, 27, v2
	v_lshlrev_b32_e32 v27, 26, v2
	v_mul_lo_u32 v3, 0x44, v2
	v_cmp_gt_i32_e64 s11, 0, v6
	v_not_b32_e32 v5, v6
	v_not_b32_e32 v6, v7
	v_cmp_gt_i32_e64 s12, 0, v7
	v_xor_b32_e32 v1, s9, v1
	s_delay_alu instid0(VALU_DEP_4) | instskip(NEXT) | instid1(VALU_DEP_4)
	v_dual_ashrrev_i32 v5, 31, v5 :: v_dual_bitop2_b32 v4, s10, v4 bitop3:0x14
	v_ashrrev_i32_e32 v6, 31, v6
	v_dual_lshlrev_b32 v28, 25, v2 :: v_dual_lshlrev_b32 v2, 24, v2
	v_not_b32_e32 v7, v26
	v_not_b32_e32 v29, v27
	v_xor_b32_e32 v5, s11, v5
	v_xor_b32_e32 v6, s12, v6
	v_bitop3_b32 v1, v1, v4, exec_lo bitop3:0x80
	v_cmp_gt_i32_e64 s9, 0, v26
	v_ashrrev_i32_e32 v4, 31, v7
	v_cmp_gt_i32_e64 s10, 0, v27
	v_ashrrev_i32_e32 v7, 31, v29
	v_bitop3_b32 v1, v1, v6, v5 bitop3:0x80
	v_not_b32_e32 v5, v28
	v_not_b32_e32 v6, v2
	v_xor_b32_e32 v4, s9, v4
	v_xor_b32_e32 v7, s10, v7
	v_cmp_gt_i32_e64 s9, 0, v28
	v_ashrrev_i32_e32 v5, 31, v5
	v_cmp_gt_i32_e64 s10, 0, v2
	v_dual_ashrrev_i32 v2, 31, v6 :: v_dual_add_nc_u32 v28, v0, v3
	v_bitop3_b32 v1, v1, v7, v4 bitop3:0x80
	s_delay_alu instid0(VALU_DEP_4) | instskip(NEXT) | instid1(VALU_DEP_3)
	v_xor_b32_e32 v3, s9, v5
	v_xor_b32_e32 v2, s10, v2
	ds_load_b32 v26, v28 offset:64
	; wave barrier
	v_bitop3_b32 v1, v1, v2, v3 bitop3:0x80
	s_delay_alu instid0(VALU_DEP_1) | instskip(SKIP_1) | instid1(VALU_DEP_2)
	v_mbcnt_lo_u32_b32 v27, v1, 0
	v_cmp_ne_u32_e64 s10, 0, v1
	v_cmp_eq_u32_e64 s9, 0, v27
	s_and_b32 s10, s10, s9
	s_delay_alu instid0(SALU_CYCLE_1)
	s_and_saveexec_b32 s9, s10
	s_cbranch_execz .LBB220_21
; %bb.20:
	s_wait_dscnt 0x0
	v_bcnt_u32_b32 v1, v1, v26
	ds_store_b32 v28, v1 offset:64
.LBB220_21:
	s_or_b32 exec_lo, exec_lo, s9
	v_lshrrev_b32_e32 v1, s36, v12
	; wave barrier
	s_delay_alu instid0(VALU_DEP_1) | instskip(NEXT) | instid1(VALU_DEP_1)
	v_and_b32_e32 v2, s14, v1
	v_lshlrev_b32_e32 v5, 30, v2
	v_bitop3_b32 v1, v1, 1, s14 bitop3:0x80
	s_delay_alu instid0(VALU_DEP_2) | instskip(NEXT) | instid1(VALU_DEP_2)
	v_cmp_gt_i32_e64 s10, 0, v5
	v_add_co_u32 v1, s9, v1, -1
	s_delay_alu instid0(VALU_DEP_1) | instskip(NEXT) | instid1(VALU_DEP_1)
	v_cndmask_b32_e64 v4, 0, 1, s9
	v_cmp_ne_u32_e64 s9, 0, v4
	v_not_b32_e32 v4, v5
	s_delay_alu instid0(VALU_DEP_1) | instskip(SKIP_3) | instid1(VALU_DEP_4)
	v_dual_ashrrev_i32 v4, 31, v4 :: v_dual_lshlrev_b32 v6, 29, v2
	v_dual_lshlrev_b32 v7, 28, v2 :: v_dual_lshlrev_b32 v29, 27, v2
	v_lshlrev_b32_e32 v30, 26, v2
	v_mul_lo_u32 v3, 0x44, v2
	v_cmp_gt_i32_e64 s11, 0, v6
	v_not_b32_e32 v5, v6
	v_not_b32_e32 v6, v7
	v_cmp_gt_i32_e64 s12, 0, v7
	v_xor_b32_e32 v1, s9, v1
	s_delay_alu instid0(VALU_DEP_4) | instskip(NEXT) | instid1(VALU_DEP_4)
	v_dual_ashrrev_i32 v5, 31, v5 :: v_dual_bitop2_b32 v4, s10, v4 bitop3:0x14
	v_ashrrev_i32_e32 v6, 31, v6
	v_dual_lshlrev_b32 v31, 25, v2 :: v_dual_lshlrev_b32 v2, 24, v2
	v_not_b32_e32 v7, v29
	v_not_b32_e32 v32, v30
	v_xor_b32_e32 v5, s11, v5
	v_xor_b32_e32 v6, s12, v6
	v_bitop3_b32 v1, v1, v4, exec_lo bitop3:0x80
	v_cmp_gt_i32_e64 s9, 0, v29
	v_ashrrev_i32_e32 v4, 31, v7
	v_cmp_gt_i32_e64 s10, 0, v30
	v_ashrrev_i32_e32 v7, 31, v32
	v_bitop3_b32 v1, v1, v6, v5 bitop3:0x80
	v_not_b32_e32 v5, v31
	v_not_b32_e32 v6, v2
	v_xor_b32_e32 v4, s9, v4
	v_xor_b32_e32 v7, s10, v7
	v_cmp_gt_i32_e64 s9, 0, v31
	v_ashrrev_i32_e32 v5, 31, v5
	v_cmp_gt_i32_e64 s10, 0, v2
	v_dual_ashrrev_i32 v2, 31, v6 :: v_dual_add_nc_u32 v31, v0, v3
	v_bitop3_b32 v1, v1, v7, v4 bitop3:0x80
	s_delay_alu instid0(VALU_DEP_4) | instskip(NEXT) | instid1(VALU_DEP_3)
	v_xor_b32_e32 v3, s9, v5
	v_xor_b32_e32 v2, s10, v2
	ds_load_b32 v29, v31 offset:64
	; wave barrier
	v_bitop3_b32 v1, v1, v2, v3 bitop3:0x80
	s_delay_alu instid0(VALU_DEP_1) | instskip(SKIP_1) | instid1(VALU_DEP_2)
	v_mbcnt_lo_u32_b32 v30, v1, 0
	v_cmp_ne_u32_e64 s10, 0, v1
	v_cmp_eq_u32_e64 s9, 0, v30
	s_and_b32 s10, s10, s9
	s_delay_alu instid0(SALU_CYCLE_1)
	s_and_saveexec_b32 s9, s10
	s_cbranch_execz .LBB220_23
; %bb.22:
	s_wait_dscnt 0x0
	v_bcnt_u32_b32 v1, v1, v29
	ds_store_b32 v31, v1 offset:64
.LBB220_23:
	s_or_b32 exec_lo, exec_lo, s9
	v_lshrrev_b32_e32 v1, s36, v11
	; wave barrier
	s_delay_alu instid0(VALU_DEP_1) | instskip(NEXT) | instid1(VALU_DEP_1)
	v_and_b32_e32 v2, s14, v1
	v_lshlrev_b32_e32 v5, 30, v2
	v_bitop3_b32 v1, v1, 1, s14 bitop3:0x80
	s_delay_alu instid0(VALU_DEP_2) | instskip(NEXT) | instid1(VALU_DEP_2)
	v_cmp_gt_i32_e64 s10, 0, v5
	v_add_co_u32 v1, s9, v1, -1
	s_delay_alu instid0(VALU_DEP_1) | instskip(NEXT) | instid1(VALU_DEP_1)
	v_cndmask_b32_e64 v4, 0, 1, s9
	v_cmp_ne_u32_e64 s9, 0, v4
	v_not_b32_e32 v4, v5
	s_delay_alu instid0(VALU_DEP_1) | instskip(SKIP_3) | instid1(VALU_DEP_4)
	v_dual_ashrrev_i32 v4, 31, v4 :: v_dual_lshlrev_b32 v6, 29, v2
	v_dual_lshlrev_b32 v7, 28, v2 :: v_dual_lshlrev_b32 v32, 27, v2
	v_lshlrev_b32_e32 v33, 26, v2
	v_mul_lo_u32 v3, 0x44, v2
	v_cmp_gt_i32_e64 s11, 0, v6
	v_not_b32_e32 v5, v6
	v_not_b32_e32 v6, v7
	v_cmp_gt_i32_e64 s12, 0, v7
	v_xor_b32_e32 v1, s9, v1
	s_delay_alu instid0(VALU_DEP_4) | instskip(NEXT) | instid1(VALU_DEP_4)
	v_dual_ashrrev_i32 v5, 31, v5 :: v_dual_bitop2_b32 v4, s10, v4 bitop3:0x14
	v_ashrrev_i32_e32 v6, 31, v6
	v_dual_lshlrev_b32 v34, 25, v2 :: v_dual_lshlrev_b32 v2, 24, v2
	v_not_b32_e32 v7, v32
	v_not_b32_e32 v35, v33
	v_xor_b32_e32 v5, s11, v5
	v_xor_b32_e32 v6, s12, v6
	v_bitop3_b32 v1, v1, v4, exec_lo bitop3:0x80
	v_cmp_gt_i32_e64 s9, 0, v32
	v_ashrrev_i32_e32 v4, 31, v7
	v_cmp_gt_i32_e64 s10, 0, v33
	v_ashrrev_i32_e32 v7, 31, v35
	v_bitop3_b32 v1, v1, v6, v5 bitop3:0x80
	v_not_b32_e32 v5, v34
	v_not_b32_e32 v6, v2
	v_xor_b32_e32 v4, s9, v4
	v_xor_b32_e32 v7, s10, v7
	v_cmp_gt_i32_e64 s9, 0, v34
	v_ashrrev_i32_e32 v5, 31, v5
	v_cmp_gt_i32_e64 s10, 0, v2
	v_dual_ashrrev_i32 v2, 31, v6 :: v_dual_add_nc_u32 v34, v0, v3
	v_bitop3_b32 v1, v1, v7, v4 bitop3:0x80
	s_delay_alu instid0(VALU_DEP_4) | instskip(NEXT) | instid1(VALU_DEP_3)
	v_xor_b32_e32 v3, s9, v5
	v_xor_b32_e32 v2, s10, v2
	ds_load_b32 v32, v34 offset:64
	; wave barrier
	v_bitop3_b32 v1, v1, v2, v3 bitop3:0x80
	s_delay_alu instid0(VALU_DEP_1) | instskip(SKIP_1) | instid1(VALU_DEP_2)
	v_mbcnt_lo_u32_b32 v33, v1, 0
	v_cmp_ne_u32_e64 s10, 0, v1
	v_cmp_eq_u32_e64 s9, 0, v33
	s_and_b32 s10, s10, s9
	s_delay_alu instid0(SALU_CYCLE_1)
	s_and_saveexec_b32 s9, s10
	s_cbranch_execz .LBB220_25
; %bb.24:
	s_wait_dscnt 0x0
	v_bcnt_u32_b32 v1, v1, v32
	ds_store_b32 v34, v1 offset:64
.LBB220_25:
	s_or_b32 exec_lo, exec_lo, s9
	v_lshrrev_b32_e32 v1, s36, v14
	; wave barrier
	s_delay_alu instid0(VALU_DEP_1) | instskip(SKIP_1) | instid1(VALU_DEP_2)
	v_and_b32_e32 v2, s14, v1
	v_bitop3_b32 v1, v1, 1, s14 bitop3:0x80
	v_dual_lshlrev_b32 v5, 30, v2 :: v_dual_lshlrev_b32 v6, 29, v2
	s_delay_alu instid0(VALU_DEP_2) | instskip(NEXT) | instid1(VALU_DEP_1)
	v_add_co_u32 v1, s9, v1, -1
	v_cndmask_b32_e64 v4, 0, 1, s9
	v_lshlrev_b32_e32 v7, 28, v2
	s_delay_alu instid0(VALU_DEP_4) | instskip(SKIP_1) | instid1(VALU_DEP_4)
	v_cmp_gt_i32_e64 s10, 0, v5
	v_cmp_gt_i32_e64 s11, 0, v6
	v_cmp_ne_u32_e64 s9, 0, v4
	v_not_b32_e32 v4, v5
	v_not_b32_e32 v5, v6
	;; [unrolled: 1-line block ×3, first 2 shown]
	s_delay_alu instid0(VALU_DEP_3) | instskip(NEXT) | instid1(VALU_DEP_2)
	v_dual_ashrrev_i32 v4, 31, v4 :: v_dual_bitop2_b32 v1, s9, v1 bitop3:0x14
	v_dual_ashrrev_i32 v5, 31, v5 :: v_dual_ashrrev_i32 v6, 31, v6
	v_mul_lo_u32 v3, 0x44, v2
	v_dual_lshlrev_b32 v35, 27, v2 :: v_dual_lshlrev_b32 v36, 26, v2
	v_dual_lshlrev_b32 v37, 25, v2 :: v_dual_lshlrev_b32 v2, 24, v2
	v_cmp_gt_i32_e64 s12, 0, v7
	v_xor_b32_e32 v4, s10, v4
	s_delay_alu instid0(VALU_DEP_4)
	v_not_b32_e32 v7, v35
	v_not_b32_e32 v38, v36
	v_xor_b32_e32 v5, s11, v5
	v_xor_b32_e32 v6, s12, v6
	v_bitop3_b32 v1, v1, v4, exec_lo bitop3:0x80
	v_cmp_gt_i32_e64 s9, 0, v35
	v_ashrrev_i32_e32 v4, 31, v7
	v_cmp_gt_i32_e64 s10, 0, v36
	v_ashrrev_i32_e32 v7, 31, v38
	v_bitop3_b32 v1, v1, v6, v5 bitop3:0x80
	v_not_b32_e32 v5, v37
	v_not_b32_e32 v6, v2
	v_xor_b32_e32 v4, s9, v4
	v_xor_b32_e32 v7, s10, v7
	v_cmp_gt_i32_e64 s9, 0, v37
	v_ashrrev_i32_e32 v5, 31, v5
	v_cmp_gt_i32_e64 s10, 0, v2
	v_dual_ashrrev_i32 v2, 31, v6 :: v_dual_add_nc_u32 v37, v0, v3
	v_bitop3_b32 v1, v1, v7, v4 bitop3:0x80
	s_delay_alu instid0(VALU_DEP_4) | instskip(NEXT) | instid1(VALU_DEP_3)
	v_xor_b32_e32 v3, s9, v5
	v_xor_b32_e32 v2, s10, v2
	ds_load_b32 v35, v37 offset:64
	; wave barrier
	v_bitop3_b32 v1, v1, v2, v3 bitop3:0x80
	s_delay_alu instid0(VALU_DEP_1) | instskip(SKIP_1) | instid1(VALU_DEP_2)
	v_mbcnt_lo_u32_b32 v36, v1, 0
	v_cmp_ne_u32_e64 s10, 0, v1
	v_cmp_eq_u32_e64 s9, 0, v36
	s_and_b32 s10, s10, s9
	s_delay_alu instid0(SALU_CYCLE_1)
	s_and_saveexec_b32 s9, s10
	s_cbranch_execz .LBB220_27
; %bb.26:
	s_wait_dscnt 0x0
	v_bcnt_u32_b32 v1, v1, v35
	ds_store_b32 v37, v1 offset:64
.LBB220_27:
	s_or_b32 exec_lo, exec_lo, s9
	v_lshrrev_b32_e32 v1, s36, v13
	; wave barrier
	s_delay_alu instid0(VALU_DEP_1) | instskip(NEXT) | instid1(VALU_DEP_1)
	v_and_b32_e32 v2, s14, v1
	v_lshlrev_b32_e32 v5, 30, v2
	v_bitop3_b32 v1, v1, 1, s14 bitop3:0x80
	s_delay_alu instid0(VALU_DEP_2) | instskip(NEXT) | instid1(VALU_DEP_2)
	v_cmp_gt_i32_e64 s10, 0, v5
	v_add_co_u32 v1, s9, v1, -1
	s_delay_alu instid0(VALU_DEP_1) | instskip(NEXT) | instid1(VALU_DEP_1)
	v_cndmask_b32_e64 v4, 0, 1, s9
	v_cmp_ne_u32_e64 s9, 0, v4
	v_not_b32_e32 v4, v5
	s_delay_alu instid0(VALU_DEP_1) | instskip(SKIP_3) | instid1(VALU_DEP_4)
	v_dual_ashrrev_i32 v4, 31, v4 :: v_dual_lshlrev_b32 v6, 29, v2
	v_dual_lshlrev_b32 v7, 28, v2 :: v_dual_lshlrev_b32 v38, 27, v2
	v_lshlrev_b32_e32 v39, 26, v2
	v_mul_lo_u32 v3, 0x44, v2
	v_cmp_gt_i32_e64 s11, 0, v6
	v_not_b32_e32 v5, v6
	v_not_b32_e32 v6, v7
	v_cmp_gt_i32_e64 s12, 0, v7
	v_xor_b32_e32 v1, s9, v1
	s_delay_alu instid0(VALU_DEP_4) | instskip(NEXT) | instid1(VALU_DEP_4)
	v_dual_ashrrev_i32 v5, 31, v5 :: v_dual_bitop2_b32 v4, s10, v4 bitop3:0x14
	v_ashrrev_i32_e32 v6, 31, v6
	v_dual_lshlrev_b32 v40, 25, v2 :: v_dual_lshlrev_b32 v2, 24, v2
	v_not_b32_e32 v7, v38
	v_not_b32_e32 v41, v39
	v_xor_b32_e32 v5, s11, v5
	v_xor_b32_e32 v6, s12, v6
	v_bitop3_b32 v1, v1, v4, exec_lo bitop3:0x80
	v_cmp_gt_i32_e64 s9, 0, v38
	v_ashrrev_i32_e32 v4, 31, v7
	v_cmp_gt_i32_e64 s10, 0, v39
	v_ashrrev_i32_e32 v7, 31, v41
	v_bitop3_b32 v1, v1, v6, v5 bitop3:0x80
	v_not_b32_e32 v5, v40
	v_not_b32_e32 v6, v2
	v_xor_b32_e32 v4, s9, v4
	v_xor_b32_e32 v7, s10, v7
	v_cmp_gt_i32_e64 s9, 0, v40
	v_ashrrev_i32_e32 v5, 31, v5
	v_cmp_gt_i32_e64 s10, 0, v2
	v_dual_ashrrev_i32 v2, 31, v6 :: v_dual_add_nc_u32 v40, v0, v3
	v_bitop3_b32 v1, v1, v7, v4 bitop3:0x80
	s_delay_alu instid0(VALU_DEP_4) | instskip(NEXT) | instid1(VALU_DEP_3)
	v_xor_b32_e32 v3, s9, v5
	v_xor_b32_e32 v2, s10, v2
	ds_load_b32 v38, v40 offset:64
	; wave barrier
	v_bitop3_b32 v1, v1, v2, v3 bitop3:0x80
	s_delay_alu instid0(VALU_DEP_1) | instskip(SKIP_1) | instid1(VALU_DEP_2)
	v_mbcnt_lo_u32_b32 v39, v1, 0
	v_cmp_ne_u32_e64 s10, 0, v1
	v_cmp_eq_u32_e64 s9, 0, v39
	s_and_b32 s10, s10, s9
	s_delay_alu instid0(SALU_CYCLE_1)
	s_and_saveexec_b32 s9, s10
	s_cbranch_execz .LBB220_29
; %bb.28:
	s_wait_dscnt 0x0
	v_bcnt_u32_b32 v1, v1, v38
	ds_store_b32 v40, v1 offset:64
.LBB220_29:
	s_or_b32 exec_lo, exec_lo, s9
	v_lshrrev_b32_e32 v1, s36, v16
	; wave barrier
	s_delay_alu instid0(VALU_DEP_1) | instskip(NEXT) | instid1(VALU_DEP_1)
	v_and_b32_e32 v2, s14, v1
	v_lshlrev_b32_e32 v5, 30, v2
	v_bitop3_b32 v1, v1, 1, s14 bitop3:0x80
	s_delay_alu instid0(VALU_DEP_2) | instskip(NEXT) | instid1(VALU_DEP_2)
	v_cmp_gt_i32_e64 s10, 0, v5
	v_add_co_u32 v1, s9, v1, -1
	s_delay_alu instid0(VALU_DEP_1) | instskip(NEXT) | instid1(VALU_DEP_1)
	v_cndmask_b32_e64 v4, 0, 1, s9
	v_cmp_ne_u32_e64 s9, 0, v4
	v_not_b32_e32 v4, v5
	s_delay_alu instid0(VALU_DEP_1) | instskip(SKIP_3) | instid1(VALU_DEP_4)
	v_dual_ashrrev_i32 v4, 31, v4 :: v_dual_lshlrev_b32 v6, 29, v2
	v_dual_lshlrev_b32 v7, 28, v2 :: v_dual_lshlrev_b32 v41, 27, v2
	v_lshlrev_b32_e32 v42, 26, v2
	v_mul_lo_u32 v3, 0x44, v2
	v_cmp_gt_i32_e64 s11, 0, v6
	v_not_b32_e32 v5, v6
	v_not_b32_e32 v6, v7
	v_cmp_gt_i32_e64 s12, 0, v7
	v_xor_b32_e32 v1, s9, v1
	s_delay_alu instid0(VALU_DEP_4) | instskip(NEXT) | instid1(VALU_DEP_4)
	v_dual_ashrrev_i32 v5, 31, v5 :: v_dual_bitop2_b32 v4, s10, v4 bitop3:0x14
	v_ashrrev_i32_e32 v6, 31, v6
	v_dual_lshlrev_b32 v43, 25, v2 :: v_dual_lshlrev_b32 v2, 24, v2
	v_not_b32_e32 v7, v41
	v_not_b32_e32 v44, v42
	v_xor_b32_e32 v5, s11, v5
	v_xor_b32_e32 v6, s12, v6
	v_bitop3_b32 v1, v1, v4, exec_lo bitop3:0x80
	v_cmp_gt_i32_e64 s9, 0, v41
	v_ashrrev_i32_e32 v4, 31, v7
	v_cmp_gt_i32_e64 s10, 0, v42
	v_ashrrev_i32_e32 v7, 31, v44
	v_bitop3_b32 v1, v1, v6, v5 bitop3:0x80
	v_not_b32_e32 v5, v43
	v_not_b32_e32 v6, v2
	v_xor_b32_e32 v4, s9, v4
	v_xor_b32_e32 v7, s10, v7
	v_cmp_gt_i32_e64 s9, 0, v43
	v_ashrrev_i32_e32 v5, 31, v5
	v_cmp_gt_i32_e64 s10, 0, v2
	v_dual_ashrrev_i32 v2, 31, v6 :: v_dual_add_nc_u32 v43, v0, v3
	v_bitop3_b32 v1, v1, v7, v4 bitop3:0x80
	s_delay_alu instid0(VALU_DEP_4) | instskip(NEXT) | instid1(VALU_DEP_3)
	v_xor_b32_e32 v3, s9, v5
	v_xor_b32_e32 v2, s10, v2
	ds_load_b32 v41, v43 offset:64
	; wave barrier
	v_bitop3_b32 v1, v1, v2, v3 bitop3:0x80
	s_delay_alu instid0(VALU_DEP_1) | instskip(SKIP_1) | instid1(VALU_DEP_2)
	v_mbcnt_lo_u32_b32 v42, v1, 0
	v_cmp_ne_u32_e64 s10, 0, v1
	v_cmp_eq_u32_e64 s9, 0, v42
	s_and_b32 s10, s10, s9
	s_delay_alu instid0(SALU_CYCLE_1)
	s_and_saveexec_b32 s9, s10
	s_cbranch_execz .LBB220_31
; %bb.30:
	s_wait_dscnt 0x0
	v_bcnt_u32_b32 v1, v1, v41
	ds_store_b32 v43, v1 offset:64
.LBB220_31:
	s_or_b32 exec_lo, exec_lo, s9
	v_lshrrev_b32_e32 v1, s36, v15
	; wave barrier
	s_delay_alu instid0(VALU_DEP_1) | instskip(NEXT) | instid1(VALU_DEP_1)
	v_and_b32_e32 v2, s14, v1
	v_lshlrev_b32_e32 v5, 30, v2
	v_bitop3_b32 v1, v1, 1, s14 bitop3:0x80
	s_delay_alu instid0(VALU_DEP_2) | instskip(NEXT) | instid1(VALU_DEP_2)
	v_cmp_gt_i32_e64 s10, 0, v5
	v_add_co_u32 v1, s9, v1, -1
	s_delay_alu instid0(VALU_DEP_1) | instskip(NEXT) | instid1(VALU_DEP_1)
	v_cndmask_b32_e64 v4, 0, 1, s9
	v_cmp_ne_u32_e64 s9, 0, v4
	v_not_b32_e32 v4, v5
	s_delay_alu instid0(VALU_DEP_1) | instskip(SKIP_3) | instid1(VALU_DEP_4)
	v_dual_ashrrev_i32 v4, 31, v4 :: v_dual_lshlrev_b32 v6, 29, v2
	v_dual_lshlrev_b32 v7, 28, v2 :: v_dual_lshlrev_b32 v44, 27, v2
	v_lshlrev_b32_e32 v45, 26, v2
	v_mul_lo_u32 v3, 0x44, v2
	v_cmp_gt_i32_e64 s11, 0, v6
	v_not_b32_e32 v5, v6
	v_not_b32_e32 v6, v7
	v_cmp_gt_i32_e64 s12, 0, v7
	v_xor_b32_e32 v1, s9, v1
	s_delay_alu instid0(VALU_DEP_4) | instskip(NEXT) | instid1(VALU_DEP_4)
	v_dual_ashrrev_i32 v5, 31, v5 :: v_dual_bitop2_b32 v4, s10, v4 bitop3:0x14
	v_ashrrev_i32_e32 v6, 31, v6
	v_dual_lshlrev_b32 v46, 25, v2 :: v_dual_lshlrev_b32 v2, 24, v2
	v_not_b32_e32 v7, v44
	v_not_b32_e32 v47, v45
	v_xor_b32_e32 v5, s11, v5
	v_xor_b32_e32 v6, s12, v6
	v_bitop3_b32 v1, v1, v4, exec_lo bitop3:0x80
	v_cmp_gt_i32_e64 s9, 0, v44
	v_ashrrev_i32_e32 v4, 31, v7
	v_cmp_gt_i32_e64 s10, 0, v45
	v_ashrrev_i32_e32 v7, 31, v47
	v_bitop3_b32 v1, v1, v6, v5 bitop3:0x80
	v_not_b32_e32 v5, v46
	v_not_b32_e32 v6, v2
	v_xor_b32_e32 v4, s9, v4
	v_xor_b32_e32 v7, s10, v7
	v_cmp_gt_i32_e64 s9, 0, v46
	v_ashrrev_i32_e32 v5, 31, v5
	v_cmp_gt_i32_e64 s10, 0, v2
	v_dual_ashrrev_i32 v2, 31, v6 :: v_dual_add_nc_u32 v46, v0, v3
	v_bitop3_b32 v0, v1, v7, v4 bitop3:0x80
	s_delay_alu instid0(VALU_DEP_4) | instskip(NEXT) | instid1(VALU_DEP_3)
	v_xor_b32_e32 v1, s9, v5
	v_xor_b32_e32 v2, s10, v2
	ds_load_b32 v44, v46 offset:64
	; wave barrier
	v_bitop3_b32 v0, v0, v2, v1 bitop3:0x80
	s_delay_alu instid0(VALU_DEP_1) | instskip(SKIP_1) | instid1(VALU_DEP_2)
	v_mbcnt_lo_u32_b32 v45, v0, 0
	v_cmp_ne_u32_e64 s10, 0, v0
	v_cmp_eq_u32_e64 s9, 0, v45
	s_and_b32 s10, s10, s9
	s_delay_alu instid0(SALU_CYCLE_1)
	s_and_saveexec_b32 s9, s10
	s_cbranch_execz .LBB220_33
; %bb.32:
	s_wait_dscnt 0x0
	v_bcnt_u32_b32 v0, v0, v44
	ds_store_b32 v46, v0 offset:64
.LBB220_33:
	s_or_b32 exec_lo, exec_lo, s9
	; wave barrier
	s_wait_dscnt 0x0
	s_barrier_signal -1
	s_barrier_wait -1
	ds_load_2addr_b32 v[6:7], v24 offset0:16 offset1:17
	ds_load_2addr_b32 v[4:5], v24 offset0:18 offset1:19
	;; [unrolled: 1-line block ×4, first 2 shown]
	ds_load_b32 v47, v24 offset:96
	v_bfe_i32 v50, v20, 4, 1
	s_mov_b32 s15, exec_lo
	s_wait_dscnt 0x3
	v_add3_u32 v48, v7, v6, v4
	s_wait_dscnt 0x2
	s_delay_alu instid0(VALU_DEP_1) | instskip(SKIP_1) | instid1(VALU_DEP_1)
	v_add3_u32 v48, v48, v5, v2
	s_wait_dscnt 0x1
	v_add3_u32 v48, v48, v3, v0
	s_wait_dscnt 0x0
	s_delay_alu instid0(VALU_DEP_1) | instskip(SKIP_1) | instid1(VALU_DEP_2)
	v_add3_u32 v47, v48, v1, v47
	v_and_b32_e32 v48, 15, v20
	v_mov_b32_dpp v49, v47 row_shr:1 row_mask:0xf bank_mask:0xf
	s_delay_alu instid0(VALU_DEP_2) | instskip(NEXT) | instid1(VALU_DEP_1)
	v_cmp_eq_u32_e64 s9, 0, v48
	v_cndmask_b32_e64 v49, v49, 0, s9
	s_delay_alu instid0(VALU_DEP_1) | instskip(SKIP_3) | instid1(VALU_DEP_4)
	v_add_nc_u32_e32 v47, v49, v47
	v_cmp_lt_u32_e64 s10, 1, v48
	v_cmp_lt_u32_e64 s11, 3, v48
	;; [unrolled: 1-line block ×3, first 2 shown]
	v_mov_b32_dpp v49, v47 row_shr:2 row_mask:0xf bank_mask:0xf
	s_delay_alu instid0(VALU_DEP_1) | instskip(NEXT) | instid1(VALU_DEP_1)
	v_cndmask_b32_e64 v49, 0, v49, s10
	v_add_nc_u32_e32 v47, v47, v49
	s_delay_alu instid0(VALU_DEP_1) | instskip(NEXT) | instid1(VALU_DEP_1)
	v_mov_b32_dpp v49, v47 row_shr:4 row_mask:0xf bank_mask:0xf
	v_cndmask_b32_e64 v49, 0, v49, s11
	s_delay_alu instid0(VALU_DEP_1) | instskip(NEXT) | instid1(VALU_DEP_1)
	v_add_nc_u32_e32 v47, v47, v49
	v_mov_b32_dpp v49, v47 row_shr:8 row_mask:0xf bank_mask:0xf
	s_delay_alu instid0(VALU_DEP_1) | instskip(SKIP_1) | instid1(VALU_DEP_2)
	v_cndmask_b32_e64 v48, 0, v49, s12
	v_and_b32_e32 v49, 0x3e0, v18
	v_add_nc_u32_e32 v47, v47, v48
	s_delay_alu instid0(VALU_DEP_2) | instskip(SKIP_3) | instid1(VALU_DEP_1)
	v_min_u32_e32 v49, 0x1e0, v49
	ds_swizzle_b32 v48, v47 offset:swizzle(BROADCAST,32,15)
	s_wait_dscnt 0x0
	v_dual_lshrrev_b32 v48, 5, v18 :: v_dual_bitop2_b32 v50, v50, v48 bitop3:0x40
	v_dual_add_nc_u32 v47, v47, v50 :: v_dual_bitop2_b32 v49, 31, v49 bitop3:0x54
	s_delay_alu instid0(VALU_DEP_1)
	v_cmpx_eq_u32_e64 v18, v49
; %bb.34:
	s_delay_alu instid0(VALU_DEP_3)
	v_lshlrev_b32_e32 v49, 2, v48
	ds_store_b32 v49, v47
; %bb.35:
	s_or_b32 exec_lo, exec_lo, s15
	s_delay_alu instid0(SALU_CYCLE_1)
	s_mov_b32 s15, exec_lo
	s_wait_dscnt 0x0
	s_barrier_signal -1
	s_barrier_wait -1
	v_cmpx_gt_u32_e32 16, v18
	s_cbranch_execz .LBB220_37
; %bb.36:
	v_lshlrev_b32_e32 v49, 2, v18
	ds_load_b32 v50, v49
	s_wait_dscnt 0x0
	v_mov_b32_dpp v51, v50 row_shr:1 row_mask:0xf bank_mask:0xf
	s_delay_alu instid0(VALU_DEP_1) | instskip(NEXT) | instid1(VALU_DEP_1)
	v_cndmask_b32_e64 v51, v51, 0, s9
	v_add_nc_u32_e32 v50, v51, v50
	s_delay_alu instid0(VALU_DEP_1) | instskip(NEXT) | instid1(VALU_DEP_1)
	v_mov_b32_dpp v51, v50 row_shr:2 row_mask:0xf bank_mask:0xf
	v_cndmask_b32_e64 v51, 0, v51, s10
	s_delay_alu instid0(VALU_DEP_1) | instskip(NEXT) | instid1(VALU_DEP_1)
	v_add_nc_u32_e32 v50, v50, v51
	v_mov_b32_dpp v51, v50 row_shr:4 row_mask:0xf bank_mask:0xf
	s_delay_alu instid0(VALU_DEP_1) | instskip(NEXT) | instid1(VALU_DEP_1)
	v_cndmask_b32_e64 v51, 0, v51, s11
	v_add_nc_u32_e32 v50, v50, v51
	s_delay_alu instid0(VALU_DEP_1) | instskip(NEXT) | instid1(VALU_DEP_1)
	v_mov_b32_dpp v51, v50 row_shr:8 row_mask:0xf bank_mask:0xf
	v_cndmask_b32_e64 v51, 0, v51, s12
	s_delay_alu instid0(VALU_DEP_1)
	v_add_nc_u32_e32 v50, v50, v51
	ds_store_b32 v49, v50
.LBB220_37:
	s_or_b32 exec_lo, exec_lo, s15
	v_mov_b32_e32 v49, 0
	s_mov_b32 s10, exec_lo
	s_wait_dscnt 0x0
	s_barrier_signal -1
	s_barrier_wait -1
	v_cmpx_lt_u32_e32 31, v18
; %bb.38:
	v_lshl_add_u32 v48, v48, 2, -4
	ds_load_b32 v49, v48
; %bb.39:
	s_or_b32 exec_lo, exec_lo, s10
	v_sub_co_u32 v48, s9, v20, 1
	s_wait_dscnt 0x0
	v_add_nc_u32_e32 v47, v49, v47
	s_delay_alu instid0(VALU_DEP_2) | instskip(NEXT) | instid1(VALU_DEP_1)
	v_cmp_gt_i32_e64 s10, 0, v48
	v_cndmask_b32_e64 v48, v48, v20, s10
	v_cmp_gt_u32_e64 s10, 0x100, v18
	s_delay_alu instid0(VALU_DEP_2) | instskip(SKIP_4) | instid1(VALU_DEP_1)
	v_lshlrev_b32_e32 v48, 2, v48
	ds_bpermute_b32 v47, v48, v47
	s_wait_dscnt 0x0
	v_cndmask_b32_e64 v47, v47, v49, s9
	v_cmp_ne_u32_e64 s9, 0, v18
	v_cndmask_b32_e64 v47, 0, v47, s9
	v_cmp_lt_u32_e64 s9, 0xff, v18
	s_delay_alu instid0(VALU_DEP_2) | instskip(NEXT) | instid1(VALU_DEP_1)
	v_add_nc_u32_e32 v6, v47, v6
	v_add_nc_u32_e32 v7, v6, v7
	s_delay_alu instid0(VALU_DEP_1) | instskip(NEXT) | instid1(VALU_DEP_1)
	v_add_nc_u32_e32 v4, v7, v4
	v_add_nc_u32_e32 v5, v4, v5
	s_delay_alu instid0(VALU_DEP_1) | instskip(NEXT) | instid1(VALU_DEP_1)
	;; [unrolled: 3-line block ×3, first 2 shown]
	v_add_nc_u32_e32 v0, v3, v0
	v_add_nc_u32_e32 v1, v0, v1
	ds_store_2addr_b32 v24, v47, v6 offset0:16 offset1:17
	ds_store_2addr_b32 v24, v7, v4 offset0:18 offset1:19
	;; [unrolled: 1-line block ×4, first 2 shown]
	ds_store_b32 v24, v1 offset:96
	s_wait_dscnt 0x0
	s_barrier_signal -1
	s_barrier_wait -1
	ds_load_b32 v0, v25 offset:64
	ds_load_b32 v1, v28 offset:64
	;; [unrolled: 1-line block ×8, first 2 shown]
                                        ; implicit-def: $vgpr24
                                        ; implicit-def: $vgpr25
	s_and_saveexec_b32 s12, s10
	s_cbranch_execz .LBB220_43
; %bb.40:
	v_mul_u32_u24_e32 v24, 0x44, v18
	v_dual_mov_b32 v25, 0x1000 :: v_dual_add_nc_u32 v28, 1, v18
	s_mov_b32 s13, exec_lo
	ds_load_b32 v24, v24 offset:64
	v_cmpx_ne_u32_e32 0x100, v28
; %bb.41:
	v_mul_u32_u24_e32 v25, 0x44, v28
	ds_load_b32 v25, v25 offset:64
; %bb.42:
	s_or_b32 exec_lo, exec_lo, s13
	s_wait_dscnt 0x0
	v_sub_nc_u32_e32 v25, v25, v24
.LBB220_43:
	s_or_b32 exec_lo, exec_lo, s12
	s_wait_dscnt 0x6
	v_add3_u32 v26, v27, v26, v1
	v_add_nc_u32_e32 v28, v0, v17
	s_wait_dscnt 0x5
	v_add3_u32 v27, v30, v29, v2
	s_wait_dscnt 0x4
	v_add3_u32 v29, v33, v32, v3
	;; [unrolled: 2-line block ×4, first 2 shown]
	v_dual_lshlrev_b32 v1, 2, v26 :: v_dual_lshlrev_b32 v0, 2, v28
	v_lshlrev_b32_e32 v2, 2, v27
	v_add3_u32 v31, v39, v38, v5
	v_add3_u32 v32, v42, v41, v6
	v_lshlrev_b32_e32 v3, 2, v29
	s_barrier_signal -1
	s_barrier_wait -1
	ds_store_b32 v0, v10 offset:1024
	ds_store_b32 v1, v9 offset:1024
	;; [unrolled: 1-line block ×4, first 2 shown]
	v_dual_lshlrev_b32 v0, 2, v30 :: v_dual_lshlrev_b32 v4, 2, v33
	v_dual_mov_b32 v1, 0 :: v_dual_lshlrev_b32 v34, 2, v18
	v_dual_lshlrev_b32 v2, 2, v31 :: v_dual_lshlrev_b32 v3, 2, v32
	ds_store_b32 v0, v14 offset:1024
	ds_store_b32 v2, v13 offset:1024
	;; [unrolled: 1-line block ×4, first 2 shown]
	s_and_saveexec_b32 s11, s10
	s_cbranch_execz .LBB220_53
; %bb.44:
	v_lshl_add_u32 v0, s17, 8, v18
	v_dual_mov_b32 v6, 0 :: v_dual_bitop2_b32 v4, 2.0, v25 bitop3:0x54
	s_mov_b32 s12, 0
	s_mov_b32 s13, s17
	s_delay_alu instid0(VALU_DEP_2)
	v_lshl_add_u64 v[2:3], v[0:1], 2, s[18:19]
	global_store_b32 v0, v4, s[18:19] scale_offset scope:SCOPE_DEV
                                        ; implicit-def: $sgpr10
	s_branch .LBB220_47
.LBB220_45:                             ;   in Loop: Header=BB220_47 Depth=1
	s_or_b32 exec_lo, exec_lo, s16
.LBB220_46:                             ;   in Loop: Header=BB220_47 Depth=1
	s_delay_alu instid0(SALU_CYCLE_1) | instskip(SKIP_2) | instid1(VALU_DEP_2)
	s_or_b32 exec_lo, exec_lo, s15
	v_and_b32_e32 v0, 0x3fffffff, v7
	v_cmp_gt_i32_e64 s10, -2.0, v7
	v_add_nc_u32_e32 v6, v0, v6
	s_and_b32 s15, exec_lo, s10
	s_delay_alu instid0(SALU_CYCLE_1) | instskip(NEXT) | instid1(SALU_CYCLE_1)
	s_or_b32 s12, s15, s12
	s_and_not1_b32 exec_lo, exec_lo, s12
	s_cbranch_execz .LBB220_52
.LBB220_47:                             ; =>This Loop Header: Depth=1
                                        ;     Child Loop BB220_50 Depth 2
	s_or_b32 s10, s10, exec_lo
	s_cmp_eq_u32 s13, 0
	s_cbranch_scc1 .LBB220_51
; %bb.48:                               ;   in Loop: Header=BB220_47 Depth=1
	s_add_co_i32 s13, s13, -1
	s_mov_b32 s15, exec_lo
	s_wait_xcnt 0x0
	v_lshl_or_b32 v0, s13, 8, v18
	global_load_b32 v7, v0, s[18:19] scale_offset scope:SCOPE_DEV
	s_wait_loadcnt 0x0
	v_cmpx_gt_u32_e32 2.0, v7
	s_cbranch_execz .LBB220_46
; %bb.49:                               ;   in Loop: Header=BB220_47 Depth=1
	v_lshl_add_u64 v[4:5], v[0:1], 2, s[18:19]
	s_mov_b32 s16, 0
.LBB220_50:                             ;   Parent Loop BB220_47 Depth=1
                                        ; =>  This Inner Loop Header: Depth=2
	global_load_b32 v7, v[4:5], off scope:SCOPE_DEV
	s_wait_loadcnt 0x0
	v_cmp_lt_u32_e64 s10, 0x3fffffff, v7
	s_or_b32 s16, s10, s16
	s_wait_xcnt 0x0
	s_and_not1_b32 exec_lo, exec_lo, s16
	s_cbranch_execnz .LBB220_50
	s_branch .LBB220_45
.LBB220_51:                             ;   in Loop: Header=BB220_47 Depth=1
                                        ; implicit-def: $sgpr13
	s_and_b32 s15, exec_lo, s10
	s_delay_alu instid0(SALU_CYCLE_1)
	s_or_b32 s12, s15, s12
	s_wait_xcnt 0x0
	s_and_not1_b32 exec_lo, exec_lo, s12
	s_cbranch_execnz .LBB220_47
.LBB220_52:
	s_or_b32 exec_lo, exec_lo, s12
	v_dual_add_nc_u32 v0, v6, v25 :: v_dual_sub_nc_u32 v1, v6, v24
	s_delay_alu instid0(VALU_DEP_1)
	v_or_b32_e32 v0, 0x80000000, v0
	global_store_b32 v[2:3], v0, off scope:SCOPE_DEV
	global_load_b32 v0, v18, s[28:29] scale_offset
	s_wait_loadcnt 0x0
	v_add_nc_u32_e32 v0, v1, v0
	ds_store_b32 v34, v0
.LBB220_53:
	s_wait_xcnt 0x0
	s_or_b32 exec_lo, exec_lo, s11
	v_lshl_add_u32 v35, v19, 5, 0x4850
	s_mov_b32 s11, exec_lo
	s_wait_storecnt_dscnt 0x0
	s_barrier_signal -1
	s_barrier_wait -1
	v_cmpx_gt_u32_e64 s33, v18
	s_cbranch_execz .LBB220_55
; %bb.54:
	ds_load_b32 v0, v34 offset:1024
	s_wait_dscnt 0x0
	v_lshrrev_b32_e32 v1, s36, v0
	s_delay_alu instid0(VALU_DEP_1) | instskip(NEXT) | instid1(VALU_DEP_1)
	v_and_b32_e32 v1, s14, v1
	v_lshlrev_b32_e32 v2, 2, v1
	ds_store_b32 v35, v1
	ds_load_b32 v2, v2
	s_wait_dscnt 0x0
	v_add_nc_u32_e32 v2, v2, v18
	global_store_b32 v2, v0, s[22:23] scale_offset
.LBB220_55:
	s_wait_xcnt 0x0
	s_or_b32 exec_lo, exec_lo, s11
	v_add_nc_u32_e32 v0, 0x200, v18
	s_mov_b32 s11, exec_lo
	s_delay_alu instid0(VALU_DEP_1)
	v_cmpx_gt_u32_e64 s33, v0
	s_cbranch_execz .LBB220_57
; %bb.56:
	ds_load_b32 v1, v34 offset:3072
	s_wait_dscnt 0x0
	v_lshrrev_b32_e32 v2, s36, v1
	s_delay_alu instid0(VALU_DEP_1) | instskip(NEXT) | instid1(VALU_DEP_1)
	v_and_b32_e32 v2, s14, v2
	v_lshlrev_b32_e32 v3, 2, v2
	ds_store_b32 v35, v2 offset:4
	ds_load_b32 v3, v3
	s_wait_dscnt 0x0
	v_add_nc_u32_e32 v0, v3, v0
	global_store_b32 v0, v1, s[22:23] scale_offset
.LBB220_57:
	s_wait_xcnt 0x0
	s_or_b32 exec_lo, exec_lo, s11
	v_or_b32_e32 v0, 0x400, v18
	s_mov_b32 s11, exec_lo
	s_delay_alu instid0(VALU_DEP_1)
	v_cmpx_gt_u32_e64 s33, v0
	s_cbranch_execz .LBB220_59
; %bb.58:
	ds_load_b32 v1, v34 offset:5120
	s_wait_dscnt 0x0
	v_lshrrev_b32_e32 v2, s36, v1
	s_delay_alu instid0(VALU_DEP_1) | instskip(NEXT) | instid1(VALU_DEP_1)
	v_and_b32_e32 v2, s14, v2
	v_lshlrev_b32_e32 v3, 2, v2
	ds_store_b32 v35, v2 offset:8
	ds_load_b32 v3, v3
	s_wait_dscnt 0x0
	v_add_nc_u32_e32 v0, v3, v0
	global_store_b32 v0, v1, s[22:23] scale_offset
.LBB220_59:
	s_wait_xcnt 0x0
	s_or_b32 exec_lo, exec_lo, s11
	v_add_nc_u32_e32 v0, 0x600, v18
	s_mov_b32 s11, exec_lo
	s_delay_alu instid0(VALU_DEP_1)
	v_cmpx_gt_u32_e64 s33, v0
	s_cbranch_execz .LBB220_61
; %bb.60:
	ds_load_b32 v1, v34 offset:7168
	s_wait_dscnt 0x0
	v_lshrrev_b32_e32 v2, s36, v1
	s_delay_alu instid0(VALU_DEP_1) | instskip(NEXT) | instid1(VALU_DEP_1)
	v_and_b32_e32 v2, s14, v2
	v_lshlrev_b32_e32 v3, 2, v2
	ds_store_b32 v35, v2 offset:12
	ds_load_b32 v3, v3
	s_wait_dscnt 0x0
	v_add_nc_u32_e32 v0, v3, v0
	global_store_b32 v0, v1, s[22:23] scale_offset
.LBB220_61:
	s_wait_xcnt 0x0
	s_or_b32 exec_lo, exec_lo, s11
	v_or_b32_e32 v0, 0x800, v18
	v_add_nc_u32_e32 v36, 16, v35
	s_mov_b32 s11, exec_lo
	s_delay_alu instid0(VALU_DEP_2)
	v_cmpx_gt_u32_e64 s33, v0
	s_cbranch_execz .LBB220_63
; %bb.62:
	ds_load_b32 v1, v34 offset:9216
	s_wait_dscnt 0x0
	v_lshrrev_b32_e32 v2, s36, v1
	s_delay_alu instid0(VALU_DEP_1) | instskip(NEXT) | instid1(VALU_DEP_1)
	v_and_b32_e32 v2, s14, v2
	v_lshlrev_b32_e32 v3, 2, v2
	ds_store_b32 v36, v2
	ds_load_b32 v3, v3
	s_wait_dscnt 0x0
	v_add_nc_u32_e32 v0, v3, v0
	global_store_b32 v0, v1, s[22:23] scale_offset
.LBB220_63:
	s_wait_xcnt 0x0
	s_or_b32 exec_lo, exec_lo, s11
	v_add_nc_u32_e32 v0, 0xa00, v18
	s_mov_b32 s11, exec_lo
	s_delay_alu instid0(VALU_DEP_1)
	v_cmpx_gt_u32_e64 s33, v0
	s_cbranch_execz .LBB220_65
; %bb.64:
	ds_load_b32 v1, v34 offset:11264
	s_wait_dscnt 0x0
	v_lshrrev_b32_e32 v2, s36, v1
	s_delay_alu instid0(VALU_DEP_1) | instskip(NEXT) | instid1(VALU_DEP_1)
	v_and_b32_e32 v2, s14, v2
	v_lshlrev_b32_e32 v3, 2, v2
	ds_store_b32 v35, v2 offset:20
	ds_load_b32 v3, v3
	s_wait_dscnt 0x0
	v_add_nc_u32_e32 v0, v3, v0
	global_store_b32 v0, v1, s[22:23] scale_offset
.LBB220_65:
	s_wait_xcnt 0x0
	s_or_b32 exec_lo, exec_lo, s11
	v_or_b32_e32 v0, 0xc00, v18
	s_mov_b32 s11, exec_lo
	s_delay_alu instid0(VALU_DEP_1)
	v_cmpx_gt_u32_e64 s33, v0
	s_cbranch_execz .LBB220_67
; %bb.66:
	ds_load_b32 v1, v34 offset:13312
	s_wait_dscnt 0x0
	v_lshrrev_b32_e32 v2, s36, v1
	s_delay_alu instid0(VALU_DEP_1) | instskip(NEXT) | instid1(VALU_DEP_1)
	v_and_b32_e32 v2, s14, v2
	v_lshlrev_b32_e32 v3, 2, v2
	ds_store_b32 v35, v2 offset:24
	ds_load_b32 v3, v3
	s_wait_dscnt 0x0
	v_add_nc_u32_e32 v0, v3, v0
	global_store_b32 v0, v1, s[22:23] scale_offset
.LBB220_67:
	s_wait_xcnt 0x0
	s_or_b32 exec_lo, exec_lo, s11
	v_add_nc_u32_e32 v0, 0xe00, v18
	s_mov_b32 s11, exec_lo
	s_delay_alu instid0(VALU_DEP_1)
	v_cmpx_gt_u32_e64 s33, v0
	s_cbranch_execz .LBB220_69
; %bb.68:
	ds_load_b32 v1, v34 offset:15360
	s_wait_dscnt 0x0
	v_lshrrev_b32_e32 v2, s36, v1
	s_delay_alu instid0(VALU_DEP_1) | instskip(NEXT) | instid1(VALU_DEP_1)
	v_and_b32_e32 v2, s14, v2
	v_lshlrev_b32_e32 v3, 2, v2
	ds_store_b32 v35, v2 offset:28
	ds_load_b32 v3, v3
	s_wait_dscnt 0x0
	v_add_nc_u32_e32 v0, v3, v0
	global_store_b32 v0, v1, s[22:23] scale_offset
.LBB220_69:
	s_wait_xcnt 0x0
	s_or_b32 exec_lo, exec_lo, s11
	v_dual_mov_b32 v0, 0 :: v_dual_lshlrev_b32 v2, 3, v20
	s_lshl_b64 s[10:11], s[40:41], 3
	v_lshlrev_b32_e32 v4, 3, v8
	s_add_nc_u64 s[10:11], s[24:25], s[10:11]
	s_delay_alu instid0(VALU_DEP_2) | instskip(NEXT) | instid1(VALU_DEP_1)
	v_dual_mov_b32 v3, v0 :: v_dual_mov_b32 v5, v0
	v_add_nc_u64_e32 v[2:3], s[10:11], v[2:3]
	s_delay_alu instid0(VALU_DEP_1)
	v_add_nc_u64_e32 v[16:17], v[2:3], v[4:5]
	v_dual_mov_b32 v2, 0 :: v_dual_mov_b32 v3, 0
	s_and_saveexec_b32 s10, s8
	s_cbranch_execz .LBB220_71
; %bb.70:
	global_load_b64 v[2:3], v[16:17], off
.LBB220_71:
	s_wait_xcnt 0x0
	s_or_b32 exec_lo, exec_lo, s10
	v_mov_b32_e32 v1, 0
	s_and_saveexec_b32 s8, s7
	s_cbranch_execz .LBB220_73
; %bb.72:
	global_load_b64 v[0:1], v[16:17], off offset:256
.LBB220_73:
	s_wait_xcnt 0x0
	s_or_b32 exec_lo, exec_lo, s8
	v_dual_mov_b32 v4, 0 :: v_dual_mov_b32 v6, 0
	v_mov_b32_e32 v7, 0
	s_and_saveexec_b32 s7, s6
	s_cbranch_execz .LBB220_75
; %bb.74:
	global_load_b64 v[6:7], v[16:17], off offset:512
.LBB220_75:
	s_wait_xcnt 0x0
	s_or_b32 exec_lo, exec_lo, s7
	v_mov_b32_e32 v5, 0
	s_and_saveexec_b32 s6, s5
	s_cbranch_execz .LBB220_77
; %bb.76:
	global_load_b64 v[4:5], v[16:17], off offset:768
.LBB220_77:
	s_wait_xcnt 0x0
	s_or_b32 exec_lo, exec_lo, s6
	v_dual_mov_b32 v8, 0 :: v_dual_mov_b32 v10, 0
	v_mov_b32_e32 v11, 0
	s_and_saveexec_b32 s5, s4
	s_cbranch_execz .LBB220_79
; %bb.78:
	global_load_b64 v[10:11], v[16:17], off offset:1024
.LBB220_79:
	;; [unrolled: 17-line block ×3, first 2 shown]
	s_wait_xcnt 0x0
	s_or_b32 exec_lo, exec_lo, s1
	v_mov_b32_e32 v13, 0
	s_and_saveexec_b32 s0, vcc_lo
	s_cbranch_execz .LBB220_85
; %bb.84:
	global_load_b64 v[12:13], v[16:17], off offset:1792
.LBB220_85:
	s_wait_xcnt 0x0
	s_or_b32 exec_lo, exec_lo, s0
	v_mov_b32_e32 v16, v18
	s_mov_b32 s0, -1
	s_wait_loadcnt 0x0
	s_wait_storecnt 0x0
	s_barrier_signal -1
	s_barrier_wait -1
	s_branch .LBB220_87
.LBB220_86:                             ;   in Loop: Header=BB220_87 Depth=1
	s_wait_xcnt 0x0
	s_or_b32 exec_lo, exec_lo, s1
	v_dual_mov_b32 v35, v36 :: v_dual_add_nc_u32 v16, 0x800, v16
	v_add_nc_u32_e32 v33, 0xfffff800, v33
	v_add_nc_u32_e32 v32, 0xfffff800, v32
	;; [unrolled: 1-line block ×8, first 2 shown]
	s_xor_b32 s0, s0, -1
	s_wait_storecnt 0x0
	s_and_b32 vcc_lo, exec_lo, s0
	s_mov_b32 s0, 0
	s_barrier_signal -1
	s_barrier_wait -1
	s_cbranch_vccnz .LBB220_95
.LBB220_87:                             ; =>This Inner Loop Header: Depth=1
	v_min_u32_e32 v17, 0x800, v28
	v_min_u32_e32 v37, 0x800, v26
	;; [unrolled: 1-line block ×5, first 2 shown]
	v_lshlrev_b32_e32 v17, 3, v17
	s_delay_alu instid0(VALU_DEP_4) | instskip(NEXT) | instid1(VALU_DEP_4)
	v_dual_lshlrev_b32 v37, 3, v37 :: v_dual_lshlrev_b32 v38, 3, v38
	v_lshlrev_b32_e32 v39, 3, v39
	s_mov_b32 s1, exec_lo
	ds_store_b64 v17, v[2:3] offset:1024
	ds_store_b64 v37, v[0:1] offset:1024
	ds_store_b64 v38, v[6:7] offset:1024
	v_min_u32_e32 v17, 0x800, v31
	v_min_u32_e32 v37, 0x800, v32
	;; [unrolled: 1-line block ×3, first 2 shown]
	s_delay_alu instid0(VALU_DEP_3) | instskip(NEXT) | instid1(VALU_DEP_2)
	v_dual_lshlrev_b32 v40, 3, v40 :: v_dual_lshlrev_b32 v17, 3, v17
	v_dual_lshlrev_b32 v37, 3, v37 :: v_dual_lshlrev_b32 v38, 3, v38
	ds_store_b64 v39, v[4:5] offset:1024
	ds_store_b64 v40, v[10:11] offset:1024
	;; [unrolled: 1-line block ×5, first 2 shown]
	s_wait_dscnt 0x0
	s_barrier_signal -1
	s_barrier_wait -1
	v_cmpx_gt_u32_e64 s33, v16
	s_cbranch_execz .LBB220_89
; %bb.88:                               ;   in Loop: Header=BB220_87 Depth=1
	ds_load_b32 v17, v35
	s_wait_dscnt 0x0
	v_lshlrev_b32_e32 v17, 2, v17
	ds_load_b32 v17, v17
	ds_load_b64 v[38:39], v23 offset:1024
	s_wait_dscnt 0x1
	v_add_nc_u32_e32 v17, v16, v17
	s_wait_dscnt 0x0
	global_store_b64 v17, v[38:39], s[26:27] scale_offset
.LBB220_89:                             ;   in Loop: Header=BB220_87 Depth=1
	s_wait_xcnt 0x0
	s_or_b32 exec_lo, exec_lo, s1
	v_add_nc_u32_e32 v17, 0x200, v16
	s_mov_b32 s1, exec_lo
	s_delay_alu instid0(VALU_DEP_1)
	v_cmpx_gt_u32_e64 s33, v17
	s_cbranch_execz .LBB220_91
; %bb.90:                               ;   in Loop: Header=BB220_87 Depth=1
	ds_load_b32 v17, v35 offset:4
	s_wait_dscnt 0x0
	v_lshlrev_b32_e32 v17, 2, v17
	ds_load_b32 v17, v17
	ds_load_b64 v[38:39], v23 offset:5120
	s_wait_dscnt 0x1
	v_add3_u32 v17, v16, v17, 0x200
	s_wait_dscnt 0x0
	global_store_b64 v17, v[38:39], s[26:27] scale_offset
.LBB220_91:                             ;   in Loop: Header=BB220_87 Depth=1
	s_wait_xcnt 0x0
	s_or_b32 exec_lo, exec_lo, s1
	v_add_nc_u32_e32 v17, 0x400, v16
	s_mov_b32 s1, exec_lo
	s_delay_alu instid0(VALU_DEP_1)
	v_cmpx_gt_u32_e64 s33, v17
	s_cbranch_execz .LBB220_93
; %bb.92:                               ;   in Loop: Header=BB220_87 Depth=1
	ds_load_b32 v17, v35 offset:8
	s_wait_dscnt 0x0
	v_lshlrev_b32_e32 v17, 2, v17
	ds_load_b32 v17, v17
	ds_load_b64 v[38:39], v23 offset:9216
	s_wait_dscnt 0x1
	v_add3_u32 v17, v16, v17, 0x400
	s_wait_dscnt 0x0
	global_store_b64 v17, v[38:39], s[26:27] scale_offset
.LBB220_93:                             ;   in Loop: Header=BB220_87 Depth=1
	s_wait_xcnt 0x0
	s_or_b32 exec_lo, exec_lo, s1
	v_add_nc_u32_e32 v17, 0x600, v16
	s_mov_b32 s1, exec_lo
	s_delay_alu instid0(VALU_DEP_1)
	v_cmpx_gt_u32_e64 s33, v17
	s_cbranch_execz .LBB220_86
; %bb.94:                               ;   in Loop: Header=BB220_87 Depth=1
	ds_load_b32 v17, v35 offset:12
	s_wait_dscnt 0x0
	v_lshlrev_b32_e32 v17, 2, v17
	ds_load_b32 v17, v17
	ds_load_b64 v[38:39], v23 offset:13312
	s_wait_dscnt 0x1
	v_add3_u32 v17, v16, v17, 0x600
	s_wait_dscnt 0x0
	global_store_b64 v17, v[38:39], s[26:27] scale_offset
	s_branch .LBB220_86
.LBB220_95:
	s_add_co_i32 s38, s38, -1
	s_delay_alu instid0(SALU_CYCLE_1) | instskip(SKIP_2) | instid1(SALU_CYCLE_1)
	s_cmp_eq_u32 s17, s38
	s_cselect_b32 s0, -1, 0
	s_xor_b32 s1, s9, -1
	s_and_b32 s1, s1, s0
	s_delay_alu instid0(SALU_CYCLE_1)
	s_and_saveexec_b32 s0, s1
	s_cbranch_execz .LBB220_97
; %bb.96:
	ds_load_b32 v0, v34
	s_wait_dscnt 0x0
	v_add3_u32 v0, v24, v25, v0
	global_store_b32 v18, v0, s[30:31] scale_offset
.LBB220_97:
	s_wait_xcnt 0x0
	s_or_b32 exec_lo, exec_lo, s0
	s_mov_b32 s0, 0
.LBB220_98:
	s_delay_alu instid0(SALU_CYCLE_1)
	s_and_b32 vcc_lo, exec_lo, s0
	s_cbranch_vccz .LBB220_139
; %bb.99:
	s_lshl_b32 s8, s17, 12
	s_mov_b32 s9, 0
	v_dual_mov_b32 v3, 0 :: v_dual_lshlrev_b32 v2, 2, v20
	s_lshl_b64 s[0:1], s[8:9], 2
	v_and_b32_e32 v8, 0x1f00, v23
	s_add_nc_u64 s[0:1], s[20:21], s[0:1]
	v_mul_u32_u24_e32 v27, 36, v18
	v_add_nc_u64_e32 v[0:1], s[0:1], v[2:3]
	s_mov_b32 s1, s9
	v_lshlrev_b32_e32 v2, 2, v8
	s_delay_alu instid0(VALU_DEP_1)
	v_add_nc_u64_e32 v[0:1], v[0:1], v[2:3]
	s_clause 0x7
	global_load_b32 v13, v[0:1], off
	global_load_b32 v14, v[0:1], off offset:128
	global_load_b32 v15, v[0:1], off offset:256
	;; [unrolled: 1-line block ×7, first 2 shown]
	s_clause 0x1
	s_load_b32 s7, s[2:3], 0x58
	s_load_u16 s4, s[2:3], 0x66
	s_wait_kmcnt 0x0
	s_cmp_lt_u32 s17, s7
	v_mad_u32_u24 v1, v22, s4, v21
	s_cselect_b32 s0, 12, 18
	s_lshl_b32 s10, -1, s37
	s_add_nc_u64 s[0:1], s[34:35], s[0:1]
	s_load_u16 s11, s[0:1], 0x0
	ds_store_2addr_b32 v27, v3, v3 offset0:16 offset1:17
	ds_store_2addr_b32 v27, v3, v3 offset0:18 offset1:19
	;; [unrolled: 1-line block ×4, first 2 shown]
	ds_store_b32 v27, v3 offset:96
	s_wait_storecnt 0x0
	s_wait_loadcnt_dscnt 0x0
	s_barrier_signal -1
	s_barrier_wait -1
	; wave barrier
	v_lshrrev_b32_e32 v0, s36, v13
	s_delay_alu instid0(VALU_DEP_1) | instskip(SKIP_2) | instid1(VALU_DEP_2)
	v_bitop3_b32 v2, v0, 1, s10 bitop3:0x40
	v_bitop3_b32 v0, v0, s10, v0 bitop3:0x30
	s_wait_xcnt 0x0
	v_add_co_u32 v2, s0, v2, -1
	s_delay_alu instid0(VALU_DEP_1) | instskip(NEXT) | instid1(VALU_DEP_3)
	v_cndmask_b32_e64 v4, 0, 1, s0
	v_dual_lshlrev_b32 v5, 30, v0 :: v_dual_lshlrev_b32 v6, 29, v0
	v_dual_lshlrev_b32 v7, 28, v0 :: v_dual_lshlrev_b32 v16, 27, v0
	s_delay_alu instid0(VALU_DEP_3) | instskip(NEXT) | instid1(VALU_DEP_3)
	v_cmp_ne_u32_e32 vcc_lo, 0, v4
	v_not_b32_e32 v4, v5
	v_dual_lshlrev_b32 v17, 26, v0 :: v_dual_lshlrev_b32 v21, 25, v0
	v_cmp_gt_i32_e64 s0, 0, v5
	v_cmp_gt_i32_e64 s1, 0, v6
	v_not_b32_e32 v5, v6
	v_not_b32_e32 v6, v7
	v_ashrrev_i32_e32 v4, 31, v4
	v_dual_lshlrev_b32 v22, 24, v0 :: v_dual_bitop2_b32 v2, vcc_lo, v2 bitop3:0x14
	v_cmp_gt_i32_e64 s2, 0, v7
	v_cmp_gt_i32_e64 s3, 0, v16
	v_not_b32_e32 v7, v16
	v_not_b32_e32 v16, v17
	v_dual_ashrrev_i32 v5, 31, v5 :: v_dual_ashrrev_i32 v6, 31, v6
	v_xor_b32_e32 v4, s0, v4
	v_cmp_gt_i32_e64 s4, 0, v17
	v_cmp_gt_i32_e64 s5, 0, v21
	v_not_b32_e32 v17, v21
	v_not_b32_e32 v21, v22
	v_dual_ashrrev_i32 v7, 31, v7 :: v_dual_ashrrev_i32 v16, 31, v16
	v_xor_b32_e32 v5, s1, v5
	v_xor_b32_e32 v6, s2, v6
	v_bitop3_b32 v2, v2, v4, exec_lo bitop3:0x80
	v_cmp_gt_i32_e64 s6, 0, v22
	v_ashrrev_i32_e32 v4, 31, v17
	v_dual_ashrrev_i32 v17, 31, v21 :: v_dual_bitop2_b32 v7, s3, v7 bitop3:0x14
	s_delay_alu instid0(VALU_DEP_4)
	v_bitop3_b32 v2, v2, v6, v5 bitop3:0x80
	s_wait_kmcnt 0x0
	v_mad_u32 v5, v1, s11, v18
	v_xor_b32_e32 v16, s4, v16
	v_xor_b32_e32 v1, s5, v4
	v_xor_b32_e32 v4, s6, v17
	s_not_b32 s4, s10
	s_delay_alu instid0(VALU_DEP_3) | instskip(NEXT) | instid1(VALU_DEP_1)
	v_bitop3_b32 v2, v2, v16, v7 bitop3:0x80
	v_bitop3_b32 v1, v2, v4, v1 bitop3:0x80
	v_mul_lo_u32 v2, 0x44, v0
	v_lshrrev_b32_e32 v0, 3, v5
	s_delay_alu instid0(VALU_DEP_3) | instskip(SKIP_1) | instid1(VALU_DEP_3)
	v_mbcnt_lo_u32_b32 v26, v1, 0
	v_cmp_ne_u32_e64 s0, 0, v1
	v_and_b32_e32 v0, 0x1ffffffc, v0
	s_delay_alu instid0(VALU_DEP_3) | instskip(NEXT) | instid1(VALU_DEP_2)
	v_cmp_eq_u32_e32 vcc_lo, 0, v26
	v_add_nc_u32_e32 v30, v0, v2
	s_and_b32 s1, s0, vcc_lo
	s_delay_alu instid0(SALU_CYCLE_1)
	s_and_saveexec_b32 s0, s1
; %bb.100:
	v_bcnt_u32_b32 v1, v1, 0
	ds_store_b32 v30, v1 offset:64
; %bb.101:
	s_or_b32 exec_lo, exec_lo, s0
	v_lshrrev_b32_e32 v1, s36, v14
	; wave barrier
	s_delay_alu instid0(VALU_DEP_1) | instskip(SKIP_1) | instid1(VALU_DEP_2)
	v_and_b32_e32 v2, s4, v1
	v_bitop3_b32 v1, v1, 1, s4 bitop3:0x80
	v_dual_lshlrev_b32 v5, 30, v2 :: v_dual_lshlrev_b32 v6, 29, v2
	s_delay_alu instid0(VALU_DEP_2) | instskip(NEXT) | instid1(VALU_DEP_1)
	v_add_co_u32 v1, s0, v1, -1
	v_cndmask_b32_e64 v4, 0, 1, s0
	v_lshlrev_b32_e32 v7, 28, v2
	s_delay_alu instid0(VALU_DEP_4) | instskip(SKIP_1) | instid1(VALU_DEP_4)
	v_cmp_gt_i32_e64 s0, 0, v5
	v_cmp_gt_i32_e64 s1, 0, v6
	v_cmp_ne_u32_e32 vcc_lo, 0, v4
	v_not_b32_e32 v4, v5
	v_not_b32_e32 v5, v6
	;; [unrolled: 1-line block ×3, first 2 shown]
	s_delay_alu instid0(VALU_DEP_3) | instskip(NEXT) | instid1(VALU_DEP_2)
	v_dual_ashrrev_i32 v4, 31, v4 :: v_dual_bitop2_b32 v1, vcc_lo, v1 bitop3:0x14
	v_dual_ashrrev_i32 v5, 31, v5 :: v_dual_ashrrev_i32 v6, 31, v6
	v_mul_lo_u32 v3, 0x44, v2
	v_dual_lshlrev_b32 v16, 27, v2 :: v_dual_lshlrev_b32 v17, 26, v2
	v_dual_lshlrev_b32 v21, 25, v2 :: v_dual_lshlrev_b32 v2, 24, v2
	v_cmp_gt_i32_e64 s2, 0, v7
	v_xor_b32_e32 v4, s0, v4
	s_delay_alu instid0(VALU_DEP_4)
	v_not_b32_e32 v7, v16
	v_not_b32_e32 v22, v17
	v_xor_b32_e32 v5, s1, v5
	v_xor_b32_e32 v6, s2, v6
	v_bitop3_b32 v1, v1, v4, exec_lo bitop3:0x80
	v_cmp_gt_i32_e32 vcc_lo, 0, v16
	v_ashrrev_i32_e32 v4, 31, v7
	v_cmp_gt_i32_e64 s0, 0, v17
	v_ashrrev_i32_e32 v7, 31, v22
	v_bitop3_b32 v1, v1, v6, v5 bitop3:0x80
	v_not_b32_e32 v5, v21
	v_not_b32_e32 v6, v2
	v_xor_b32_e32 v4, vcc_lo, v4
	v_xor_b32_e32 v7, s0, v7
	v_cmp_gt_i32_e32 vcc_lo, 0, v21
	v_ashrrev_i32_e32 v5, 31, v5
	v_cmp_gt_i32_e64 s0, 0, v2
	v_dual_ashrrev_i32 v2, 31, v6 :: v_dual_add_nc_u32 v31, v0, v3
	v_bitop3_b32 v1, v1, v7, v4 bitop3:0x80
	s_delay_alu instid0(VALU_DEP_4) | instskip(NEXT) | instid1(VALU_DEP_3)
	v_xor_b32_e32 v3, vcc_lo, v5
	v_xor_b32_e32 v2, s0, v2
	ds_load_b32 v16, v31 offset:64
	; wave barrier
	v_bitop3_b32 v1, v1, v2, v3 bitop3:0x80
	s_delay_alu instid0(VALU_DEP_1) | instskip(SKIP_1) | instid1(VALU_DEP_2)
	v_mbcnt_lo_u32_b32 v17, v1, 0
	v_cmp_ne_u32_e64 s0, 0, v1
	v_cmp_eq_u32_e32 vcc_lo, 0, v17
	s_and_b32 s1, s0, vcc_lo
	s_delay_alu instid0(SALU_CYCLE_1)
	s_and_saveexec_b32 s0, s1
	s_cbranch_execz .LBB220_103
; %bb.102:
	s_wait_dscnt 0x0
	v_bcnt_u32_b32 v1, v1, v16
	ds_store_b32 v31, v1 offset:64
.LBB220_103:
	s_or_b32 exec_lo, exec_lo, s0
	v_lshrrev_b32_e32 v1, s36, v15
	; wave barrier
	s_delay_alu instid0(VALU_DEP_1) | instskip(NEXT) | instid1(VALU_DEP_1)
	v_and_b32_e32 v2, s4, v1
	v_lshlrev_b32_e32 v5, 30, v2
	v_bitop3_b32 v1, v1, 1, s4 bitop3:0x80
	s_delay_alu instid0(VALU_DEP_1) | instskip(NEXT) | instid1(VALU_DEP_1)
	v_add_co_u32 v1, s0, v1, -1
	v_cndmask_b32_e64 v4, 0, 1, s0
	s_delay_alu instid0(VALU_DEP_4) | instskip(NEXT) | instid1(VALU_DEP_2)
	v_cmp_gt_i32_e64 s0, 0, v5
	v_cmp_ne_u32_e32 vcc_lo, 0, v4
	v_not_b32_e32 v4, v5
	s_delay_alu instid0(VALU_DEP_1) | instskip(SKIP_3) | instid1(VALU_DEP_4)
	v_dual_ashrrev_i32 v4, 31, v4 :: v_dual_lshlrev_b32 v6, 29, v2
	v_dual_lshlrev_b32 v7, 28, v2 :: v_dual_lshlrev_b32 v21, 27, v2
	v_lshlrev_b32_e32 v22, 26, v2
	v_mul_lo_u32 v3, 0x44, v2
	v_cmp_gt_i32_e64 s1, 0, v6
	v_not_b32_e32 v5, v6
	v_not_b32_e32 v6, v7
	v_cmp_gt_i32_e64 s2, 0, v7
	v_xor_b32_e32 v1, vcc_lo, v1
	s_delay_alu instid0(VALU_DEP_4) | instskip(NEXT) | instid1(VALU_DEP_4)
	v_dual_ashrrev_i32 v5, 31, v5 :: v_dual_bitop2_b32 v4, s0, v4 bitop3:0x14
	v_ashrrev_i32_e32 v6, 31, v6
	v_dual_lshlrev_b32 v24, 25, v2 :: v_dual_lshlrev_b32 v2, 24, v2
	v_not_b32_e32 v7, v21
	v_not_b32_e32 v25, v22
	v_xor_b32_e32 v5, s1, v5
	v_xor_b32_e32 v6, s2, v6
	v_bitop3_b32 v1, v1, v4, exec_lo bitop3:0x80
	v_cmp_gt_i32_e32 vcc_lo, 0, v21
	v_ashrrev_i32_e32 v4, 31, v7
	v_cmp_gt_i32_e64 s0, 0, v22
	v_ashrrev_i32_e32 v7, 31, v25
	v_bitop3_b32 v1, v1, v6, v5 bitop3:0x80
	v_not_b32_e32 v5, v24
	v_not_b32_e32 v6, v2
	v_xor_b32_e32 v4, vcc_lo, v4
	v_xor_b32_e32 v7, s0, v7
	v_cmp_gt_i32_e32 vcc_lo, 0, v24
	v_ashrrev_i32_e32 v5, 31, v5
	v_cmp_gt_i32_e64 s0, 0, v2
	v_dual_ashrrev_i32 v2, 31, v6 :: v_dual_add_nc_u32 v34, v0, v3
	v_bitop3_b32 v1, v1, v7, v4 bitop3:0x80
	s_delay_alu instid0(VALU_DEP_4) | instskip(NEXT) | instid1(VALU_DEP_3)
	v_xor_b32_e32 v3, vcc_lo, v5
	v_xor_b32_e32 v2, s0, v2
	ds_load_b32 v21, v34 offset:64
	; wave barrier
	v_bitop3_b32 v1, v1, v2, v3 bitop3:0x80
	s_delay_alu instid0(VALU_DEP_1) | instskip(SKIP_1) | instid1(VALU_DEP_2)
	v_mbcnt_lo_u32_b32 v22, v1, 0
	v_cmp_ne_u32_e64 s0, 0, v1
	v_cmp_eq_u32_e32 vcc_lo, 0, v22
	s_and_b32 s1, s0, vcc_lo
	s_delay_alu instid0(SALU_CYCLE_1)
	s_and_saveexec_b32 s0, s1
	s_cbranch_execz .LBB220_105
; %bb.104:
	s_wait_dscnt 0x0
	v_bcnt_u32_b32 v1, v1, v21
	ds_store_b32 v34, v1 offset:64
.LBB220_105:
	s_or_b32 exec_lo, exec_lo, s0
	v_lshrrev_b32_e32 v1, s36, v23
	; wave barrier
	s_delay_alu instid0(VALU_DEP_1) | instskip(NEXT) | instid1(VALU_DEP_1)
	v_and_b32_e32 v2, s4, v1
	v_lshlrev_b32_e32 v5, 30, v2
	v_bitop3_b32 v1, v1, 1, s4 bitop3:0x80
	s_delay_alu instid0(VALU_DEP_1) | instskip(NEXT) | instid1(VALU_DEP_1)
	v_add_co_u32 v1, s0, v1, -1
	v_cndmask_b32_e64 v4, 0, 1, s0
	s_delay_alu instid0(VALU_DEP_4) | instskip(NEXT) | instid1(VALU_DEP_2)
	v_cmp_gt_i32_e64 s0, 0, v5
	v_cmp_ne_u32_e32 vcc_lo, 0, v4
	v_not_b32_e32 v4, v5
	s_delay_alu instid0(VALU_DEP_1) | instskip(SKIP_3) | instid1(VALU_DEP_4)
	v_dual_ashrrev_i32 v4, 31, v4 :: v_dual_lshlrev_b32 v6, 29, v2
	v_dual_lshlrev_b32 v7, 28, v2 :: v_dual_lshlrev_b32 v24, 27, v2
	v_lshlrev_b32_e32 v25, 26, v2
	v_mul_lo_u32 v3, 0x44, v2
	v_cmp_gt_i32_e64 s1, 0, v6
	v_not_b32_e32 v5, v6
	v_not_b32_e32 v6, v7
	v_cmp_gt_i32_e64 s2, 0, v7
	v_xor_b32_e32 v1, vcc_lo, v1
	s_delay_alu instid0(VALU_DEP_4) | instskip(NEXT) | instid1(VALU_DEP_4)
	v_dual_ashrrev_i32 v5, 31, v5 :: v_dual_bitop2_b32 v4, s0, v4 bitop3:0x14
	v_ashrrev_i32_e32 v6, 31, v6
	v_dual_lshlrev_b32 v28, 25, v2 :: v_dual_lshlrev_b32 v2, 24, v2
	v_not_b32_e32 v7, v24
	v_not_b32_e32 v29, v25
	v_xor_b32_e32 v5, s1, v5
	v_xor_b32_e32 v6, s2, v6
	v_bitop3_b32 v1, v1, v4, exec_lo bitop3:0x80
	v_cmp_gt_i32_e32 vcc_lo, 0, v24
	v_ashrrev_i32_e32 v4, 31, v7
	v_cmp_gt_i32_e64 s0, 0, v25
	v_ashrrev_i32_e32 v7, 31, v29
	v_bitop3_b32 v1, v1, v6, v5 bitop3:0x80
	v_not_b32_e32 v5, v28
	v_not_b32_e32 v6, v2
	v_xor_b32_e32 v4, vcc_lo, v4
	v_xor_b32_e32 v7, s0, v7
	v_cmp_gt_i32_e32 vcc_lo, 0, v28
	v_ashrrev_i32_e32 v5, 31, v5
	v_cmp_gt_i32_e64 s0, 0, v2
	v_dual_ashrrev_i32 v2, 31, v6 :: v_dual_add_nc_u32 v38, v0, v3
	v_bitop3_b32 v1, v1, v7, v4 bitop3:0x80
	s_delay_alu instid0(VALU_DEP_4) | instskip(NEXT) | instid1(VALU_DEP_3)
	v_xor_b32_e32 v3, vcc_lo, v5
	v_xor_b32_e32 v2, s0, v2
	ds_load_b32 v24, v38 offset:64
	; wave barrier
	v_bitop3_b32 v1, v1, v2, v3 bitop3:0x80
	s_delay_alu instid0(VALU_DEP_1) | instskip(SKIP_1) | instid1(VALU_DEP_2)
	v_mbcnt_lo_u32_b32 v25, v1, 0
	v_cmp_ne_u32_e64 s0, 0, v1
	v_cmp_eq_u32_e32 vcc_lo, 0, v25
	s_and_b32 s1, s0, vcc_lo
	s_delay_alu instid0(SALU_CYCLE_1)
	s_and_saveexec_b32 s0, s1
	s_cbranch_execz .LBB220_107
; %bb.106:
	s_wait_dscnt 0x0
	v_bcnt_u32_b32 v1, v1, v24
	ds_store_b32 v38, v1 offset:64
.LBB220_107:
	s_or_b32 exec_lo, exec_lo, s0
	v_lshrrev_b32_e32 v1, s36, v9
	; wave barrier
	s_delay_alu instid0(VALU_DEP_1) | instskip(NEXT) | instid1(VALU_DEP_1)
	v_and_b32_e32 v2, s4, v1
	v_lshlrev_b32_e32 v5, 30, v2
	v_bitop3_b32 v1, v1, 1, s4 bitop3:0x80
	s_delay_alu instid0(VALU_DEP_1) | instskip(NEXT) | instid1(VALU_DEP_1)
	v_add_co_u32 v1, s0, v1, -1
	v_cndmask_b32_e64 v4, 0, 1, s0
	s_delay_alu instid0(VALU_DEP_4) | instskip(NEXT) | instid1(VALU_DEP_2)
	v_cmp_gt_i32_e64 s0, 0, v5
	v_cmp_ne_u32_e32 vcc_lo, 0, v4
	v_not_b32_e32 v4, v5
	s_delay_alu instid0(VALU_DEP_1) | instskip(SKIP_3) | instid1(VALU_DEP_4)
	v_dual_ashrrev_i32 v4, 31, v4 :: v_dual_lshlrev_b32 v6, 29, v2
	v_dual_lshlrev_b32 v7, 28, v2 :: v_dual_lshlrev_b32 v28, 27, v2
	v_lshlrev_b32_e32 v29, 26, v2
	v_mul_lo_u32 v3, 0x44, v2
	v_cmp_gt_i32_e64 s1, 0, v6
	v_not_b32_e32 v5, v6
	v_not_b32_e32 v6, v7
	v_cmp_gt_i32_e64 s2, 0, v7
	v_xor_b32_e32 v1, vcc_lo, v1
	s_delay_alu instid0(VALU_DEP_4) | instskip(NEXT) | instid1(VALU_DEP_4)
	v_dual_ashrrev_i32 v5, 31, v5 :: v_dual_bitop2_b32 v4, s0, v4 bitop3:0x14
	v_ashrrev_i32_e32 v6, 31, v6
	v_dual_lshlrev_b32 v32, 25, v2 :: v_dual_lshlrev_b32 v2, 24, v2
	v_not_b32_e32 v7, v28
	v_not_b32_e32 v33, v29
	v_xor_b32_e32 v5, s1, v5
	v_xor_b32_e32 v6, s2, v6
	v_bitop3_b32 v1, v1, v4, exec_lo bitop3:0x80
	v_cmp_gt_i32_e32 vcc_lo, 0, v28
	v_ashrrev_i32_e32 v4, 31, v7
	v_cmp_gt_i32_e64 s0, 0, v29
	v_ashrrev_i32_e32 v7, 31, v33
	v_bitop3_b32 v1, v1, v6, v5 bitop3:0x80
	v_not_b32_e32 v5, v32
	v_not_b32_e32 v6, v2
	v_xor_b32_e32 v4, vcc_lo, v4
	v_xor_b32_e32 v7, s0, v7
	v_cmp_gt_i32_e32 vcc_lo, 0, v32
	v_ashrrev_i32_e32 v5, 31, v5
	v_cmp_gt_i32_e64 s0, 0, v2
	v_dual_ashrrev_i32 v2, 31, v6 :: v_dual_add_nc_u32 v41, v0, v3
	v_bitop3_b32 v1, v1, v7, v4 bitop3:0x80
	s_delay_alu instid0(VALU_DEP_4) | instskip(NEXT) | instid1(VALU_DEP_3)
	v_xor_b32_e32 v3, vcc_lo, v5
	v_xor_b32_e32 v2, s0, v2
	ds_load_b32 v28, v41 offset:64
	; wave barrier
	v_bitop3_b32 v1, v1, v2, v3 bitop3:0x80
	s_delay_alu instid0(VALU_DEP_1) | instskip(SKIP_1) | instid1(VALU_DEP_2)
	v_mbcnt_lo_u32_b32 v29, v1, 0
	v_cmp_ne_u32_e64 s0, 0, v1
	v_cmp_eq_u32_e32 vcc_lo, 0, v29
	s_and_b32 s1, s0, vcc_lo
	s_delay_alu instid0(SALU_CYCLE_1)
	s_and_saveexec_b32 s0, s1
	s_cbranch_execz .LBB220_109
; %bb.108:
	s_wait_dscnt 0x0
	v_bcnt_u32_b32 v1, v1, v28
	ds_store_b32 v41, v1 offset:64
.LBB220_109:
	s_or_b32 exec_lo, exec_lo, s0
	v_lshrrev_b32_e32 v1, s36, v10
	; wave barrier
	s_delay_alu instid0(VALU_DEP_1) | instskip(SKIP_1) | instid1(VALU_DEP_2)
	v_and_b32_e32 v2, s4, v1
	v_bitop3_b32 v1, v1, 1, s4 bitop3:0x80
	v_dual_lshlrev_b32 v5, 30, v2 :: v_dual_lshlrev_b32 v6, 29, v2
	s_delay_alu instid0(VALU_DEP_2) | instskip(NEXT) | instid1(VALU_DEP_1)
	v_add_co_u32 v1, s0, v1, -1
	v_cndmask_b32_e64 v4, 0, 1, s0
	v_lshlrev_b32_e32 v7, 28, v2
	s_delay_alu instid0(VALU_DEP_4) | instskip(SKIP_1) | instid1(VALU_DEP_4)
	v_cmp_gt_i32_e64 s0, 0, v5
	v_cmp_gt_i32_e64 s1, 0, v6
	v_cmp_ne_u32_e32 vcc_lo, 0, v4
	v_not_b32_e32 v4, v5
	v_not_b32_e32 v5, v6
	;; [unrolled: 1-line block ×3, first 2 shown]
	s_delay_alu instid0(VALU_DEP_3) | instskip(NEXT) | instid1(VALU_DEP_2)
	v_dual_ashrrev_i32 v4, 31, v4 :: v_dual_bitop2_b32 v1, vcc_lo, v1 bitop3:0x14
	v_dual_ashrrev_i32 v5, 31, v5 :: v_dual_ashrrev_i32 v6, 31, v6
	v_mul_lo_u32 v3, 0x44, v2
	v_dual_lshlrev_b32 v32, 27, v2 :: v_dual_lshlrev_b32 v33, 26, v2
	v_dual_lshlrev_b32 v35, 25, v2 :: v_dual_lshlrev_b32 v2, 24, v2
	v_cmp_gt_i32_e64 s2, 0, v7
	v_xor_b32_e32 v4, s0, v4
	s_delay_alu instid0(VALU_DEP_4)
	v_not_b32_e32 v7, v32
	v_not_b32_e32 v36, v33
	v_xor_b32_e32 v5, s1, v5
	v_xor_b32_e32 v6, s2, v6
	v_bitop3_b32 v1, v1, v4, exec_lo bitop3:0x80
	v_cmp_gt_i32_e32 vcc_lo, 0, v32
	v_ashrrev_i32_e32 v4, 31, v7
	v_cmp_gt_i32_e64 s0, 0, v33
	v_ashrrev_i32_e32 v7, 31, v36
	v_bitop3_b32 v1, v1, v6, v5 bitop3:0x80
	v_not_b32_e32 v5, v35
	v_not_b32_e32 v6, v2
	v_xor_b32_e32 v4, vcc_lo, v4
	v_xor_b32_e32 v7, s0, v7
	v_cmp_gt_i32_e32 vcc_lo, 0, v35
	v_ashrrev_i32_e32 v5, 31, v5
	v_cmp_gt_i32_e64 s0, 0, v2
	v_dual_ashrrev_i32 v2, 31, v6 :: v_dual_add_nc_u32 v42, v0, v3
	v_bitop3_b32 v1, v1, v7, v4 bitop3:0x80
	s_delay_alu instid0(VALU_DEP_4) | instskip(NEXT) | instid1(VALU_DEP_3)
	v_xor_b32_e32 v3, vcc_lo, v5
	v_xor_b32_e32 v2, s0, v2
	ds_load_b32 v32, v42 offset:64
	; wave barrier
	v_bitop3_b32 v1, v1, v2, v3 bitop3:0x80
	s_delay_alu instid0(VALU_DEP_1) | instskip(SKIP_1) | instid1(VALU_DEP_2)
	v_mbcnt_lo_u32_b32 v33, v1, 0
	v_cmp_ne_u32_e64 s0, 0, v1
	v_cmp_eq_u32_e32 vcc_lo, 0, v33
	s_and_b32 s1, s0, vcc_lo
	s_delay_alu instid0(SALU_CYCLE_1)
	s_and_saveexec_b32 s0, s1
	s_cbranch_execz .LBB220_111
; %bb.110:
	s_wait_dscnt 0x0
	v_bcnt_u32_b32 v1, v1, v32
	ds_store_b32 v42, v1 offset:64
.LBB220_111:
	s_or_b32 exec_lo, exec_lo, s0
	v_lshrrev_b32_e32 v1, s36, v11
	; wave barrier
	s_delay_alu instid0(VALU_DEP_1) | instskip(NEXT) | instid1(VALU_DEP_1)
	v_and_b32_e32 v2, s4, v1
	v_lshlrev_b32_e32 v5, 30, v2
	v_bitop3_b32 v1, v1, 1, s4 bitop3:0x80
	s_delay_alu instid0(VALU_DEP_1) | instskip(NEXT) | instid1(VALU_DEP_1)
	v_add_co_u32 v1, s0, v1, -1
	v_cndmask_b32_e64 v4, 0, 1, s0
	s_delay_alu instid0(VALU_DEP_4) | instskip(NEXT) | instid1(VALU_DEP_2)
	v_cmp_gt_i32_e64 s0, 0, v5
	v_cmp_ne_u32_e32 vcc_lo, 0, v4
	v_not_b32_e32 v4, v5
	s_delay_alu instid0(VALU_DEP_1) | instskip(SKIP_3) | instid1(VALU_DEP_4)
	v_dual_ashrrev_i32 v4, 31, v4 :: v_dual_lshlrev_b32 v6, 29, v2
	v_dual_lshlrev_b32 v7, 28, v2 :: v_dual_lshlrev_b32 v35, 27, v2
	v_lshlrev_b32_e32 v36, 26, v2
	v_mul_lo_u32 v3, 0x44, v2
	v_cmp_gt_i32_e64 s1, 0, v6
	v_not_b32_e32 v5, v6
	v_not_b32_e32 v6, v7
	v_cmp_gt_i32_e64 s2, 0, v7
	v_xor_b32_e32 v1, vcc_lo, v1
	s_delay_alu instid0(VALU_DEP_4) | instskip(NEXT) | instid1(VALU_DEP_4)
	v_dual_ashrrev_i32 v5, 31, v5 :: v_dual_bitop2_b32 v4, s0, v4 bitop3:0x14
	v_ashrrev_i32_e32 v6, 31, v6
	v_dual_lshlrev_b32 v37, 25, v2 :: v_dual_lshlrev_b32 v2, 24, v2
	v_not_b32_e32 v7, v35
	v_not_b32_e32 v39, v36
	v_xor_b32_e32 v5, s1, v5
	v_xor_b32_e32 v6, s2, v6
	v_bitop3_b32 v1, v1, v4, exec_lo bitop3:0x80
	v_cmp_gt_i32_e32 vcc_lo, 0, v35
	v_ashrrev_i32_e32 v4, 31, v7
	v_cmp_gt_i32_e64 s0, 0, v36
	v_ashrrev_i32_e32 v7, 31, v39
	v_bitop3_b32 v1, v1, v6, v5 bitop3:0x80
	v_not_b32_e32 v5, v37
	v_not_b32_e32 v6, v2
	v_xor_b32_e32 v4, vcc_lo, v4
	v_xor_b32_e32 v7, s0, v7
	v_cmp_gt_i32_e32 vcc_lo, 0, v37
	v_ashrrev_i32_e32 v5, 31, v5
	v_cmp_gt_i32_e64 s0, 0, v2
	v_dual_ashrrev_i32 v2, 31, v6 :: v_dual_add_nc_u32 v43, v0, v3
	v_bitop3_b32 v1, v1, v7, v4 bitop3:0x80
	s_delay_alu instid0(VALU_DEP_4) | instskip(NEXT) | instid1(VALU_DEP_3)
	v_xor_b32_e32 v3, vcc_lo, v5
	v_xor_b32_e32 v2, s0, v2
	ds_load_b32 v35, v43 offset:64
	; wave barrier
	v_bitop3_b32 v1, v1, v2, v3 bitop3:0x80
	s_delay_alu instid0(VALU_DEP_1) | instskip(SKIP_1) | instid1(VALU_DEP_2)
	v_mbcnt_lo_u32_b32 v36, v1, 0
	v_cmp_ne_u32_e64 s0, 0, v1
	v_cmp_eq_u32_e32 vcc_lo, 0, v36
	s_and_b32 s1, s0, vcc_lo
	s_delay_alu instid0(SALU_CYCLE_1)
	s_and_saveexec_b32 s0, s1
	s_cbranch_execz .LBB220_113
; %bb.112:
	s_wait_dscnt 0x0
	v_bcnt_u32_b32 v1, v1, v35
	ds_store_b32 v43, v1 offset:64
.LBB220_113:
	s_or_b32 exec_lo, exec_lo, s0
	v_lshrrev_b32_e32 v1, s36, v12
	; wave barrier
	s_delay_alu instid0(VALU_DEP_1) | instskip(NEXT) | instid1(VALU_DEP_1)
	v_and_b32_e32 v2, s4, v1
	v_lshlrev_b32_e32 v5, 30, v2
	v_bitop3_b32 v1, v1, 1, s4 bitop3:0x80
	s_delay_alu instid0(VALU_DEP_1) | instskip(NEXT) | instid1(VALU_DEP_1)
	v_add_co_u32 v1, s0, v1, -1
	v_cndmask_b32_e64 v4, 0, 1, s0
	s_delay_alu instid0(VALU_DEP_4) | instskip(NEXT) | instid1(VALU_DEP_2)
	v_cmp_gt_i32_e64 s0, 0, v5
	v_cmp_ne_u32_e32 vcc_lo, 0, v4
	v_not_b32_e32 v4, v5
	s_delay_alu instid0(VALU_DEP_1) | instskip(SKIP_3) | instid1(VALU_DEP_4)
	v_dual_ashrrev_i32 v4, 31, v4 :: v_dual_lshlrev_b32 v6, 29, v2
	v_dual_lshlrev_b32 v7, 28, v2 :: v_dual_lshlrev_b32 v37, 27, v2
	v_lshlrev_b32_e32 v39, 26, v2
	v_mul_lo_u32 v3, 0x44, v2
	v_cmp_gt_i32_e64 s1, 0, v6
	v_not_b32_e32 v5, v6
	v_not_b32_e32 v6, v7
	v_cmp_gt_i32_e64 s2, 0, v7
	v_xor_b32_e32 v1, vcc_lo, v1
	s_delay_alu instid0(VALU_DEP_4) | instskip(NEXT) | instid1(VALU_DEP_4)
	v_dual_ashrrev_i32 v5, 31, v5 :: v_dual_bitop2_b32 v4, s0, v4 bitop3:0x14
	v_ashrrev_i32_e32 v6, 31, v6
	v_dual_lshlrev_b32 v40, 25, v2 :: v_dual_lshlrev_b32 v2, 24, v2
	v_not_b32_e32 v7, v37
	v_not_b32_e32 v44, v39
	v_xor_b32_e32 v5, s1, v5
	v_xor_b32_e32 v6, s2, v6
	v_bitop3_b32 v1, v1, v4, exec_lo bitop3:0x80
	v_cmp_gt_i32_e32 vcc_lo, 0, v37
	v_ashrrev_i32_e32 v4, 31, v7
	v_cmp_gt_i32_e64 s0, 0, v39
	v_ashrrev_i32_e32 v7, 31, v44
	v_bitop3_b32 v1, v1, v6, v5 bitop3:0x80
	v_not_b32_e32 v5, v40
	v_not_b32_e32 v6, v2
	v_xor_b32_e32 v4, vcc_lo, v4
	v_xor_b32_e32 v7, s0, v7
	v_cmp_gt_i32_e32 vcc_lo, 0, v40
	v_ashrrev_i32_e32 v5, 31, v5
	v_cmp_gt_i32_e64 s0, 0, v2
	v_dual_ashrrev_i32 v2, 31, v6 :: v_dual_add_nc_u32 v44, v0, v3
	v_bitop3_b32 v0, v1, v7, v4 bitop3:0x80
	s_delay_alu instid0(VALU_DEP_4) | instskip(NEXT) | instid1(VALU_DEP_3)
	v_xor_b32_e32 v1, vcc_lo, v5
	v_xor_b32_e32 v2, s0, v2
	ds_load_b32 v39, v44 offset:64
	; wave barrier
	v_bitop3_b32 v0, v0, v2, v1 bitop3:0x80
	s_delay_alu instid0(VALU_DEP_1) | instskip(SKIP_1) | instid1(VALU_DEP_2)
	v_mbcnt_lo_u32_b32 v40, v0, 0
	v_cmp_ne_u32_e64 s0, 0, v0
	v_cmp_eq_u32_e32 vcc_lo, 0, v40
	s_and_b32 s1, s0, vcc_lo
	s_delay_alu instid0(SALU_CYCLE_1)
	s_and_saveexec_b32 s0, s1
	s_cbranch_execz .LBB220_115
; %bb.114:
	s_wait_dscnt 0x0
	v_bcnt_u32_b32 v0, v0, v39
	ds_store_b32 v44, v0 offset:64
.LBB220_115:
	s_or_b32 exec_lo, exec_lo, s0
	; wave barrier
	s_wait_dscnt 0x0
	s_barrier_signal -1
	s_barrier_wait -1
	ds_load_2addr_b32 v[6:7], v27 offset0:16 offset1:17
	ds_load_2addr_b32 v[4:5], v27 offset0:18 offset1:19
	;; [unrolled: 1-line block ×4, first 2 shown]
	ds_load_b32 v37, v27 offset:96
	v_bfe_i32 v47, v20, 4, 1
	s_mov_b32 s5, exec_lo
	s_wait_dscnt 0x3
	v_add3_u32 v45, v7, v6, v4
	s_wait_dscnt 0x2
	s_delay_alu instid0(VALU_DEP_1) | instskip(SKIP_1) | instid1(VALU_DEP_1)
	v_add3_u32 v45, v45, v5, v2
	s_wait_dscnt 0x1
	v_add3_u32 v45, v45, v3, v0
	s_wait_dscnt 0x0
	s_delay_alu instid0(VALU_DEP_1) | instskip(SKIP_1) | instid1(VALU_DEP_2)
	v_add3_u32 v37, v45, v1, v37
	v_and_b32_e32 v45, 15, v20
	v_mov_b32_dpp v46, v37 row_shr:1 row_mask:0xf bank_mask:0xf
	s_delay_alu instid0(VALU_DEP_2) | instskip(NEXT) | instid1(VALU_DEP_2)
	v_cmp_eq_u32_e32 vcc_lo, 0, v45
	v_cndmask_b32_e64 v46, v46, 0, vcc_lo
	s_delay_alu instid0(VALU_DEP_1) | instskip(SKIP_3) | instid1(VALU_DEP_4)
	v_add_nc_u32_e32 v37, v46, v37
	v_cmp_lt_u32_e64 s0, 1, v45
	v_cmp_lt_u32_e64 s1, 3, v45
	;; [unrolled: 1-line block ×3, first 2 shown]
	v_mov_b32_dpp v46, v37 row_shr:2 row_mask:0xf bank_mask:0xf
	s_delay_alu instid0(VALU_DEP_1) | instskip(NEXT) | instid1(VALU_DEP_1)
	v_cndmask_b32_e64 v46, 0, v46, s0
	v_add_nc_u32_e32 v37, v37, v46
	s_delay_alu instid0(VALU_DEP_1) | instskip(NEXT) | instid1(VALU_DEP_1)
	v_mov_b32_dpp v46, v37 row_shr:4 row_mask:0xf bank_mask:0xf
	v_cndmask_b32_e64 v46, 0, v46, s1
	s_delay_alu instid0(VALU_DEP_1) | instskip(NEXT) | instid1(VALU_DEP_1)
	v_add_nc_u32_e32 v37, v37, v46
	v_mov_b32_dpp v46, v37 row_shr:8 row_mask:0xf bank_mask:0xf
	s_delay_alu instid0(VALU_DEP_1) | instskip(SKIP_1) | instid1(VALU_DEP_2)
	v_cndmask_b32_e64 v45, 0, v46, s2
	v_and_b32_e32 v46, 0x3e0, v18
	v_add_nc_u32_e32 v37, v37, v45
	s_delay_alu instid0(VALU_DEP_2) | instskip(SKIP_4) | instid1(VALU_DEP_2)
	v_min_u32_e32 v46, 0x1e0, v46
	ds_swizzle_b32 v45, v37 offset:swizzle(BROADCAST,32,15)
	s_wait_dscnt 0x0
	v_and_b32_e32 v45, v47, v45
	v_or_b32_e32 v47, 31, v46
	v_dual_lshrrev_b32 v46, 5, v18 :: v_dual_add_nc_u32 v45, v37, v45
	s_delay_alu instid0(VALU_DEP_2)
	v_cmpx_eq_u32_e64 v18, v47
; %bb.116:
	s_delay_alu instid0(VALU_DEP_2)
	v_lshlrev_b32_e32 v37, 2, v46
	ds_store_b32 v37, v45
; %bb.117:
	s_or_b32 exec_lo, exec_lo, s5
	v_lshlrev_b32_e32 v37, 2, v18
	s_mov_b32 s5, exec_lo
	s_wait_dscnt 0x0
	s_barrier_signal -1
	s_barrier_wait -1
	v_cmpx_gt_u32_e32 16, v18
	s_cbranch_execz .LBB220_119
; %bb.118:
	ds_load_b32 v47, v37
	s_wait_dscnt 0x0
	v_mov_b32_dpp v48, v47 row_shr:1 row_mask:0xf bank_mask:0xf
	s_delay_alu instid0(VALU_DEP_1) | instskip(NEXT) | instid1(VALU_DEP_1)
	v_cndmask_b32_e64 v48, v48, 0, vcc_lo
	v_add_nc_u32_e32 v47, v48, v47
	s_delay_alu instid0(VALU_DEP_1) | instskip(NEXT) | instid1(VALU_DEP_1)
	v_mov_b32_dpp v48, v47 row_shr:2 row_mask:0xf bank_mask:0xf
	v_cndmask_b32_e64 v48, 0, v48, s0
	s_delay_alu instid0(VALU_DEP_1) | instskip(NEXT) | instid1(VALU_DEP_1)
	v_add_nc_u32_e32 v47, v47, v48
	v_mov_b32_dpp v48, v47 row_shr:4 row_mask:0xf bank_mask:0xf
	s_delay_alu instid0(VALU_DEP_1) | instskip(NEXT) | instid1(VALU_DEP_1)
	v_cndmask_b32_e64 v48, 0, v48, s1
	v_add_nc_u32_e32 v47, v47, v48
	s_delay_alu instid0(VALU_DEP_1) | instskip(NEXT) | instid1(VALU_DEP_1)
	v_mov_b32_dpp v48, v47 row_shr:8 row_mask:0xf bank_mask:0xf
	v_cndmask_b32_e64 v48, 0, v48, s2
	s_delay_alu instid0(VALU_DEP_1)
	v_add_nc_u32_e32 v47, v47, v48
	ds_store_b32 v37, v47
.LBB220_119:
	s_or_b32 exec_lo, exec_lo, s5
	v_mov_b32_e32 v47, 0
	s_mov_b32 s0, exec_lo
	s_wait_dscnt 0x0
	s_barrier_signal -1
	s_barrier_wait -1
	v_cmpx_lt_u32_e32 31, v18
; %bb.120:
	v_lshl_add_u32 v46, v46, 2, -4
	ds_load_b32 v47, v46
; %bb.121:
	s_or_b32 exec_lo, exec_lo, s0
	v_sub_co_u32 v46, vcc_lo, v20, 1
	s_wait_dscnt 0x0
	v_add_nc_u32_e32 v45, v47, v45
	s_delay_alu instid0(VALU_DEP_2) | instskip(NEXT) | instid1(VALU_DEP_1)
	v_cmp_gt_i32_e64 s0, 0, v46
	v_cndmask_b32_e64 v46, v46, v20, s0
	v_cmp_lt_u32_e64 s0, 0xff, v18
	s_delay_alu instid0(VALU_DEP_2) | instskip(SKIP_4) | instid1(VALU_DEP_2)
	v_lshlrev_b32_e32 v46, 2, v46
	ds_bpermute_b32 v45, v46, v45
	s_wait_dscnt 0x0
	v_cndmask_b32_e32 v45, v45, v47, vcc_lo
	v_cmp_ne_u32_e32 vcc_lo, 0, v18
	v_cndmask_b32_e32 v45, 0, v45, vcc_lo
	v_cmp_gt_u32_e32 vcc_lo, 0x100, v18
	s_delay_alu instid0(VALU_DEP_2) | instskip(NEXT) | instid1(VALU_DEP_1)
	v_add_nc_u32_e32 v6, v45, v6
	v_add_nc_u32_e32 v7, v6, v7
	s_delay_alu instid0(VALU_DEP_1) | instskip(NEXT) | instid1(VALU_DEP_1)
	v_add_nc_u32_e32 v4, v7, v4
	v_add_nc_u32_e32 v5, v4, v5
	s_delay_alu instid0(VALU_DEP_1) | instskip(NEXT) | instid1(VALU_DEP_1)
	;; [unrolled: 3-line block ×3, first 2 shown]
	v_add_nc_u32_e32 v0, v3, v0
	v_add_nc_u32_e32 v1, v0, v1
	ds_store_2addr_b32 v27, v45, v6 offset0:16 offset1:17
	ds_store_2addr_b32 v27, v7, v4 offset0:18 offset1:19
	;; [unrolled: 1-line block ×4, first 2 shown]
	ds_store_b32 v27, v1 offset:96
	s_wait_dscnt 0x0
	s_barrier_signal -1
	s_barrier_wait -1
	ds_load_b32 v0, v30 offset:64
	ds_load_b32 v31, v31 offset:64
	;; [unrolled: 1-line block ×8, first 2 shown]
                                        ; implicit-def: $vgpr27
                                        ; implicit-def: $vgpr30
	s_and_saveexec_b32 s2, vcc_lo
	s_cbranch_execz .LBB220_125
; %bb.122:
	v_mul_u32_u24_e32 v1, 0x44, v18
	v_add_nc_u32_e32 v2, 1, v18
	s_mov_b32 s3, exec_lo
	ds_load_b32 v27, v1 offset:64
	v_mov_b32_e32 v1, 0x1000
	v_cmpx_ne_u32_e32 0x100, v2
; %bb.123:
	v_mul_u32_u24_e32 v1, 0x44, v2
	ds_load_b32 v1, v1 offset:64
; %bb.124:
	s_or_b32 exec_lo, exec_lo, s3
	s_wait_dscnt 0x0
	v_sub_nc_u32_e32 v30, v1, v27
.LBB220_125:
	s_or_b32 exec_lo, exec_lo, s2
	s_wait_dscnt 0x7
	v_dual_add_nc_u32 v26, v0, v26 :: v_dual_add_nc_u32 v0, v17, v16
	v_dual_add_nc_u32 v5, v25, v24 :: v_dual_add_nc_u32 v6, v22, v21
	;; [unrolled: 1-line block ×4, first 2 shown]
	s_delay_alu instid0(VALU_DEP_4)
	v_lshlrev_b32_e32 v7, 2, v26
	s_wait_dscnt 0x6
	v_add_lshl_u32 v0, v0, v31, 2
	s_wait_dscnt 0x5
	v_add_lshl_u32 v6, v6, v34, 2
	;; [unrolled: 2-line block ×3, first 2 shown]
	s_wait_dscnt 0x0
	s_barrier_signal -1
	s_barrier_wait -1
	ds_store_b32 v7, v13 offset:1024
	ds_store_b32 v0, v14 offset:1024
	;; [unrolled: 1-line block ×4, first 2 shown]
	v_add_lshl_u32 v0, v4, v41, 2
	v_add_lshl_u32 v4, v1, v44, 2
	v_mov_b32_e32 v1, 0
	v_add_lshl_u32 v3, v3, v42, 2
	v_add_lshl_u32 v2, v2, v43, 2
	ds_store_b32 v0, v9 offset:1024
	ds_store_b32 v3, v10 offset:1024
	;; [unrolled: 1-line block ×4, first 2 shown]
	s_and_saveexec_b32 s1, vcc_lo
	s_cbranch_execz .LBB220_135
; %bb.126:
	v_lshl_add_u32 v0, s17, 8, v18
	v_dual_mov_b32 v6, 0 :: v_dual_bitop2_b32 v4, 2.0, v30 bitop3:0x54
	s_mov_b32 s2, 0
	s_mov_b32 s3, s17
	s_delay_alu instid0(VALU_DEP_2)
	v_lshl_add_u64 v[2:3], v[0:1], 2, s[18:19]
	global_store_b32 v0, v4, s[18:19] scale_offset scope:SCOPE_DEV
                                        ; implicit-def: $sgpr5
	s_branch .LBB220_129
.LBB220_127:                            ;   in Loop: Header=BB220_129 Depth=1
	s_or_b32 exec_lo, exec_lo, s6
.LBB220_128:                            ;   in Loop: Header=BB220_129 Depth=1
	s_delay_alu instid0(SALU_CYCLE_1) | instskip(SKIP_2) | instid1(VALU_DEP_2)
	s_or_b32 exec_lo, exec_lo, s5
	v_and_b32_e32 v0, 0x3fffffff, v7
	v_cmp_gt_i32_e64 s5, -2.0, v7
	v_add_nc_u32_e32 v6, v0, v6
	s_and_b32 s6, exec_lo, s5
	s_delay_alu instid0(SALU_CYCLE_1) | instskip(NEXT) | instid1(SALU_CYCLE_1)
	s_or_b32 s2, s6, s2
	s_and_not1_b32 exec_lo, exec_lo, s2
	s_cbranch_execz .LBB220_134
.LBB220_129:                            ; =>This Loop Header: Depth=1
                                        ;     Child Loop BB220_132 Depth 2
	s_or_b32 s5, s5, exec_lo
	s_cmp_eq_u32 s3, 0
	s_cbranch_scc1 .LBB220_133
; %bb.130:                              ;   in Loop: Header=BB220_129 Depth=1
	s_add_co_i32 s3, s3, -1
	s_mov_b32 s5, exec_lo
	s_wait_xcnt 0x0
	v_lshl_or_b32 v0, s3, 8, v18
	global_load_b32 v7, v0, s[18:19] scale_offset scope:SCOPE_DEV
	s_wait_loadcnt 0x0
	v_cmpx_gt_u32_e32 2.0, v7
	s_cbranch_execz .LBB220_128
; %bb.131:                              ;   in Loop: Header=BB220_129 Depth=1
	v_lshl_add_u64 v[4:5], v[0:1], 2, s[18:19]
	s_mov_b32 s6, 0
.LBB220_132:                            ;   Parent Loop BB220_129 Depth=1
                                        ; =>  This Inner Loop Header: Depth=2
	global_load_b32 v7, v[4:5], off scope:SCOPE_DEV
	s_wait_loadcnt 0x0
	v_cmp_lt_u32_e32 vcc_lo, 0x3fffffff, v7
	s_or_b32 s6, vcc_lo, s6
	s_wait_xcnt 0x0
	s_and_not1_b32 exec_lo, exec_lo, s6
	s_cbranch_execnz .LBB220_132
	s_branch .LBB220_127
.LBB220_133:                            ;   in Loop: Header=BB220_129 Depth=1
                                        ; implicit-def: $sgpr3
	s_and_b32 s6, exec_lo, s5
	s_delay_alu instid0(SALU_CYCLE_1)
	s_or_b32 s2, s6, s2
	s_wait_xcnt 0x0
	s_and_not1_b32 exec_lo, exec_lo, s2
	s_cbranch_execnz .LBB220_129
.LBB220_134:
	s_or_b32 exec_lo, exec_lo, s2
	v_dual_add_nc_u32 v0, v6, v30 :: v_dual_sub_nc_u32 v1, v6, v27
	s_delay_alu instid0(VALU_DEP_1)
	v_or_b32_e32 v0, 0x80000000, v0
	global_store_b32 v[2:3], v0, off scope:SCOPE_DEV
	global_load_b32 v0, v18, s[28:29] scale_offset
	s_wait_loadcnt 0x0
	v_add_nc_u32_e32 v0, v1, v0
	ds_store_b32 v37, v0
.LBB220_135:
	s_wait_xcnt 0x0
	s_or_b32 exec_lo, exec_lo, s1
	s_wait_storecnt_dscnt 0x0
	s_barrier_signal -1
	s_barrier_wait -1
	ds_load_2addr_stride64_b32 v[10:11], v37 offset0:4 offset1:12
	ds_load_2addr_stride64_b32 v[54:55], v37 offset0:20 offset1:28
	;; [unrolled: 1-line block ×4, first 2 shown]
	v_dual_mov_b32 v1, 0 :: v_dual_lshlrev_b32 v0, 3, v20
	s_lshl_b64 s[2:3], s[8:9], 3
	v_add3_u32 v35, v36, v43, v35
	s_add_nc_u64 s[2:3], s[24:25], s[2:3]
	v_add3_u32 v32, v33, v42, v32
	v_add_nc_u64_e32 v[2:3], s[2:3], v[0:1]
	v_lshlrev_b32_e32 v0, 3, v8
	v_add3_u32 v28, v29, v41, v28
	v_add3_u32 v24, v25, v38, v24
	;; [unrolled: 1-line block ×4, first 2 shown]
	s_mov_b32 s2, -1
	s_mov_b32 s1, 0
	v_dual_mov_b32 v22, v18 :: v_dual_add_nc_u32 v17, v37, v37
	s_wait_dscnt 0x3
	v_dual_lshrrev_b32 v4, s36, v10 :: v_dual_lshrrev_b32 v5, s36, v11
	v_add_nc_u64_e32 v[60:61], v[2:3], v[0:1]
	s_wait_dscnt 0x2
	v_dual_lshrrev_b32 v0, s36, v55 :: v_dual_lshrrev_b32 v1, s36, v54
	s_wait_dscnt 0x1
	v_dual_lshrrev_b32 v2, s36, v57 :: v_dual_bitop2_b32 v46, s4, v4 bitop3:0x40
	v_dual_lshrrev_b32 v5, s36, v56 :: v_dual_bitop2_b32 v47, s4, v5 bitop3:0x40
	s_wait_dscnt 0x0
	v_dual_lshrrev_b32 v6, s36, v59 :: v_dual_lshrrev_b32 v7, s36, v58
	s_delay_alu instid0(VALU_DEP_3) | instskip(NEXT) | instid1(VALU_DEP_3)
	v_dual_lshlrev_b32 v3, 2, v46 :: v_dual_bitop2_b32 v49, s4, v0 bitop3:0x40
	v_lshlrev_b32_e32 v4, 2, v47
	ds_load_b32 v3, v3
	ds_load_b32 v4, v4
	v_and_b32_e32 v50, s4, v5
	v_and_b32_e32 v48, s4, v1
	v_dual_lshlrev_b32 v1, 2, v49 :: v_dual_bitop2_b32 v53, s4, v6 bitop3:0x40
	v_and_b32_e32 v52, s4, v7
	v_and_b32_e32 v51, s4, v2
	s_delay_alu instid0(VALU_DEP_4) | instskip(NEXT) | instid1(VALU_DEP_3)
	v_dual_lshlrev_b32 v2, 2, v50 :: v_dual_lshlrev_b32 v0, 2, v48
	v_dual_lshlrev_b32 v7, 2, v53 :: v_dual_lshlrev_b32 v6, 2, v52
	s_wait_dscnt 0x1
	s_delay_alu instid0(VALU_DEP_3)
	v_dual_lshlrev_b32 v5, 2, v51 :: v_dual_add_nc_u32 v8, v3, v18
	s_wait_dscnt 0x0
	v_add3_u32 v9, v18, v4, 0x200
	ds_load_b32 v20, v0
	ds_load_b32 v23, v1
	;; [unrolled: 1-line block ×6, first 2 shown]
	s_clause 0x3
	global_load_b64 v[0:1], v[60:61], off
	global_load_b64 v[2:3], v[60:61], off offset:256
	global_load_b64 v[4:5], v[60:61], off offset:512
	global_load_b64 v[6:7], v[60:61], off offset:768
	s_clause 0x1
	global_store_b32 v8, v10, s[22:23] scale_offset
	global_store_b32 v9, v11, s[22:23] scale_offset
	s_clause 0x3
	global_load_b64 v[8:9], v[60:61], off offset:1024
	global_load_b64 v[10:11], v[60:61], off offset:1280
	;; [unrolled: 1-line block ×4, first 2 shown]
	s_wait_xcnt 0x0
	v_lshlrev_b32_e32 v60, 5, v19
	s_wait_dscnt 0x5
	v_add3_u32 v20, v20, v18, 0x400
	s_wait_dscnt 0x4
	v_add3_u32 v19, v18, v23, 0x600
	;; [unrolled: 2-line block ×4, first 2 shown]
	global_store_b32 v20, v54, s[22:23] scale_offset
	s_wait_dscnt 0x1
	s_wait_xcnt 0x0
	v_add3_u32 v54, v63, v18, 0xc00
	global_store_b32 v19, v55, s[22:23] scale_offset
	s_wait_dscnt 0x0
	s_wait_xcnt 0x0
	v_add3_u32 v55, v18, v64, 0xe00
	v_add_nc_u32_e32 v20, 0x8850, v60
	v_add_nc_u32_e32 v19, 0x8860, v60
	s_clause 0x3
	global_store_b32 v23, v56, s[22:23] scale_offset
	global_store_b32 v45, v57, s[22:23] scale_offset
	;; [unrolled: 1-line block ×4, first 2 shown]
	s_wait_xcnt 0x3
	v_add3_u32 v23, v40, v44, v39
	ds_store_b128 v60, v[46:49] offset:34896
	ds_store_b128 v60, v[50:53] offset:34912
	s_wait_storecnt 0x0
	s_wait_loadcnt_dscnt 0x0
	s_barrier_signal -1
	s_barrier_wait -1
.LBB220_136:                            ; =>This Inner Loop Header: Depth=1
	s_wait_xcnt 0x2
	v_add_min_u32_e64 v25, v26, s1, 0x800
	s_wait_xcnt 0x1
	v_add_min_u32_e64 v29, v16, s1, 0x800
	;; [unrolled: 2-line block ×3, first 2 shown]
	v_add_min_u32_e64 v33, v24, s1, 0x800
	v_add_min_u32_e64 v34, v28, s1, 0x800
	;; [unrolled: 1-line block ×5, first 2 shown]
	v_dual_lshlrev_b32 v25, 3, v25 :: v_dual_lshlrev_b32 v31, 3, v31
	v_dual_lshlrev_b32 v29, 3, v29 :: v_dual_lshlrev_b32 v34, 3, v34
	s_delay_alu instid0(VALU_DEP_3)
	v_dual_lshlrev_b32 v33, 3, v33 :: v_dual_lshlrev_b32 v36, 3, v36
	v_dual_lshlrev_b32 v38, 3, v38 :: v_dual_lshlrev_b32 v39, 3, v39
	ds_store_b64 v25, v[0:1] offset:1024
	ds_store_b64 v29, v[2:3] offset:1024
	;; [unrolled: 1-line block ×8, first 2 shown]
	s_wait_dscnt 0x0
	s_barrier_signal -1
	s_barrier_wait -1
	ds_load_2addr_b32 v[42:43], v20 offset1:1
	ds_load_2addr_b32 v[44:45], v20 offset0:2 offset1:3
	ds_load_2addr_stride64_b64 v[38:41], v17 offset0:2 offset1:10
	s_addk_co_i32 s1, 0xf800
	s_and_b32 vcc_lo, exec_lo, s2
	s_mov_b32 s2, 0
	s_wait_dscnt 0x2
	v_dual_lshlrev_b32 v20, 2, v42 :: v_dual_lshlrev_b32 v25, 2, v43
	s_wait_dscnt 0x1
	v_dual_lshlrev_b32 v29, 2, v44 :: v_dual_lshlrev_b32 v31, 2, v45
	ds_load_b32 v33, v20
	ds_load_b32 v25, v25
	;; [unrolled: 1-line block ×4, first 2 shown]
	ds_load_2addr_stride64_b64 v[42:45], v17 offset0:18 offset1:26
	s_wait_dscnt 0x4
	v_dual_mov_b32 v20, v19 :: v_dual_add_nc_u32 v33, v22, v33
	s_wait_dscnt 0x3
	v_add3_u32 v25, v22, v25, 0x200
	s_wait_dscnt 0x2
	v_add3_u32 v29, v22, v29, 0x400
	;; [unrolled: 2-line block ×3, first 2 shown]
	v_add_nc_u32_e32 v22, 0x800, v22
	s_clause 0x1
	global_store_b64 v33, v[38:39], s[26:27] scale_offset
	global_store_b64 v25, v[40:41], s[26:27] scale_offset
	s_wait_dscnt 0x0
	s_clause 0x1
	global_store_b64 v29, v[42:43], s[26:27] scale_offset
	global_store_b64 v31, v[44:45], s[26:27] scale_offset
	s_wait_storecnt 0x0
	s_barrier_signal -1
	s_barrier_wait -1
	s_cbranch_vccnz .LBB220_136
; %bb.137:
	s_add_co_i32 s7, s7, -1
	s_delay_alu instid0(SALU_CYCLE_1) | instskip(SKIP_2) | instid1(SALU_CYCLE_1)
	s_cmp_eq_u32 s17, s7
	s_cselect_b32 s1, -1, 0
	s_xor_b32 s0, s0, -1
	s_and_b32 s0, s0, s1
	s_wait_xcnt 0x0
	s_and_saveexec_b32 s1, s0
	s_cbranch_execz .LBB220_139
; %bb.138:
	ds_load_b32 v0, v37
	s_wait_dscnt 0x0
	v_add3_u32 v0, v27, v30, v0
	global_store_b32 v18, v0, s[30:31] scale_offset
.LBB220_139:
	s_sendmsg sendmsg(MSG_DEALLOC_VGPRS)
	s_endpgm
	.section	.rodata,"a",@progbits
	.p2align	6, 0x0
	.amdhsa_kernel _ZN7rocprim17ROCPRIM_400000_NS6detail17trampoline_kernelINS0_14default_configENS1_35radix_sort_onesweep_config_selectorIjN6thrust23THRUST_200600_302600_NS5tupleIffNS6_9null_typeES8_S8_S8_S8_S8_S8_S8_EEEEZZNS1_29radix_sort_onesweep_iterationIS3_Lb0ENS6_6detail15normal_iteratorINS6_10device_ptrIjEEEESG_NSD_INSE_IS9_EEEESI_jNS0_19identity_decomposerENS1_16block_id_wrapperIjLb0EEEEE10hipError_tT1_PNSt15iterator_traitsISN_E10value_typeET2_T3_PNSO_IST_E10value_typeET4_T5_PSY_SZ_PNS1_23onesweep_lookback_stateEbbT6_jjT7_P12ihipStream_tbENKUlT_T0_SN_SS_E_clIPjSG_PS9_SI_EEDaS16_S17_SN_SS_EUlS16_E_NS1_11comp_targetILNS1_3genE0ELNS1_11target_archE4294967295ELNS1_3gpuE0ELNS1_3repE0EEENS1_47radix_sort_onesweep_sort_config_static_selectorELNS0_4arch9wavefront6targetE0EEEvSN_
		.amdhsa_group_segment_fixed_size 51280
		.amdhsa_private_segment_fixed_size 0
		.amdhsa_kernarg_size 344
		.amdhsa_user_sgpr_count 4
		.amdhsa_user_sgpr_dispatch_ptr 1
		.amdhsa_user_sgpr_queue_ptr 0
		.amdhsa_user_sgpr_kernarg_segment_ptr 1
		.amdhsa_user_sgpr_dispatch_id 0
		.amdhsa_user_sgpr_kernarg_preload_length 0
		.amdhsa_user_sgpr_kernarg_preload_offset 0
		.amdhsa_user_sgpr_private_segment_size 0
		.amdhsa_wavefront_size32 1
		.amdhsa_uses_dynamic_stack 0
		.amdhsa_enable_private_segment 0
		.amdhsa_system_sgpr_workgroup_id_x 1
		.amdhsa_system_sgpr_workgroup_id_y 0
		.amdhsa_system_sgpr_workgroup_id_z 0
		.amdhsa_system_sgpr_workgroup_info 0
		.amdhsa_system_vgpr_workitem_id 2
		.amdhsa_next_free_vgpr 65
		.amdhsa_next_free_sgpr 43
		.amdhsa_named_barrier_count 0
		.amdhsa_reserve_vcc 1
		.amdhsa_float_round_mode_32 0
		.amdhsa_float_round_mode_16_64 0
		.amdhsa_float_denorm_mode_32 3
		.amdhsa_float_denorm_mode_16_64 3
		.amdhsa_fp16_overflow 0
		.amdhsa_memory_ordered 1
		.amdhsa_forward_progress 1
		.amdhsa_inst_pref_size 104
		.amdhsa_round_robin_scheduling 0
		.amdhsa_exception_fp_ieee_invalid_op 0
		.amdhsa_exception_fp_denorm_src 0
		.amdhsa_exception_fp_ieee_div_zero 0
		.amdhsa_exception_fp_ieee_overflow 0
		.amdhsa_exception_fp_ieee_underflow 0
		.amdhsa_exception_fp_ieee_inexact 0
		.amdhsa_exception_int_div_zero 0
	.end_amdhsa_kernel
	.section	.text._ZN7rocprim17ROCPRIM_400000_NS6detail17trampoline_kernelINS0_14default_configENS1_35radix_sort_onesweep_config_selectorIjN6thrust23THRUST_200600_302600_NS5tupleIffNS6_9null_typeES8_S8_S8_S8_S8_S8_S8_EEEEZZNS1_29radix_sort_onesweep_iterationIS3_Lb0ENS6_6detail15normal_iteratorINS6_10device_ptrIjEEEESG_NSD_INSE_IS9_EEEESI_jNS0_19identity_decomposerENS1_16block_id_wrapperIjLb0EEEEE10hipError_tT1_PNSt15iterator_traitsISN_E10value_typeET2_T3_PNSO_IST_E10value_typeET4_T5_PSY_SZ_PNS1_23onesweep_lookback_stateEbbT6_jjT7_P12ihipStream_tbENKUlT_T0_SN_SS_E_clIPjSG_PS9_SI_EEDaS16_S17_SN_SS_EUlS16_E_NS1_11comp_targetILNS1_3genE0ELNS1_11target_archE4294967295ELNS1_3gpuE0ELNS1_3repE0EEENS1_47radix_sort_onesweep_sort_config_static_selectorELNS0_4arch9wavefront6targetE0EEEvSN_,"axG",@progbits,_ZN7rocprim17ROCPRIM_400000_NS6detail17trampoline_kernelINS0_14default_configENS1_35radix_sort_onesweep_config_selectorIjN6thrust23THRUST_200600_302600_NS5tupleIffNS6_9null_typeES8_S8_S8_S8_S8_S8_S8_EEEEZZNS1_29radix_sort_onesweep_iterationIS3_Lb0ENS6_6detail15normal_iteratorINS6_10device_ptrIjEEEESG_NSD_INSE_IS9_EEEESI_jNS0_19identity_decomposerENS1_16block_id_wrapperIjLb0EEEEE10hipError_tT1_PNSt15iterator_traitsISN_E10value_typeET2_T3_PNSO_IST_E10value_typeET4_T5_PSY_SZ_PNS1_23onesweep_lookback_stateEbbT6_jjT7_P12ihipStream_tbENKUlT_T0_SN_SS_E_clIPjSG_PS9_SI_EEDaS16_S17_SN_SS_EUlS16_E_NS1_11comp_targetILNS1_3genE0ELNS1_11target_archE4294967295ELNS1_3gpuE0ELNS1_3repE0EEENS1_47radix_sort_onesweep_sort_config_static_selectorELNS0_4arch9wavefront6targetE0EEEvSN_,comdat
.Lfunc_end220:
	.size	_ZN7rocprim17ROCPRIM_400000_NS6detail17trampoline_kernelINS0_14default_configENS1_35radix_sort_onesweep_config_selectorIjN6thrust23THRUST_200600_302600_NS5tupleIffNS6_9null_typeES8_S8_S8_S8_S8_S8_S8_EEEEZZNS1_29radix_sort_onesweep_iterationIS3_Lb0ENS6_6detail15normal_iteratorINS6_10device_ptrIjEEEESG_NSD_INSE_IS9_EEEESI_jNS0_19identity_decomposerENS1_16block_id_wrapperIjLb0EEEEE10hipError_tT1_PNSt15iterator_traitsISN_E10value_typeET2_T3_PNSO_IST_E10value_typeET4_T5_PSY_SZ_PNS1_23onesweep_lookback_stateEbbT6_jjT7_P12ihipStream_tbENKUlT_T0_SN_SS_E_clIPjSG_PS9_SI_EEDaS16_S17_SN_SS_EUlS16_E_NS1_11comp_targetILNS1_3genE0ELNS1_11target_archE4294967295ELNS1_3gpuE0ELNS1_3repE0EEENS1_47radix_sort_onesweep_sort_config_static_selectorELNS0_4arch9wavefront6targetE0EEEvSN_, .Lfunc_end220-_ZN7rocprim17ROCPRIM_400000_NS6detail17trampoline_kernelINS0_14default_configENS1_35radix_sort_onesweep_config_selectorIjN6thrust23THRUST_200600_302600_NS5tupleIffNS6_9null_typeES8_S8_S8_S8_S8_S8_S8_EEEEZZNS1_29radix_sort_onesweep_iterationIS3_Lb0ENS6_6detail15normal_iteratorINS6_10device_ptrIjEEEESG_NSD_INSE_IS9_EEEESI_jNS0_19identity_decomposerENS1_16block_id_wrapperIjLb0EEEEE10hipError_tT1_PNSt15iterator_traitsISN_E10value_typeET2_T3_PNSO_IST_E10value_typeET4_T5_PSY_SZ_PNS1_23onesweep_lookback_stateEbbT6_jjT7_P12ihipStream_tbENKUlT_T0_SN_SS_E_clIPjSG_PS9_SI_EEDaS16_S17_SN_SS_EUlS16_E_NS1_11comp_targetILNS1_3genE0ELNS1_11target_archE4294967295ELNS1_3gpuE0ELNS1_3repE0EEENS1_47radix_sort_onesweep_sort_config_static_selectorELNS0_4arch9wavefront6targetE0EEEvSN_
                                        ; -- End function
	.set _ZN7rocprim17ROCPRIM_400000_NS6detail17trampoline_kernelINS0_14default_configENS1_35radix_sort_onesweep_config_selectorIjN6thrust23THRUST_200600_302600_NS5tupleIffNS6_9null_typeES8_S8_S8_S8_S8_S8_S8_EEEEZZNS1_29radix_sort_onesweep_iterationIS3_Lb0ENS6_6detail15normal_iteratorINS6_10device_ptrIjEEEESG_NSD_INSE_IS9_EEEESI_jNS0_19identity_decomposerENS1_16block_id_wrapperIjLb0EEEEE10hipError_tT1_PNSt15iterator_traitsISN_E10value_typeET2_T3_PNSO_IST_E10value_typeET4_T5_PSY_SZ_PNS1_23onesweep_lookback_stateEbbT6_jjT7_P12ihipStream_tbENKUlT_T0_SN_SS_E_clIPjSG_PS9_SI_EEDaS16_S17_SN_SS_EUlS16_E_NS1_11comp_targetILNS1_3genE0ELNS1_11target_archE4294967295ELNS1_3gpuE0ELNS1_3repE0EEENS1_47radix_sort_onesweep_sort_config_static_selectorELNS0_4arch9wavefront6targetE0EEEvSN_.num_vgpr, 65
	.set _ZN7rocprim17ROCPRIM_400000_NS6detail17trampoline_kernelINS0_14default_configENS1_35radix_sort_onesweep_config_selectorIjN6thrust23THRUST_200600_302600_NS5tupleIffNS6_9null_typeES8_S8_S8_S8_S8_S8_S8_EEEEZZNS1_29radix_sort_onesweep_iterationIS3_Lb0ENS6_6detail15normal_iteratorINS6_10device_ptrIjEEEESG_NSD_INSE_IS9_EEEESI_jNS0_19identity_decomposerENS1_16block_id_wrapperIjLb0EEEEE10hipError_tT1_PNSt15iterator_traitsISN_E10value_typeET2_T3_PNSO_IST_E10value_typeET4_T5_PSY_SZ_PNS1_23onesweep_lookback_stateEbbT6_jjT7_P12ihipStream_tbENKUlT_T0_SN_SS_E_clIPjSG_PS9_SI_EEDaS16_S17_SN_SS_EUlS16_E_NS1_11comp_targetILNS1_3genE0ELNS1_11target_archE4294967295ELNS1_3gpuE0ELNS1_3repE0EEENS1_47radix_sort_onesweep_sort_config_static_selectorELNS0_4arch9wavefront6targetE0EEEvSN_.num_agpr, 0
	.set _ZN7rocprim17ROCPRIM_400000_NS6detail17trampoline_kernelINS0_14default_configENS1_35radix_sort_onesweep_config_selectorIjN6thrust23THRUST_200600_302600_NS5tupleIffNS6_9null_typeES8_S8_S8_S8_S8_S8_S8_EEEEZZNS1_29radix_sort_onesweep_iterationIS3_Lb0ENS6_6detail15normal_iteratorINS6_10device_ptrIjEEEESG_NSD_INSE_IS9_EEEESI_jNS0_19identity_decomposerENS1_16block_id_wrapperIjLb0EEEEE10hipError_tT1_PNSt15iterator_traitsISN_E10value_typeET2_T3_PNSO_IST_E10value_typeET4_T5_PSY_SZ_PNS1_23onesweep_lookback_stateEbbT6_jjT7_P12ihipStream_tbENKUlT_T0_SN_SS_E_clIPjSG_PS9_SI_EEDaS16_S17_SN_SS_EUlS16_E_NS1_11comp_targetILNS1_3genE0ELNS1_11target_archE4294967295ELNS1_3gpuE0ELNS1_3repE0EEENS1_47radix_sort_onesweep_sort_config_static_selectorELNS0_4arch9wavefront6targetE0EEEvSN_.numbered_sgpr, 43
	.set _ZN7rocprim17ROCPRIM_400000_NS6detail17trampoline_kernelINS0_14default_configENS1_35radix_sort_onesweep_config_selectorIjN6thrust23THRUST_200600_302600_NS5tupleIffNS6_9null_typeES8_S8_S8_S8_S8_S8_S8_EEEEZZNS1_29radix_sort_onesweep_iterationIS3_Lb0ENS6_6detail15normal_iteratorINS6_10device_ptrIjEEEESG_NSD_INSE_IS9_EEEESI_jNS0_19identity_decomposerENS1_16block_id_wrapperIjLb0EEEEE10hipError_tT1_PNSt15iterator_traitsISN_E10value_typeET2_T3_PNSO_IST_E10value_typeET4_T5_PSY_SZ_PNS1_23onesweep_lookback_stateEbbT6_jjT7_P12ihipStream_tbENKUlT_T0_SN_SS_E_clIPjSG_PS9_SI_EEDaS16_S17_SN_SS_EUlS16_E_NS1_11comp_targetILNS1_3genE0ELNS1_11target_archE4294967295ELNS1_3gpuE0ELNS1_3repE0EEENS1_47radix_sort_onesweep_sort_config_static_selectorELNS0_4arch9wavefront6targetE0EEEvSN_.num_named_barrier, 0
	.set _ZN7rocprim17ROCPRIM_400000_NS6detail17trampoline_kernelINS0_14default_configENS1_35radix_sort_onesweep_config_selectorIjN6thrust23THRUST_200600_302600_NS5tupleIffNS6_9null_typeES8_S8_S8_S8_S8_S8_S8_EEEEZZNS1_29radix_sort_onesweep_iterationIS3_Lb0ENS6_6detail15normal_iteratorINS6_10device_ptrIjEEEESG_NSD_INSE_IS9_EEEESI_jNS0_19identity_decomposerENS1_16block_id_wrapperIjLb0EEEEE10hipError_tT1_PNSt15iterator_traitsISN_E10value_typeET2_T3_PNSO_IST_E10value_typeET4_T5_PSY_SZ_PNS1_23onesweep_lookback_stateEbbT6_jjT7_P12ihipStream_tbENKUlT_T0_SN_SS_E_clIPjSG_PS9_SI_EEDaS16_S17_SN_SS_EUlS16_E_NS1_11comp_targetILNS1_3genE0ELNS1_11target_archE4294967295ELNS1_3gpuE0ELNS1_3repE0EEENS1_47radix_sort_onesweep_sort_config_static_selectorELNS0_4arch9wavefront6targetE0EEEvSN_.private_seg_size, 0
	.set _ZN7rocprim17ROCPRIM_400000_NS6detail17trampoline_kernelINS0_14default_configENS1_35radix_sort_onesweep_config_selectorIjN6thrust23THRUST_200600_302600_NS5tupleIffNS6_9null_typeES8_S8_S8_S8_S8_S8_S8_EEEEZZNS1_29radix_sort_onesweep_iterationIS3_Lb0ENS6_6detail15normal_iteratorINS6_10device_ptrIjEEEESG_NSD_INSE_IS9_EEEESI_jNS0_19identity_decomposerENS1_16block_id_wrapperIjLb0EEEEE10hipError_tT1_PNSt15iterator_traitsISN_E10value_typeET2_T3_PNSO_IST_E10value_typeET4_T5_PSY_SZ_PNS1_23onesweep_lookback_stateEbbT6_jjT7_P12ihipStream_tbENKUlT_T0_SN_SS_E_clIPjSG_PS9_SI_EEDaS16_S17_SN_SS_EUlS16_E_NS1_11comp_targetILNS1_3genE0ELNS1_11target_archE4294967295ELNS1_3gpuE0ELNS1_3repE0EEENS1_47radix_sort_onesweep_sort_config_static_selectorELNS0_4arch9wavefront6targetE0EEEvSN_.uses_vcc, 1
	.set _ZN7rocprim17ROCPRIM_400000_NS6detail17trampoline_kernelINS0_14default_configENS1_35radix_sort_onesweep_config_selectorIjN6thrust23THRUST_200600_302600_NS5tupleIffNS6_9null_typeES8_S8_S8_S8_S8_S8_S8_EEEEZZNS1_29radix_sort_onesweep_iterationIS3_Lb0ENS6_6detail15normal_iteratorINS6_10device_ptrIjEEEESG_NSD_INSE_IS9_EEEESI_jNS0_19identity_decomposerENS1_16block_id_wrapperIjLb0EEEEE10hipError_tT1_PNSt15iterator_traitsISN_E10value_typeET2_T3_PNSO_IST_E10value_typeET4_T5_PSY_SZ_PNS1_23onesweep_lookback_stateEbbT6_jjT7_P12ihipStream_tbENKUlT_T0_SN_SS_E_clIPjSG_PS9_SI_EEDaS16_S17_SN_SS_EUlS16_E_NS1_11comp_targetILNS1_3genE0ELNS1_11target_archE4294967295ELNS1_3gpuE0ELNS1_3repE0EEENS1_47radix_sort_onesweep_sort_config_static_selectorELNS0_4arch9wavefront6targetE0EEEvSN_.uses_flat_scratch, 0
	.set _ZN7rocprim17ROCPRIM_400000_NS6detail17trampoline_kernelINS0_14default_configENS1_35radix_sort_onesweep_config_selectorIjN6thrust23THRUST_200600_302600_NS5tupleIffNS6_9null_typeES8_S8_S8_S8_S8_S8_S8_EEEEZZNS1_29radix_sort_onesweep_iterationIS3_Lb0ENS6_6detail15normal_iteratorINS6_10device_ptrIjEEEESG_NSD_INSE_IS9_EEEESI_jNS0_19identity_decomposerENS1_16block_id_wrapperIjLb0EEEEE10hipError_tT1_PNSt15iterator_traitsISN_E10value_typeET2_T3_PNSO_IST_E10value_typeET4_T5_PSY_SZ_PNS1_23onesweep_lookback_stateEbbT6_jjT7_P12ihipStream_tbENKUlT_T0_SN_SS_E_clIPjSG_PS9_SI_EEDaS16_S17_SN_SS_EUlS16_E_NS1_11comp_targetILNS1_3genE0ELNS1_11target_archE4294967295ELNS1_3gpuE0ELNS1_3repE0EEENS1_47radix_sort_onesweep_sort_config_static_selectorELNS0_4arch9wavefront6targetE0EEEvSN_.has_dyn_sized_stack, 0
	.set _ZN7rocprim17ROCPRIM_400000_NS6detail17trampoline_kernelINS0_14default_configENS1_35radix_sort_onesweep_config_selectorIjN6thrust23THRUST_200600_302600_NS5tupleIffNS6_9null_typeES8_S8_S8_S8_S8_S8_S8_EEEEZZNS1_29radix_sort_onesweep_iterationIS3_Lb0ENS6_6detail15normal_iteratorINS6_10device_ptrIjEEEESG_NSD_INSE_IS9_EEEESI_jNS0_19identity_decomposerENS1_16block_id_wrapperIjLb0EEEEE10hipError_tT1_PNSt15iterator_traitsISN_E10value_typeET2_T3_PNSO_IST_E10value_typeET4_T5_PSY_SZ_PNS1_23onesweep_lookback_stateEbbT6_jjT7_P12ihipStream_tbENKUlT_T0_SN_SS_E_clIPjSG_PS9_SI_EEDaS16_S17_SN_SS_EUlS16_E_NS1_11comp_targetILNS1_3genE0ELNS1_11target_archE4294967295ELNS1_3gpuE0ELNS1_3repE0EEENS1_47radix_sort_onesweep_sort_config_static_selectorELNS0_4arch9wavefront6targetE0EEEvSN_.has_recursion, 0
	.set _ZN7rocprim17ROCPRIM_400000_NS6detail17trampoline_kernelINS0_14default_configENS1_35radix_sort_onesweep_config_selectorIjN6thrust23THRUST_200600_302600_NS5tupleIffNS6_9null_typeES8_S8_S8_S8_S8_S8_S8_EEEEZZNS1_29radix_sort_onesweep_iterationIS3_Lb0ENS6_6detail15normal_iteratorINS6_10device_ptrIjEEEESG_NSD_INSE_IS9_EEEESI_jNS0_19identity_decomposerENS1_16block_id_wrapperIjLb0EEEEE10hipError_tT1_PNSt15iterator_traitsISN_E10value_typeET2_T3_PNSO_IST_E10value_typeET4_T5_PSY_SZ_PNS1_23onesweep_lookback_stateEbbT6_jjT7_P12ihipStream_tbENKUlT_T0_SN_SS_E_clIPjSG_PS9_SI_EEDaS16_S17_SN_SS_EUlS16_E_NS1_11comp_targetILNS1_3genE0ELNS1_11target_archE4294967295ELNS1_3gpuE0ELNS1_3repE0EEENS1_47radix_sort_onesweep_sort_config_static_selectorELNS0_4arch9wavefront6targetE0EEEvSN_.has_indirect_call, 0
	.section	.AMDGPU.csdata,"",@progbits
; Kernel info:
; codeLenInByte = 13232
; TotalNumSgprs: 45
; NumVgprs: 65
; ScratchSize: 0
; MemoryBound: 0
; FloatMode: 240
; IeeeMode: 1
; LDSByteSize: 51280 bytes/workgroup (compile time only)
; SGPRBlocks: 0
; VGPRBlocks: 4
; NumSGPRsForWavesPerEU: 45
; NumVGPRsForWavesPerEU: 65
; NamedBarCnt: 0
; Occupancy: 12
; WaveLimiterHint : 1
; COMPUTE_PGM_RSRC2:SCRATCH_EN: 0
; COMPUTE_PGM_RSRC2:USER_SGPR: 4
; COMPUTE_PGM_RSRC2:TRAP_HANDLER: 0
; COMPUTE_PGM_RSRC2:TGID_X_EN: 1
; COMPUTE_PGM_RSRC2:TGID_Y_EN: 0
; COMPUTE_PGM_RSRC2:TGID_Z_EN: 0
; COMPUTE_PGM_RSRC2:TIDIG_COMP_CNT: 2
	.section	.text._ZN7rocprim17ROCPRIM_400000_NS6detail17trampoline_kernelINS0_14default_configENS1_35radix_sort_onesweep_config_selectorIjN6thrust23THRUST_200600_302600_NS5tupleIffNS6_9null_typeES8_S8_S8_S8_S8_S8_S8_EEEEZZNS1_29radix_sort_onesweep_iterationIS3_Lb0ENS6_6detail15normal_iteratorINS6_10device_ptrIjEEEESG_NSD_INSE_IS9_EEEESI_jNS0_19identity_decomposerENS1_16block_id_wrapperIjLb0EEEEE10hipError_tT1_PNSt15iterator_traitsISN_E10value_typeET2_T3_PNSO_IST_E10value_typeET4_T5_PSY_SZ_PNS1_23onesweep_lookback_stateEbbT6_jjT7_P12ihipStream_tbENKUlT_T0_SN_SS_E_clIPjSG_PS9_SI_EEDaS16_S17_SN_SS_EUlS16_E_NS1_11comp_targetILNS1_3genE6ELNS1_11target_archE950ELNS1_3gpuE13ELNS1_3repE0EEENS1_47radix_sort_onesweep_sort_config_static_selectorELNS0_4arch9wavefront6targetE0EEEvSN_,"axG",@progbits,_ZN7rocprim17ROCPRIM_400000_NS6detail17trampoline_kernelINS0_14default_configENS1_35radix_sort_onesweep_config_selectorIjN6thrust23THRUST_200600_302600_NS5tupleIffNS6_9null_typeES8_S8_S8_S8_S8_S8_S8_EEEEZZNS1_29radix_sort_onesweep_iterationIS3_Lb0ENS6_6detail15normal_iteratorINS6_10device_ptrIjEEEESG_NSD_INSE_IS9_EEEESI_jNS0_19identity_decomposerENS1_16block_id_wrapperIjLb0EEEEE10hipError_tT1_PNSt15iterator_traitsISN_E10value_typeET2_T3_PNSO_IST_E10value_typeET4_T5_PSY_SZ_PNS1_23onesweep_lookback_stateEbbT6_jjT7_P12ihipStream_tbENKUlT_T0_SN_SS_E_clIPjSG_PS9_SI_EEDaS16_S17_SN_SS_EUlS16_E_NS1_11comp_targetILNS1_3genE6ELNS1_11target_archE950ELNS1_3gpuE13ELNS1_3repE0EEENS1_47radix_sort_onesweep_sort_config_static_selectorELNS0_4arch9wavefront6targetE0EEEvSN_,comdat
	.protected	_ZN7rocprim17ROCPRIM_400000_NS6detail17trampoline_kernelINS0_14default_configENS1_35radix_sort_onesweep_config_selectorIjN6thrust23THRUST_200600_302600_NS5tupleIffNS6_9null_typeES8_S8_S8_S8_S8_S8_S8_EEEEZZNS1_29radix_sort_onesweep_iterationIS3_Lb0ENS6_6detail15normal_iteratorINS6_10device_ptrIjEEEESG_NSD_INSE_IS9_EEEESI_jNS0_19identity_decomposerENS1_16block_id_wrapperIjLb0EEEEE10hipError_tT1_PNSt15iterator_traitsISN_E10value_typeET2_T3_PNSO_IST_E10value_typeET4_T5_PSY_SZ_PNS1_23onesweep_lookback_stateEbbT6_jjT7_P12ihipStream_tbENKUlT_T0_SN_SS_E_clIPjSG_PS9_SI_EEDaS16_S17_SN_SS_EUlS16_E_NS1_11comp_targetILNS1_3genE6ELNS1_11target_archE950ELNS1_3gpuE13ELNS1_3repE0EEENS1_47radix_sort_onesweep_sort_config_static_selectorELNS0_4arch9wavefront6targetE0EEEvSN_ ; -- Begin function _ZN7rocprim17ROCPRIM_400000_NS6detail17trampoline_kernelINS0_14default_configENS1_35radix_sort_onesweep_config_selectorIjN6thrust23THRUST_200600_302600_NS5tupleIffNS6_9null_typeES8_S8_S8_S8_S8_S8_S8_EEEEZZNS1_29radix_sort_onesweep_iterationIS3_Lb0ENS6_6detail15normal_iteratorINS6_10device_ptrIjEEEESG_NSD_INSE_IS9_EEEESI_jNS0_19identity_decomposerENS1_16block_id_wrapperIjLb0EEEEE10hipError_tT1_PNSt15iterator_traitsISN_E10value_typeET2_T3_PNSO_IST_E10value_typeET4_T5_PSY_SZ_PNS1_23onesweep_lookback_stateEbbT6_jjT7_P12ihipStream_tbENKUlT_T0_SN_SS_E_clIPjSG_PS9_SI_EEDaS16_S17_SN_SS_EUlS16_E_NS1_11comp_targetILNS1_3genE6ELNS1_11target_archE950ELNS1_3gpuE13ELNS1_3repE0EEENS1_47radix_sort_onesweep_sort_config_static_selectorELNS0_4arch9wavefront6targetE0EEEvSN_
	.globl	_ZN7rocprim17ROCPRIM_400000_NS6detail17trampoline_kernelINS0_14default_configENS1_35radix_sort_onesweep_config_selectorIjN6thrust23THRUST_200600_302600_NS5tupleIffNS6_9null_typeES8_S8_S8_S8_S8_S8_S8_EEEEZZNS1_29radix_sort_onesweep_iterationIS3_Lb0ENS6_6detail15normal_iteratorINS6_10device_ptrIjEEEESG_NSD_INSE_IS9_EEEESI_jNS0_19identity_decomposerENS1_16block_id_wrapperIjLb0EEEEE10hipError_tT1_PNSt15iterator_traitsISN_E10value_typeET2_T3_PNSO_IST_E10value_typeET4_T5_PSY_SZ_PNS1_23onesweep_lookback_stateEbbT6_jjT7_P12ihipStream_tbENKUlT_T0_SN_SS_E_clIPjSG_PS9_SI_EEDaS16_S17_SN_SS_EUlS16_E_NS1_11comp_targetILNS1_3genE6ELNS1_11target_archE950ELNS1_3gpuE13ELNS1_3repE0EEENS1_47radix_sort_onesweep_sort_config_static_selectorELNS0_4arch9wavefront6targetE0EEEvSN_
	.p2align	8
	.type	_ZN7rocprim17ROCPRIM_400000_NS6detail17trampoline_kernelINS0_14default_configENS1_35radix_sort_onesweep_config_selectorIjN6thrust23THRUST_200600_302600_NS5tupleIffNS6_9null_typeES8_S8_S8_S8_S8_S8_S8_EEEEZZNS1_29radix_sort_onesweep_iterationIS3_Lb0ENS6_6detail15normal_iteratorINS6_10device_ptrIjEEEESG_NSD_INSE_IS9_EEEESI_jNS0_19identity_decomposerENS1_16block_id_wrapperIjLb0EEEEE10hipError_tT1_PNSt15iterator_traitsISN_E10value_typeET2_T3_PNSO_IST_E10value_typeET4_T5_PSY_SZ_PNS1_23onesweep_lookback_stateEbbT6_jjT7_P12ihipStream_tbENKUlT_T0_SN_SS_E_clIPjSG_PS9_SI_EEDaS16_S17_SN_SS_EUlS16_E_NS1_11comp_targetILNS1_3genE6ELNS1_11target_archE950ELNS1_3gpuE13ELNS1_3repE0EEENS1_47radix_sort_onesweep_sort_config_static_selectorELNS0_4arch9wavefront6targetE0EEEvSN_,@function
_ZN7rocprim17ROCPRIM_400000_NS6detail17trampoline_kernelINS0_14default_configENS1_35radix_sort_onesweep_config_selectorIjN6thrust23THRUST_200600_302600_NS5tupleIffNS6_9null_typeES8_S8_S8_S8_S8_S8_S8_EEEEZZNS1_29radix_sort_onesweep_iterationIS3_Lb0ENS6_6detail15normal_iteratorINS6_10device_ptrIjEEEESG_NSD_INSE_IS9_EEEESI_jNS0_19identity_decomposerENS1_16block_id_wrapperIjLb0EEEEE10hipError_tT1_PNSt15iterator_traitsISN_E10value_typeET2_T3_PNSO_IST_E10value_typeET4_T5_PSY_SZ_PNS1_23onesweep_lookback_stateEbbT6_jjT7_P12ihipStream_tbENKUlT_T0_SN_SS_E_clIPjSG_PS9_SI_EEDaS16_S17_SN_SS_EUlS16_E_NS1_11comp_targetILNS1_3genE6ELNS1_11target_archE950ELNS1_3gpuE13ELNS1_3repE0EEENS1_47radix_sort_onesweep_sort_config_static_selectorELNS0_4arch9wavefront6targetE0EEEvSN_: ; @_ZN7rocprim17ROCPRIM_400000_NS6detail17trampoline_kernelINS0_14default_configENS1_35radix_sort_onesweep_config_selectorIjN6thrust23THRUST_200600_302600_NS5tupleIffNS6_9null_typeES8_S8_S8_S8_S8_S8_S8_EEEEZZNS1_29radix_sort_onesweep_iterationIS3_Lb0ENS6_6detail15normal_iteratorINS6_10device_ptrIjEEEESG_NSD_INSE_IS9_EEEESI_jNS0_19identity_decomposerENS1_16block_id_wrapperIjLb0EEEEE10hipError_tT1_PNSt15iterator_traitsISN_E10value_typeET2_T3_PNSO_IST_E10value_typeET4_T5_PSY_SZ_PNS1_23onesweep_lookback_stateEbbT6_jjT7_P12ihipStream_tbENKUlT_T0_SN_SS_E_clIPjSG_PS9_SI_EEDaS16_S17_SN_SS_EUlS16_E_NS1_11comp_targetILNS1_3genE6ELNS1_11target_archE950ELNS1_3gpuE13ELNS1_3repE0EEENS1_47radix_sort_onesweep_sort_config_static_selectorELNS0_4arch9wavefront6targetE0EEEvSN_
; %bb.0:
	.section	.rodata,"a",@progbits
	.p2align	6, 0x0
	.amdhsa_kernel _ZN7rocprim17ROCPRIM_400000_NS6detail17trampoline_kernelINS0_14default_configENS1_35radix_sort_onesweep_config_selectorIjN6thrust23THRUST_200600_302600_NS5tupleIffNS6_9null_typeES8_S8_S8_S8_S8_S8_S8_EEEEZZNS1_29radix_sort_onesweep_iterationIS3_Lb0ENS6_6detail15normal_iteratorINS6_10device_ptrIjEEEESG_NSD_INSE_IS9_EEEESI_jNS0_19identity_decomposerENS1_16block_id_wrapperIjLb0EEEEE10hipError_tT1_PNSt15iterator_traitsISN_E10value_typeET2_T3_PNSO_IST_E10value_typeET4_T5_PSY_SZ_PNS1_23onesweep_lookback_stateEbbT6_jjT7_P12ihipStream_tbENKUlT_T0_SN_SS_E_clIPjSG_PS9_SI_EEDaS16_S17_SN_SS_EUlS16_E_NS1_11comp_targetILNS1_3genE6ELNS1_11target_archE950ELNS1_3gpuE13ELNS1_3repE0EEENS1_47radix_sort_onesweep_sort_config_static_selectorELNS0_4arch9wavefront6targetE0EEEvSN_
		.amdhsa_group_segment_fixed_size 0
		.amdhsa_private_segment_fixed_size 0
		.amdhsa_kernarg_size 88
		.amdhsa_user_sgpr_count 2
		.amdhsa_user_sgpr_dispatch_ptr 0
		.amdhsa_user_sgpr_queue_ptr 0
		.amdhsa_user_sgpr_kernarg_segment_ptr 1
		.amdhsa_user_sgpr_dispatch_id 0
		.amdhsa_user_sgpr_kernarg_preload_length 0
		.amdhsa_user_sgpr_kernarg_preload_offset 0
		.amdhsa_user_sgpr_private_segment_size 0
		.amdhsa_wavefront_size32 1
		.amdhsa_uses_dynamic_stack 0
		.amdhsa_enable_private_segment 0
		.amdhsa_system_sgpr_workgroup_id_x 1
		.amdhsa_system_sgpr_workgroup_id_y 0
		.amdhsa_system_sgpr_workgroup_id_z 0
		.amdhsa_system_sgpr_workgroup_info 0
		.amdhsa_system_vgpr_workitem_id 0
		.amdhsa_next_free_vgpr 1
		.amdhsa_next_free_sgpr 1
		.amdhsa_named_barrier_count 0
		.amdhsa_reserve_vcc 0
		.amdhsa_float_round_mode_32 0
		.amdhsa_float_round_mode_16_64 0
		.amdhsa_float_denorm_mode_32 3
		.amdhsa_float_denorm_mode_16_64 3
		.amdhsa_fp16_overflow 0
		.amdhsa_memory_ordered 1
		.amdhsa_forward_progress 1
		.amdhsa_inst_pref_size 0
		.amdhsa_round_robin_scheduling 0
		.amdhsa_exception_fp_ieee_invalid_op 0
		.amdhsa_exception_fp_denorm_src 0
		.amdhsa_exception_fp_ieee_div_zero 0
		.amdhsa_exception_fp_ieee_overflow 0
		.amdhsa_exception_fp_ieee_underflow 0
		.amdhsa_exception_fp_ieee_inexact 0
		.amdhsa_exception_int_div_zero 0
	.end_amdhsa_kernel
	.section	.text._ZN7rocprim17ROCPRIM_400000_NS6detail17trampoline_kernelINS0_14default_configENS1_35radix_sort_onesweep_config_selectorIjN6thrust23THRUST_200600_302600_NS5tupleIffNS6_9null_typeES8_S8_S8_S8_S8_S8_S8_EEEEZZNS1_29radix_sort_onesweep_iterationIS3_Lb0ENS6_6detail15normal_iteratorINS6_10device_ptrIjEEEESG_NSD_INSE_IS9_EEEESI_jNS0_19identity_decomposerENS1_16block_id_wrapperIjLb0EEEEE10hipError_tT1_PNSt15iterator_traitsISN_E10value_typeET2_T3_PNSO_IST_E10value_typeET4_T5_PSY_SZ_PNS1_23onesweep_lookback_stateEbbT6_jjT7_P12ihipStream_tbENKUlT_T0_SN_SS_E_clIPjSG_PS9_SI_EEDaS16_S17_SN_SS_EUlS16_E_NS1_11comp_targetILNS1_3genE6ELNS1_11target_archE950ELNS1_3gpuE13ELNS1_3repE0EEENS1_47radix_sort_onesweep_sort_config_static_selectorELNS0_4arch9wavefront6targetE0EEEvSN_,"axG",@progbits,_ZN7rocprim17ROCPRIM_400000_NS6detail17trampoline_kernelINS0_14default_configENS1_35radix_sort_onesweep_config_selectorIjN6thrust23THRUST_200600_302600_NS5tupleIffNS6_9null_typeES8_S8_S8_S8_S8_S8_S8_EEEEZZNS1_29radix_sort_onesweep_iterationIS3_Lb0ENS6_6detail15normal_iteratorINS6_10device_ptrIjEEEESG_NSD_INSE_IS9_EEEESI_jNS0_19identity_decomposerENS1_16block_id_wrapperIjLb0EEEEE10hipError_tT1_PNSt15iterator_traitsISN_E10value_typeET2_T3_PNSO_IST_E10value_typeET4_T5_PSY_SZ_PNS1_23onesweep_lookback_stateEbbT6_jjT7_P12ihipStream_tbENKUlT_T0_SN_SS_E_clIPjSG_PS9_SI_EEDaS16_S17_SN_SS_EUlS16_E_NS1_11comp_targetILNS1_3genE6ELNS1_11target_archE950ELNS1_3gpuE13ELNS1_3repE0EEENS1_47radix_sort_onesweep_sort_config_static_selectorELNS0_4arch9wavefront6targetE0EEEvSN_,comdat
.Lfunc_end221:
	.size	_ZN7rocprim17ROCPRIM_400000_NS6detail17trampoline_kernelINS0_14default_configENS1_35radix_sort_onesweep_config_selectorIjN6thrust23THRUST_200600_302600_NS5tupleIffNS6_9null_typeES8_S8_S8_S8_S8_S8_S8_EEEEZZNS1_29radix_sort_onesweep_iterationIS3_Lb0ENS6_6detail15normal_iteratorINS6_10device_ptrIjEEEESG_NSD_INSE_IS9_EEEESI_jNS0_19identity_decomposerENS1_16block_id_wrapperIjLb0EEEEE10hipError_tT1_PNSt15iterator_traitsISN_E10value_typeET2_T3_PNSO_IST_E10value_typeET4_T5_PSY_SZ_PNS1_23onesweep_lookback_stateEbbT6_jjT7_P12ihipStream_tbENKUlT_T0_SN_SS_E_clIPjSG_PS9_SI_EEDaS16_S17_SN_SS_EUlS16_E_NS1_11comp_targetILNS1_3genE6ELNS1_11target_archE950ELNS1_3gpuE13ELNS1_3repE0EEENS1_47radix_sort_onesweep_sort_config_static_selectorELNS0_4arch9wavefront6targetE0EEEvSN_, .Lfunc_end221-_ZN7rocprim17ROCPRIM_400000_NS6detail17trampoline_kernelINS0_14default_configENS1_35radix_sort_onesweep_config_selectorIjN6thrust23THRUST_200600_302600_NS5tupleIffNS6_9null_typeES8_S8_S8_S8_S8_S8_S8_EEEEZZNS1_29radix_sort_onesweep_iterationIS3_Lb0ENS6_6detail15normal_iteratorINS6_10device_ptrIjEEEESG_NSD_INSE_IS9_EEEESI_jNS0_19identity_decomposerENS1_16block_id_wrapperIjLb0EEEEE10hipError_tT1_PNSt15iterator_traitsISN_E10value_typeET2_T3_PNSO_IST_E10value_typeET4_T5_PSY_SZ_PNS1_23onesweep_lookback_stateEbbT6_jjT7_P12ihipStream_tbENKUlT_T0_SN_SS_E_clIPjSG_PS9_SI_EEDaS16_S17_SN_SS_EUlS16_E_NS1_11comp_targetILNS1_3genE6ELNS1_11target_archE950ELNS1_3gpuE13ELNS1_3repE0EEENS1_47radix_sort_onesweep_sort_config_static_selectorELNS0_4arch9wavefront6targetE0EEEvSN_
                                        ; -- End function
	.set _ZN7rocprim17ROCPRIM_400000_NS6detail17trampoline_kernelINS0_14default_configENS1_35radix_sort_onesweep_config_selectorIjN6thrust23THRUST_200600_302600_NS5tupleIffNS6_9null_typeES8_S8_S8_S8_S8_S8_S8_EEEEZZNS1_29radix_sort_onesweep_iterationIS3_Lb0ENS6_6detail15normal_iteratorINS6_10device_ptrIjEEEESG_NSD_INSE_IS9_EEEESI_jNS0_19identity_decomposerENS1_16block_id_wrapperIjLb0EEEEE10hipError_tT1_PNSt15iterator_traitsISN_E10value_typeET2_T3_PNSO_IST_E10value_typeET4_T5_PSY_SZ_PNS1_23onesweep_lookback_stateEbbT6_jjT7_P12ihipStream_tbENKUlT_T0_SN_SS_E_clIPjSG_PS9_SI_EEDaS16_S17_SN_SS_EUlS16_E_NS1_11comp_targetILNS1_3genE6ELNS1_11target_archE950ELNS1_3gpuE13ELNS1_3repE0EEENS1_47radix_sort_onesweep_sort_config_static_selectorELNS0_4arch9wavefront6targetE0EEEvSN_.num_vgpr, 0
	.set _ZN7rocprim17ROCPRIM_400000_NS6detail17trampoline_kernelINS0_14default_configENS1_35radix_sort_onesweep_config_selectorIjN6thrust23THRUST_200600_302600_NS5tupleIffNS6_9null_typeES8_S8_S8_S8_S8_S8_S8_EEEEZZNS1_29radix_sort_onesweep_iterationIS3_Lb0ENS6_6detail15normal_iteratorINS6_10device_ptrIjEEEESG_NSD_INSE_IS9_EEEESI_jNS0_19identity_decomposerENS1_16block_id_wrapperIjLb0EEEEE10hipError_tT1_PNSt15iterator_traitsISN_E10value_typeET2_T3_PNSO_IST_E10value_typeET4_T5_PSY_SZ_PNS1_23onesweep_lookback_stateEbbT6_jjT7_P12ihipStream_tbENKUlT_T0_SN_SS_E_clIPjSG_PS9_SI_EEDaS16_S17_SN_SS_EUlS16_E_NS1_11comp_targetILNS1_3genE6ELNS1_11target_archE950ELNS1_3gpuE13ELNS1_3repE0EEENS1_47radix_sort_onesweep_sort_config_static_selectorELNS0_4arch9wavefront6targetE0EEEvSN_.num_agpr, 0
	.set _ZN7rocprim17ROCPRIM_400000_NS6detail17trampoline_kernelINS0_14default_configENS1_35radix_sort_onesweep_config_selectorIjN6thrust23THRUST_200600_302600_NS5tupleIffNS6_9null_typeES8_S8_S8_S8_S8_S8_S8_EEEEZZNS1_29radix_sort_onesweep_iterationIS3_Lb0ENS6_6detail15normal_iteratorINS6_10device_ptrIjEEEESG_NSD_INSE_IS9_EEEESI_jNS0_19identity_decomposerENS1_16block_id_wrapperIjLb0EEEEE10hipError_tT1_PNSt15iterator_traitsISN_E10value_typeET2_T3_PNSO_IST_E10value_typeET4_T5_PSY_SZ_PNS1_23onesweep_lookback_stateEbbT6_jjT7_P12ihipStream_tbENKUlT_T0_SN_SS_E_clIPjSG_PS9_SI_EEDaS16_S17_SN_SS_EUlS16_E_NS1_11comp_targetILNS1_3genE6ELNS1_11target_archE950ELNS1_3gpuE13ELNS1_3repE0EEENS1_47radix_sort_onesweep_sort_config_static_selectorELNS0_4arch9wavefront6targetE0EEEvSN_.numbered_sgpr, 0
	.set _ZN7rocprim17ROCPRIM_400000_NS6detail17trampoline_kernelINS0_14default_configENS1_35radix_sort_onesweep_config_selectorIjN6thrust23THRUST_200600_302600_NS5tupleIffNS6_9null_typeES8_S8_S8_S8_S8_S8_S8_EEEEZZNS1_29radix_sort_onesweep_iterationIS3_Lb0ENS6_6detail15normal_iteratorINS6_10device_ptrIjEEEESG_NSD_INSE_IS9_EEEESI_jNS0_19identity_decomposerENS1_16block_id_wrapperIjLb0EEEEE10hipError_tT1_PNSt15iterator_traitsISN_E10value_typeET2_T3_PNSO_IST_E10value_typeET4_T5_PSY_SZ_PNS1_23onesweep_lookback_stateEbbT6_jjT7_P12ihipStream_tbENKUlT_T0_SN_SS_E_clIPjSG_PS9_SI_EEDaS16_S17_SN_SS_EUlS16_E_NS1_11comp_targetILNS1_3genE6ELNS1_11target_archE950ELNS1_3gpuE13ELNS1_3repE0EEENS1_47radix_sort_onesweep_sort_config_static_selectorELNS0_4arch9wavefront6targetE0EEEvSN_.num_named_barrier, 0
	.set _ZN7rocprim17ROCPRIM_400000_NS6detail17trampoline_kernelINS0_14default_configENS1_35radix_sort_onesweep_config_selectorIjN6thrust23THRUST_200600_302600_NS5tupleIffNS6_9null_typeES8_S8_S8_S8_S8_S8_S8_EEEEZZNS1_29radix_sort_onesweep_iterationIS3_Lb0ENS6_6detail15normal_iteratorINS6_10device_ptrIjEEEESG_NSD_INSE_IS9_EEEESI_jNS0_19identity_decomposerENS1_16block_id_wrapperIjLb0EEEEE10hipError_tT1_PNSt15iterator_traitsISN_E10value_typeET2_T3_PNSO_IST_E10value_typeET4_T5_PSY_SZ_PNS1_23onesweep_lookback_stateEbbT6_jjT7_P12ihipStream_tbENKUlT_T0_SN_SS_E_clIPjSG_PS9_SI_EEDaS16_S17_SN_SS_EUlS16_E_NS1_11comp_targetILNS1_3genE6ELNS1_11target_archE950ELNS1_3gpuE13ELNS1_3repE0EEENS1_47radix_sort_onesweep_sort_config_static_selectorELNS0_4arch9wavefront6targetE0EEEvSN_.private_seg_size, 0
	.set _ZN7rocprim17ROCPRIM_400000_NS6detail17trampoline_kernelINS0_14default_configENS1_35radix_sort_onesweep_config_selectorIjN6thrust23THRUST_200600_302600_NS5tupleIffNS6_9null_typeES8_S8_S8_S8_S8_S8_S8_EEEEZZNS1_29radix_sort_onesweep_iterationIS3_Lb0ENS6_6detail15normal_iteratorINS6_10device_ptrIjEEEESG_NSD_INSE_IS9_EEEESI_jNS0_19identity_decomposerENS1_16block_id_wrapperIjLb0EEEEE10hipError_tT1_PNSt15iterator_traitsISN_E10value_typeET2_T3_PNSO_IST_E10value_typeET4_T5_PSY_SZ_PNS1_23onesweep_lookback_stateEbbT6_jjT7_P12ihipStream_tbENKUlT_T0_SN_SS_E_clIPjSG_PS9_SI_EEDaS16_S17_SN_SS_EUlS16_E_NS1_11comp_targetILNS1_3genE6ELNS1_11target_archE950ELNS1_3gpuE13ELNS1_3repE0EEENS1_47radix_sort_onesweep_sort_config_static_selectorELNS0_4arch9wavefront6targetE0EEEvSN_.uses_vcc, 0
	.set _ZN7rocprim17ROCPRIM_400000_NS6detail17trampoline_kernelINS0_14default_configENS1_35radix_sort_onesweep_config_selectorIjN6thrust23THRUST_200600_302600_NS5tupleIffNS6_9null_typeES8_S8_S8_S8_S8_S8_S8_EEEEZZNS1_29radix_sort_onesweep_iterationIS3_Lb0ENS6_6detail15normal_iteratorINS6_10device_ptrIjEEEESG_NSD_INSE_IS9_EEEESI_jNS0_19identity_decomposerENS1_16block_id_wrapperIjLb0EEEEE10hipError_tT1_PNSt15iterator_traitsISN_E10value_typeET2_T3_PNSO_IST_E10value_typeET4_T5_PSY_SZ_PNS1_23onesweep_lookback_stateEbbT6_jjT7_P12ihipStream_tbENKUlT_T0_SN_SS_E_clIPjSG_PS9_SI_EEDaS16_S17_SN_SS_EUlS16_E_NS1_11comp_targetILNS1_3genE6ELNS1_11target_archE950ELNS1_3gpuE13ELNS1_3repE0EEENS1_47radix_sort_onesweep_sort_config_static_selectorELNS0_4arch9wavefront6targetE0EEEvSN_.uses_flat_scratch, 0
	.set _ZN7rocprim17ROCPRIM_400000_NS6detail17trampoline_kernelINS0_14default_configENS1_35radix_sort_onesweep_config_selectorIjN6thrust23THRUST_200600_302600_NS5tupleIffNS6_9null_typeES8_S8_S8_S8_S8_S8_S8_EEEEZZNS1_29radix_sort_onesweep_iterationIS3_Lb0ENS6_6detail15normal_iteratorINS6_10device_ptrIjEEEESG_NSD_INSE_IS9_EEEESI_jNS0_19identity_decomposerENS1_16block_id_wrapperIjLb0EEEEE10hipError_tT1_PNSt15iterator_traitsISN_E10value_typeET2_T3_PNSO_IST_E10value_typeET4_T5_PSY_SZ_PNS1_23onesweep_lookback_stateEbbT6_jjT7_P12ihipStream_tbENKUlT_T0_SN_SS_E_clIPjSG_PS9_SI_EEDaS16_S17_SN_SS_EUlS16_E_NS1_11comp_targetILNS1_3genE6ELNS1_11target_archE950ELNS1_3gpuE13ELNS1_3repE0EEENS1_47radix_sort_onesweep_sort_config_static_selectorELNS0_4arch9wavefront6targetE0EEEvSN_.has_dyn_sized_stack, 0
	.set _ZN7rocprim17ROCPRIM_400000_NS6detail17trampoline_kernelINS0_14default_configENS1_35radix_sort_onesweep_config_selectorIjN6thrust23THRUST_200600_302600_NS5tupleIffNS6_9null_typeES8_S8_S8_S8_S8_S8_S8_EEEEZZNS1_29radix_sort_onesweep_iterationIS3_Lb0ENS6_6detail15normal_iteratorINS6_10device_ptrIjEEEESG_NSD_INSE_IS9_EEEESI_jNS0_19identity_decomposerENS1_16block_id_wrapperIjLb0EEEEE10hipError_tT1_PNSt15iterator_traitsISN_E10value_typeET2_T3_PNSO_IST_E10value_typeET4_T5_PSY_SZ_PNS1_23onesweep_lookback_stateEbbT6_jjT7_P12ihipStream_tbENKUlT_T0_SN_SS_E_clIPjSG_PS9_SI_EEDaS16_S17_SN_SS_EUlS16_E_NS1_11comp_targetILNS1_3genE6ELNS1_11target_archE950ELNS1_3gpuE13ELNS1_3repE0EEENS1_47radix_sort_onesweep_sort_config_static_selectorELNS0_4arch9wavefront6targetE0EEEvSN_.has_recursion, 0
	.set _ZN7rocprim17ROCPRIM_400000_NS6detail17trampoline_kernelINS0_14default_configENS1_35radix_sort_onesweep_config_selectorIjN6thrust23THRUST_200600_302600_NS5tupleIffNS6_9null_typeES8_S8_S8_S8_S8_S8_S8_EEEEZZNS1_29radix_sort_onesweep_iterationIS3_Lb0ENS6_6detail15normal_iteratorINS6_10device_ptrIjEEEESG_NSD_INSE_IS9_EEEESI_jNS0_19identity_decomposerENS1_16block_id_wrapperIjLb0EEEEE10hipError_tT1_PNSt15iterator_traitsISN_E10value_typeET2_T3_PNSO_IST_E10value_typeET4_T5_PSY_SZ_PNS1_23onesweep_lookback_stateEbbT6_jjT7_P12ihipStream_tbENKUlT_T0_SN_SS_E_clIPjSG_PS9_SI_EEDaS16_S17_SN_SS_EUlS16_E_NS1_11comp_targetILNS1_3genE6ELNS1_11target_archE950ELNS1_3gpuE13ELNS1_3repE0EEENS1_47radix_sort_onesweep_sort_config_static_selectorELNS0_4arch9wavefront6targetE0EEEvSN_.has_indirect_call, 0
	.section	.AMDGPU.csdata,"",@progbits
; Kernel info:
; codeLenInByte = 0
; TotalNumSgprs: 0
; NumVgprs: 0
; ScratchSize: 0
; MemoryBound: 0
; FloatMode: 240
; IeeeMode: 1
; LDSByteSize: 0 bytes/workgroup (compile time only)
; SGPRBlocks: 0
; VGPRBlocks: 0
; NumSGPRsForWavesPerEU: 1
; NumVGPRsForWavesPerEU: 1
; NamedBarCnt: 0
; Occupancy: 16
; WaveLimiterHint : 0
; COMPUTE_PGM_RSRC2:SCRATCH_EN: 0
; COMPUTE_PGM_RSRC2:USER_SGPR: 2
; COMPUTE_PGM_RSRC2:TRAP_HANDLER: 0
; COMPUTE_PGM_RSRC2:TGID_X_EN: 1
; COMPUTE_PGM_RSRC2:TGID_Y_EN: 0
; COMPUTE_PGM_RSRC2:TGID_Z_EN: 0
; COMPUTE_PGM_RSRC2:TIDIG_COMP_CNT: 0
	.section	.text._ZN7rocprim17ROCPRIM_400000_NS6detail17trampoline_kernelINS0_14default_configENS1_35radix_sort_onesweep_config_selectorIjN6thrust23THRUST_200600_302600_NS5tupleIffNS6_9null_typeES8_S8_S8_S8_S8_S8_S8_EEEEZZNS1_29radix_sort_onesweep_iterationIS3_Lb0ENS6_6detail15normal_iteratorINS6_10device_ptrIjEEEESG_NSD_INSE_IS9_EEEESI_jNS0_19identity_decomposerENS1_16block_id_wrapperIjLb0EEEEE10hipError_tT1_PNSt15iterator_traitsISN_E10value_typeET2_T3_PNSO_IST_E10value_typeET4_T5_PSY_SZ_PNS1_23onesweep_lookback_stateEbbT6_jjT7_P12ihipStream_tbENKUlT_T0_SN_SS_E_clIPjSG_PS9_SI_EEDaS16_S17_SN_SS_EUlS16_E_NS1_11comp_targetILNS1_3genE5ELNS1_11target_archE942ELNS1_3gpuE9ELNS1_3repE0EEENS1_47radix_sort_onesweep_sort_config_static_selectorELNS0_4arch9wavefront6targetE0EEEvSN_,"axG",@progbits,_ZN7rocprim17ROCPRIM_400000_NS6detail17trampoline_kernelINS0_14default_configENS1_35radix_sort_onesweep_config_selectorIjN6thrust23THRUST_200600_302600_NS5tupleIffNS6_9null_typeES8_S8_S8_S8_S8_S8_S8_EEEEZZNS1_29radix_sort_onesweep_iterationIS3_Lb0ENS6_6detail15normal_iteratorINS6_10device_ptrIjEEEESG_NSD_INSE_IS9_EEEESI_jNS0_19identity_decomposerENS1_16block_id_wrapperIjLb0EEEEE10hipError_tT1_PNSt15iterator_traitsISN_E10value_typeET2_T3_PNSO_IST_E10value_typeET4_T5_PSY_SZ_PNS1_23onesweep_lookback_stateEbbT6_jjT7_P12ihipStream_tbENKUlT_T0_SN_SS_E_clIPjSG_PS9_SI_EEDaS16_S17_SN_SS_EUlS16_E_NS1_11comp_targetILNS1_3genE5ELNS1_11target_archE942ELNS1_3gpuE9ELNS1_3repE0EEENS1_47radix_sort_onesweep_sort_config_static_selectorELNS0_4arch9wavefront6targetE0EEEvSN_,comdat
	.protected	_ZN7rocprim17ROCPRIM_400000_NS6detail17trampoline_kernelINS0_14default_configENS1_35radix_sort_onesweep_config_selectorIjN6thrust23THRUST_200600_302600_NS5tupleIffNS6_9null_typeES8_S8_S8_S8_S8_S8_S8_EEEEZZNS1_29radix_sort_onesweep_iterationIS3_Lb0ENS6_6detail15normal_iteratorINS6_10device_ptrIjEEEESG_NSD_INSE_IS9_EEEESI_jNS0_19identity_decomposerENS1_16block_id_wrapperIjLb0EEEEE10hipError_tT1_PNSt15iterator_traitsISN_E10value_typeET2_T3_PNSO_IST_E10value_typeET4_T5_PSY_SZ_PNS1_23onesweep_lookback_stateEbbT6_jjT7_P12ihipStream_tbENKUlT_T0_SN_SS_E_clIPjSG_PS9_SI_EEDaS16_S17_SN_SS_EUlS16_E_NS1_11comp_targetILNS1_3genE5ELNS1_11target_archE942ELNS1_3gpuE9ELNS1_3repE0EEENS1_47radix_sort_onesweep_sort_config_static_selectorELNS0_4arch9wavefront6targetE0EEEvSN_ ; -- Begin function _ZN7rocprim17ROCPRIM_400000_NS6detail17trampoline_kernelINS0_14default_configENS1_35radix_sort_onesweep_config_selectorIjN6thrust23THRUST_200600_302600_NS5tupleIffNS6_9null_typeES8_S8_S8_S8_S8_S8_S8_EEEEZZNS1_29radix_sort_onesweep_iterationIS3_Lb0ENS6_6detail15normal_iteratorINS6_10device_ptrIjEEEESG_NSD_INSE_IS9_EEEESI_jNS0_19identity_decomposerENS1_16block_id_wrapperIjLb0EEEEE10hipError_tT1_PNSt15iterator_traitsISN_E10value_typeET2_T3_PNSO_IST_E10value_typeET4_T5_PSY_SZ_PNS1_23onesweep_lookback_stateEbbT6_jjT7_P12ihipStream_tbENKUlT_T0_SN_SS_E_clIPjSG_PS9_SI_EEDaS16_S17_SN_SS_EUlS16_E_NS1_11comp_targetILNS1_3genE5ELNS1_11target_archE942ELNS1_3gpuE9ELNS1_3repE0EEENS1_47radix_sort_onesweep_sort_config_static_selectorELNS0_4arch9wavefront6targetE0EEEvSN_
	.globl	_ZN7rocprim17ROCPRIM_400000_NS6detail17trampoline_kernelINS0_14default_configENS1_35radix_sort_onesweep_config_selectorIjN6thrust23THRUST_200600_302600_NS5tupleIffNS6_9null_typeES8_S8_S8_S8_S8_S8_S8_EEEEZZNS1_29radix_sort_onesweep_iterationIS3_Lb0ENS6_6detail15normal_iteratorINS6_10device_ptrIjEEEESG_NSD_INSE_IS9_EEEESI_jNS0_19identity_decomposerENS1_16block_id_wrapperIjLb0EEEEE10hipError_tT1_PNSt15iterator_traitsISN_E10value_typeET2_T3_PNSO_IST_E10value_typeET4_T5_PSY_SZ_PNS1_23onesweep_lookback_stateEbbT6_jjT7_P12ihipStream_tbENKUlT_T0_SN_SS_E_clIPjSG_PS9_SI_EEDaS16_S17_SN_SS_EUlS16_E_NS1_11comp_targetILNS1_3genE5ELNS1_11target_archE942ELNS1_3gpuE9ELNS1_3repE0EEENS1_47radix_sort_onesweep_sort_config_static_selectorELNS0_4arch9wavefront6targetE0EEEvSN_
	.p2align	8
	.type	_ZN7rocprim17ROCPRIM_400000_NS6detail17trampoline_kernelINS0_14default_configENS1_35radix_sort_onesweep_config_selectorIjN6thrust23THRUST_200600_302600_NS5tupleIffNS6_9null_typeES8_S8_S8_S8_S8_S8_S8_EEEEZZNS1_29radix_sort_onesweep_iterationIS3_Lb0ENS6_6detail15normal_iteratorINS6_10device_ptrIjEEEESG_NSD_INSE_IS9_EEEESI_jNS0_19identity_decomposerENS1_16block_id_wrapperIjLb0EEEEE10hipError_tT1_PNSt15iterator_traitsISN_E10value_typeET2_T3_PNSO_IST_E10value_typeET4_T5_PSY_SZ_PNS1_23onesweep_lookback_stateEbbT6_jjT7_P12ihipStream_tbENKUlT_T0_SN_SS_E_clIPjSG_PS9_SI_EEDaS16_S17_SN_SS_EUlS16_E_NS1_11comp_targetILNS1_3genE5ELNS1_11target_archE942ELNS1_3gpuE9ELNS1_3repE0EEENS1_47radix_sort_onesweep_sort_config_static_selectorELNS0_4arch9wavefront6targetE0EEEvSN_,@function
_ZN7rocprim17ROCPRIM_400000_NS6detail17trampoline_kernelINS0_14default_configENS1_35radix_sort_onesweep_config_selectorIjN6thrust23THRUST_200600_302600_NS5tupleIffNS6_9null_typeES8_S8_S8_S8_S8_S8_S8_EEEEZZNS1_29radix_sort_onesweep_iterationIS3_Lb0ENS6_6detail15normal_iteratorINS6_10device_ptrIjEEEESG_NSD_INSE_IS9_EEEESI_jNS0_19identity_decomposerENS1_16block_id_wrapperIjLb0EEEEE10hipError_tT1_PNSt15iterator_traitsISN_E10value_typeET2_T3_PNSO_IST_E10value_typeET4_T5_PSY_SZ_PNS1_23onesweep_lookback_stateEbbT6_jjT7_P12ihipStream_tbENKUlT_T0_SN_SS_E_clIPjSG_PS9_SI_EEDaS16_S17_SN_SS_EUlS16_E_NS1_11comp_targetILNS1_3genE5ELNS1_11target_archE942ELNS1_3gpuE9ELNS1_3repE0EEENS1_47radix_sort_onesweep_sort_config_static_selectorELNS0_4arch9wavefront6targetE0EEEvSN_: ; @_ZN7rocprim17ROCPRIM_400000_NS6detail17trampoline_kernelINS0_14default_configENS1_35radix_sort_onesweep_config_selectorIjN6thrust23THRUST_200600_302600_NS5tupleIffNS6_9null_typeES8_S8_S8_S8_S8_S8_S8_EEEEZZNS1_29radix_sort_onesweep_iterationIS3_Lb0ENS6_6detail15normal_iteratorINS6_10device_ptrIjEEEESG_NSD_INSE_IS9_EEEESI_jNS0_19identity_decomposerENS1_16block_id_wrapperIjLb0EEEEE10hipError_tT1_PNSt15iterator_traitsISN_E10value_typeET2_T3_PNSO_IST_E10value_typeET4_T5_PSY_SZ_PNS1_23onesweep_lookback_stateEbbT6_jjT7_P12ihipStream_tbENKUlT_T0_SN_SS_E_clIPjSG_PS9_SI_EEDaS16_S17_SN_SS_EUlS16_E_NS1_11comp_targetILNS1_3genE5ELNS1_11target_archE942ELNS1_3gpuE9ELNS1_3repE0EEENS1_47radix_sort_onesweep_sort_config_static_selectorELNS0_4arch9wavefront6targetE0EEEvSN_
; %bb.0:
	.section	.rodata,"a",@progbits
	.p2align	6, 0x0
	.amdhsa_kernel _ZN7rocprim17ROCPRIM_400000_NS6detail17trampoline_kernelINS0_14default_configENS1_35radix_sort_onesweep_config_selectorIjN6thrust23THRUST_200600_302600_NS5tupleIffNS6_9null_typeES8_S8_S8_S8_S8_S8_S8_EEEEZZNS1_29radix_sort_onesweep_iterationIS3_Lb0ENS6_6detail15normal_iteratorINS6_10device_ptrIjEEEESG_NSD_INSE_IS9_EEEESI_jNS0_19identity_decomposerENS1_16block_id_wrapperIjLb0EEEEE10hipError_tT1_PNSt15iterator_traitsISN_E10value_typeET2_T3_PNSO_IST_E10value_typeET4_T5_PSY_SZ_PNS1_23onesweep_lookback_stateEbbT6_jjT7_P12ihipStream_tbENKUlT_T0_SN_SS_E_clIPjSG_PS9_SI_EEDaS16_S17_SN_SS_EUlS16_E_NS1_11comp_targetILNS1_3genE5ELNS1_11target_archE942ELNS1_3gpuE9ELNS1_3repE0EEENS1_47radix_sort_onesweep_sort_config_static_selectorELNS0_4arch9wavefront6targetE0EEEvSN_
		.amdhsa_group_segment_fixed_size 0
		.amdhsa_private_segment_fixed_size 0
		.amdhsa_kernarg_size 88
		.amdhsa_user_sgpr_count 2
		.amdhsa_user_sgpr_dispatch_ptr 0
		.amdhsa_user_sgpr_queue_ptr 0
		.amdhsa_user_sgpr_kernarg_segment_ptr 1
		.amdhsa_user_sgpr_dispatch_id 0
		.amdhsa_user_sgpr_kernarg_preload_length 0
		.amdhsa_user_sgpr_kernarg_preload_offset 0
		.amdhsa_user_sgpr_private_segment_size 0
		.amdhsa_wavefront_size32 1
		.amdhsa_uses_dynamic_stack 0
		.amdhsa_enable_private_segment 0
		.amdhsa_system_sgpr_workgroup_id_x 1
		.amdhsa_system_sgpr_workgroup_id_y 0
		.amdhsa_system_sgpr_workgroup_id_z 0
		.amdhsa_system_sgpr_workgroup_info 0
		.amdhsa_system_vgpr_workitem_id 0
		.amdhsa_next_free_vgpr 1
		.amdhsa_next_free_sgpr 1
		.amdhsa_named_barrier_count 0
		.amdhsa_reserve_vcc 0
		.amdhsa_float_round_mode_32 0
		.amdhsa_float_round_mode_16_64 0
		.amdhsa_float_denorm_mode_32 3
		.amdhsa_float_denorm_mode_16_64 3
		.amdhsa_fp16_overflow 0
		.amdhsa_memory_ordered 1
		.amdhsa_forward_progress 1
		.amdhsa_inst_pref_size 0
		.amdhsa_round_robin_scheduling 0
		.amdhsa_exception_fp_ieee_invalid_op 0
		.amdhsa_exception_fp_denorm_src 0
		.amdhsa_exception_fp_ieee_div_zero 0
		.amdhsa_exception_fp_ieee_overflow 0
		.amdhsa_exception_fp_ieee_underflow 0
		.amdhsa_exception_fp_ieee_inexact 0
		.amdhsa_exception_int_div_zero 0
	.end_amdhsa_kernel
	.section	.text._ZN7rocprim17ROCPRIM_400000_NS6detail17trampoline_kernelINS0_14default_configENS1_35radix_sort_onesweep_config_selectorIjN6thrust23THRUST_200600_302600_NS5tupleIffNS6_9null_typeES8_S8_S8_S8_S8_S8_S8_EEEEZZNS1_29radix_sort_onesweep_iterationIS3_Lb0ENS6_6detail15normal_iteratorINS6_10device_ptrIjEEEESG_NSD_INSE_IS9_EEEESI_jNS0_19identity_decomposerENS1_16block_id_wrapperIjLb0EEEEE10hipError_tT1_PNSt15iterator_traitsISN_E10value_typeET2_T3_PNSO_IST_E10value_typeET4_T5_PSY_SZ_PNS1_23onesweep_lookback_stateEbbT6_jjT7_P12ihipStream_tbENKUlT_T0_SN_SS_E_clIPjSG_PS9_SI_EEDaS16_S17_SN_SS_EUlS16_E_NS1_11comp_targetILNS1_3genE5ELNS1_11target_archE942ELNS1_3gpuE9ELNS1_3repE0EEENS1_47radix_sort_onesweep_sort_config_static_selectorELNS0_4arch9wavefront6targetE0EEEvSN_,"axG",@progbits,_ZN7rocprim17ROCPRIM_400000_NS6detail17trampoline_kernelINS0_14default_configENS1_35radix_sort_onesweep_config_selectorIjN6thrust23THRUST_200600_302600_NS5tupleIffNS6_9null_typeES8_S8_S8_S8_S8_S8_S8_EEEEZZNS1_29radix_sort_onesweep_iterationIS3_Lb0ENS6_6detail15normal_iteratorINS6_10device_ptrIjEEEESG_NSD_INSE_IS9_EEEESI_jNS0_19identity_decomposerENS1_16block_id_wrapperIjLb0EEEEE10hipError_tT1_PNSt15iterator_traitsISN_E10value_typeET2_T3_PNSO_IST_E10value_typeET4_T5_PSY_SZ_PNS1_23onesweep_lookback_stateEbbT6_jjT7_P12ihipStream_tbENKUlT_T0_SN_SS_E_clIPjSG_PS9_SI_EEDaS16_S17_SN_SS_EUlS16_E_NS1_11comp_targetILNS1_3genE5ELNS1_11target_archE942ELNS1_3gpuE9ELNS1_3repE0EEENS1_47radix_sort_onesweep_sort_config_static_selectorELNS0_4arch9wavefront6targetE0EEEvSN_,comdat
.Lfunc_end222:
	.size	_ZN7rocprim17ROCPRIM_400000_NS6detail17trampoline_kernelINS0_14default_configENS1_35radix_sort_onesweep_config_selectorIjN6thrust23THRUST_200600_302600_NS5tupleIffNS6_9null_typeES8_S8_S8_S8_S8_S8_S8_EEEEZZNS1_29radix_sort_onesweep_iterationIS3_Lb0ENS6_6detail15normal_iteratorINS6_10device_ptrIjEEEESG_NSD_INSE_IS9_EEEESI_jNS0_19identity_decomposerENS1_16block_id_wrapperIjLb0EEEEE10hipError_tT1_PNSt15iterator_traitsISN_E10value_typeET2_T3_PNSO_IST_E10value_typeET4_T5_PSY_SZ_PNS1_23onesweep_lookback_stateEbbT6_jjT7_P12ihipStream_tbENKUlT_T0_SN_SS_E_clIPjSG_PS9_SI_EEDaS16_S17_SN_SS_EUlS16_E_NS1_11comp_targetILNS1_3genE5ELNS1_11target_archE942ELNS1_3gpuE9ELNS1_3repE0EEENS1_47radix_sort_onesweep_sort_config_static_selectorELNS0_4arch9wavefront6targetE0EEEvSN_, .Lfunc_end222-_ZN7rocprim17ROCPRIM_400000_NS6detail17trampoline_kernelINS0_14default_configENS1_35radix_sort_onesweep_config_selectorIjN6thrust23THRUST_200600_302600_NS5tupleIffNS6_9null_typeES8_S8_S8_S8_S8_S8_S8_EEEEZZNS1_29radix_sort_onesweep_iterationIS3_Lb0ENS6_6detail15normal_iteratorINS6_10device_ptrIjEEEESG_NSD_INSE_IS9_EEEESI_jNS0_19identity_decomposerENS1_16block_id_wrapperIjLb0EEEEE10hipError_tT1_PNSt15iterator_traitsISN_E10value_typeET2_T3_PNSO_IST_E10value_typeET4_T5_PSY_SZ_PNS1_23onesweep_lookback_stateEbbT6_jjT7_P12ihipStream_tbENKUlT_T0_SN_SS_E_clIPjSG_PS9_SI_EEDaS16_S17_SN_SS_EUlS16_E_NS1_11comp_targetILNS1_3genE5ELNS1_11target_archE942ELNS1_3gpuE9ELNS1_3repE0EEENS1_47radix_sort_onesweep_sort_config_static_selectorELNS0_4arch9wavefront6targetE0EEEvSN_
                                        ; -- End function
	.set _ZN7rocprim17ROCPRIM_400000_NS6detail17trampoline_kernelINS0_14default_configENS1_35radix_sort_onesweep_config_selectorIjN6thrust23THRUST_200600_302600_NS5tupleIffNS6_9null_typeES8_S8_S8_S8_S8_S8_S8_EEEEZZNS1_29radix_sort_onesweep_iterationIS3_Lb0ENS6_6detail15normal_iteratorINS6_10device_ptrIjEEEESG_NSD_INSE_IS9_EEEESI_jNS0_19identity_decomposerENS1_16block_id_wrapperIjLb0EEEEE10hipError_tT1_PNSt15iterator_traitsISN_E10value_typeET2_T3_PNSO_IST_E10value_typeET4_T5_PSY_SZ_PNS1_23onesweep_lookback_stateEbbT6_jjT7_P12ihipStream_tbENKUlT_T0_SN_SS_E_clIPjSG_PS9_SI_EEDaS16_S17_SN_SS_EUlS16_E_NS1_11comp_targetILNS1_3genE5ELNS1_11target_archE942ELNS1_3gpuE9ELNS1_3repE0EEENS1_47radix_sort_onesweep_sort_config_static_selectorELNS0_4arch9wavefront6targetE0EEEvSN_.num_vgpr, 0
	.set _ZN7rocprim17ROCPRIM_400000_NS6detail17trampoline_kernelINS0_14default_configENS1_35radix_sort_onesweep_config_selectorIjN6thrust23THRUST_200600_302600_NS5tupleIffNS6_9null_typeES8_S8_S8_S8_S8_S8_S8_EEEEZZNS1_29radix_sort_onesweep_iterationIS3_Lb0ENS6_6detail15normal_iteratorINS6_10device_ptrIjEEEESG_NSD_INSE_IS9_EEEESI_jNS0_19identity_decomposerENS1_16block_id_wrapperIjLb0EEEEE10hipError_tT1_PNSt15iterator_traitsISN_E10value_typeET2_T3_PNSO_IST_E10value_typeET4_T5_PSY_SZ_PNS1_23onesweep_lookback_stateEbbT6_jjT7_P12ihipStream_tbENKUlT_T0_SN_SS_E_clIPjSG_PS9_SI_EEDaS16_S17_SN_SS_EUlS16_E_NS1_11comp_targetILNS1_3genE5ELNS1_11target_archE942ELNS1_3gpuE9ELNS1_3repE0EEENS1_47radix_sort_onesweep_sort_config_static_selectorELNS0_4arch9wavefront6targetE0EEEvSN_.num_agpr, 0
	.set _ZN7rocprim17ROCPRIM_400000_NS6detail17trampoline_kernelINS0_14default_configENS1_35radix_sort_onesweep_config_selectorIjN6thrust23THRUST_200600_302600_NS5tupleIffNS6_9null_typeES8_S8_S8_S8_S8_S8_S8_EEEEZZNS1_29radix_sort_onesweep_iterationIS3_Lb0ENS6_6detail15normal_iteratorINS6_10device_ptrIjEEEESG_NSD_INSE_IS9_EEEESI_jNS0_19identity_decomposerENS1_16block_id_wrapperIjLb0EEEEE10hipError_tT1_PNSt15iterator_traitsISN_E10value_typeET2_T3_PNSO_IST_E10value_typeET4_T5_PSY_SZ_PNS1_23onesweep_lookback_stateEbbT6_jjT7_P12ihipStream_tbENKUlT_T0_SN_SS_E_clIPjSG_PS9_SI_EEDaS16_S17_SN_SS_EUlS16_E_NS1_11comp_targetILNS1_3genE5ELNS1_11target_archE942ELNS1_3gpuE9ELNS1_3repE0EEENS1_47radix_sort_onesweep_sort_config_static_selectorELNS0_4arch9wavefront6targetE0EEEvSN_.numbered_sgpr, 0
	.set _ZN7rocprim17ROCPRIM_400000_NS6detail17trampoline_kernelINS0_14default_configENS1_35radix_sort_onesweep_config_selectorIjN6thrust23THRUST_200600_302600_NS5tupleIffNS6_9null_typeES8_S8_S8_S8_S8_S8_S8_EEEEZZNS1_29radix_sort_onesweep_iterationIS3_Lb0ENS6_6detail15normal_iteratorINS6_10device_ptrIjEEEESG_NSD_INSE_IS9_EEEESI_jNS0_19identity_decomposerENS1_16block_id_wrapperIjLb0EEEEE10hipError_tT1_PNSt15iterator_traitsISN_E10value_typeET2_T3_PNSO_IST_E10value_typeET4_T5_PSY_SZ_PNS1_23onesweep_lookback_stateEbbT6_jjT7_P12ihipStream_tbENKUlT_T0_SN_SS_E_clIPjSG_PS9_SI_EEDaS16_S17_SN_SS_EUlS16_E_NS1_11comp_targetILNS1_3genE5ELNS1_11target_archE942ELNS1_3gpuE9ELNS1_3repE0EEENS1_47radix_sort_onesweep_sort_config_static_selectorELNS0_4arch9wavefront6targetE0EEEvSN_.num_named_barrier, 0
	.set _ZN7rocprim17ROCPRIM_400000_NS6detail17trampoline_kernelINS0_14default_configENS1_35radix_sort_onesweep_config_selectorIjN6thrust23THRUST_200600_302600_NS5tupleIffNS6_9null_typeES8_S8_S8_S8_S8_S8_S8_EEEEZZNS1_29radix_sort_onesweep_iterationIS3_Lb0ENS6_6detail15normal_iteratorINS6_10device_ptrIjEEEESG_NSD_INSE_IS9_EEEESI_jNS0_19identity_decomposerENS1_16block_id_wrapperIjLb0EEEEE10hipError_tT1_PNSt15iterator_traitsISN_E10value_typeET2_T3_PNSO_IST_E10value_typeET4_T5_PSY_SZ_PNS1_23onesweep_lookback_stateEbbT6_jjT7_P12ihipStream_tbENKUlT_T0_SN_SS_E_clIPjSG_PS9_SI_EEDaS16_S17_SN_SS_EUlS16_E_NS1_11comp_targetILNS1_3genE5ELNS1_11target_archE942ELNS1_3gpuE9ELNS1_3repE0EEENS1_47radix_sort_onesweep_sort_config_static_selectorELNS0_4arch9wavefront6targetE0EEEvSN_.private_seg_size, 0
	.set _ZN7rocprim17ROCPRIM_400000_NS6detail17trampoline_kernelINS0_14default_configENS1_35radix_sort_onesweep_config_selectorIjN6thrust23THRUST_200600_302600_NS5tupleIffNS6_9null_typeES8_S8_S8_S8_S8_S8_S8_EEEEZZNS1_29radix_sort_onesweep_iterationIS3_Lb0ENS6_6detail15normal_iteratorINS6_10device_ptrIjEEEESG_NSD_INSE_IS9_EEEESI_jNS0_19identity_decomposerENS1_16block_id_wrapperIjLb0EEEEE10hipError_tT1_PNSt15iterator_traitsISN_E10value_typeET2_T3_PNSO_IST_E10value_typeET4_T5_PSY_SZ_PNS1_23onesweep_lookback_stateEbbT6_jjT7_P12ihipStream_tbENKUlT_T0_SN_SS_E_clIPjSG_PS9_SI_EEDaS16_S17_SN_SS_EUlS16_E_NS1_11comp_targetILNS1_3genE5ELNS1_11target_archE942ELNS1_3gpuE9ELNS1_3repE0EEENS1_47radix_sort_onesweep_sort_config_static_selectorELNS0_4arch9wavefront6targetE0EEEvSN_.uses_vcc, 0
	.set _ZN7rocprim17ROCPRIM_400000_NS6detail17trampoline_kernelINS0_14default_configENS1_35radix_sort_onesweep_config_selectorIjN6thrust23THRUST_200600_302600_NS5tupleIffNS6_9null_typeES8_S8_S8_S8_S8_S8_S8_EEEEZZNS1_29radix_sort_onesweep_iterationIS3_Lb0ENS6_6detail15normal_iteratorINS6_10device_ptrIjEEEESG_NSD_INSE_IS9_EEEESI_jNS0_19identity_decomposerENS1_16block_id_wrapperIjLb0EEEEE10hipError_tT1_PNSt15iterator_traitsISN_E10value_typeET2_T3_PNSO_IST_E10value_typeET4_T5_PSY_SZ_PNS1_23onesweep_lookback_stateEbbT6_jjT7_P12ihipStream_tbENKUlT_T0_SN_SS_E_clIPjSG_PS9_SI_EEDaS16_S17_SN_SS_EUlS16_E_NS1_11comp_targetILNS1_3genE5ELNS1_11target_archE942ELNS1_3gpuE9ELNS1_3repE0EEENS1_47radix_sort_onesweep_sort_config_static_selectorELNS0_4arch9wavefront6targetE0EEEvSN_.uses_flat_scratch, 0
	.set _ZN7rocprim17ROCPRIM_400000_NS6detail17trampoline_kernelINS0_14default_configENS1_35radix_sort_onesweep_config_selectorIjN6thrust23THRUST_200600_302600_NS5tupleIffNS6_9null_typeES8_S8_S8_S8_S8_S8_S8_EEEEZZNS1_29radix_sort_onesweep_iterationIS3_Lb0ENS6_6detail15normal_iteratorINS6_10device_ptrIjEEEESG_NSD_INSE_IS9_EEEESI_jNS0_19identity_decomposerENS1_16block_id_wrapperIjLb0EEEEE10hipError_tT1_PNSt15iterator_traitsISN_E10value_typeET2_T3_PNSO_IST_E10value_typeET4_T5_PSY_SZ_PNS1_23onesweep_lookback_stateEbbT6_jjT7_P12ihipStream_tbENKUlT_T0_SN_SS_E_clIPjSG_PS9_SI_EEDaS16_S17_SN_SS_EUlS16_E_NS1_11comp_targetILNS1_3genE5ELNS1_11target_archE942ELNS1_3gpuE9ELNS1_3repE0EEENS1_47radix_sort_onesweep_sort_config_static_selectorELNS0_4arch9wavefront6targetE0EEEvSN_.has_dyn_sized_stack, 0
	.set _ZN7rocprim17ROCPRIM_400000_NS6detail17trampoline_kernelINS0_14default_configENS1_35radix_sort_onesweep_config_selectorIjN6thrust23THRUST_200600_302600_NS5tupleIffNS6_9null_typeES8_S8_S8_S8_S8_S8_S8_EEEEZZNS1_29radix_sort_onesweep_iterationIS3_Lb0ENS6_6detail15normal_iteratorINS6_10device_ptrIjEEEESG_NSD_INSE_IS9_EEEESI_jNS0_19identity_decomposerENS1_16block_id_wrapperIjLb0EEEEE10hipError_tT1_PNSt15iterator_traitsISN_E10value_typeET2_T3_PNSO_IST_E10value_typeET4_T5_PSY_SZ_PNS1_23onesweep_lookback_stateEbbT6_jjT7_P12ihipStream_tbENKUlT_T0_SN_SS_E_clIPjSG_PS9_SI_EEDaS16_S17_SN_SS_EUlS16_E_NS1_11comp_targetILNS1_3genE5ELNS1_11target_archE942ELNS1_3gpuE9ELNS1_3repE0EEENS1_47radix_sort_onesweep_sort_config_static_selectorELNS0_4arch9wavefront6targetE0EEEvSN_.has_recursion, 0
	.set _ZN7rocprim17ROCPRIM_400000_NS6detail17trampoline_kernelINS0_14default_configENS1_35radix_sort_onesweep_config_selectorIjN6thrust23THRUST_200600_302600_NS5tupleIffNS6_9null_typeES8_S8_S8_S8_S8_S8_S8_EEEEZZNS1_29radix_sort_onesweep_iterationIS3_Lb0ENS6_6detail15normal_iteratorINS6_10device_ptrIjEEEESG_NSD_INSE_IS9_EEEESI_jNS0_19identity_decomposerENS1_16block_id_wrapperIjLb0EEEEE10hipError_tT1_PNSt15iterator_traitsISN_E10value_typeET2_T3_PNSO_IST_E10value_typeET4_T5_PSY_SZ_PNS1_23onesweep_lookback_stateEbbT6_jjT7_P12ihipStream_tbENKUlT_T0_SN_SS_E_clIPjSG_PS9_SI_EEDaS16_S17_SN_SS_EUlS16_E_NS1_11comp_targetILNS1_3genE5ELNS1_11target_archE942ELNS1_3gpuE9ELNS1_3repE0EEENS1_47radix_sort_onesweep_sort_config_static_selectorELNS0_4arch9wavefront6targetE0EEEvSN_.has_indirect_call, 0
	.section	.AMDGPU.csdata,"",@progbits
; Kernel info:
; codeLenInByte = 0
; TotalNumSgprs: 0
; NumVgprs: 0
; ScratchSize: 0
; MemoryBound: 0
; FloatMode: 240
; IeeeMode: 1
; LDSByteSize: 0 bytes/workgroup (compile time only)
; SGPRBlocks: 0
; VGPRBlocks: 0
; NumSGPRsForWavesPerEU: 1
; NumVGPRsForWavesPerEU: 1
; NamedBarCnt: 0
; Occupancy: 16
; WaveLimiterHint : 0
; COMPUTE_PGM_RSRC2:SCRATCH_EN: 0
; COMPUTE_PGM_RSRC2:USER_SGPR: 2
; COMPUTE_PGM_RSRC2:TRAP_HANDLER: 0
; COMPUTE_PGM_RSRC2:TGID_X_EN: 1
; COMPUTE_PGM_RSRC2:TGID_Y_EN: 0
; COMPUTE_PGM_RSRC2:TGID_Z_EN: 0
; COMPUTE_PGM_RSRC2:TIDIG_COMP_CNT: 0
	.section	.text._ZN7rocprim17ROCPRIM_400000_NS6detail17trampoline_kernelINS0_14default_configENS1_35radix_sort_onesweep_config_selectorIjN6thrust23THRUST_200600_302600_NS5tupleIffNS6_9null_typeES8_S8_S8_S8_S8_S8_S8_EEEEZZNS1_29radix_sort_onesweep_iterationIS3_Lb0ENS6_6detail15normal_iteratorINS6_10device_ptrIjEEEESG_NSD_INSE_IS9_EEEESI_jNS0_19identity_decomposerENS1_16block_id_wrapperIjLb0EEEEE10hipError_tT1_PNSt15iterator_traitsISN_E10value_typeET2_T3_PNSO_IST_E10value_typeET4_T5_PSY_SZ_PNS1_23onesweep_lookback_stateEbbT6_jjT7_P12ihipStream_tbENKUlT_T0_SN_SS_E_clIPjSG_PS9_SI_EEDaS16_S17_SN_SS_EUlS16_E_NS1_11comp_targetILNS1_3genE2ELNS1_11target_archE906ELNS1_3gpuE6ELNS1_3repE0EEENS1_47radix_sort_onesweep_sort_config_static_selectorELNS0_4arch9wavefront6targetE0EEEvSN_,"axG",@progbits,_ZN7rocprim17ROCPRIM_400000_NS6detail17trampoline_kernelINS0_14default_configENS1_35radix_sort_onesweep_config_selectorIjN6thrust23THRUST_200600_302600_NS5tupleIffNS6_9null_typeES8_S8_S8_S8_S8_S8_S8_EEEEZZNS1_29radix_sort_onesweep_iterationIS3_Lb0ENS6_6detail15normal_iteratorINS6_10device_ptrIjEEEESG_NSD_INSE_IS9_EEEESI_jNS0_19identity_decomposerENS1_16block_id_wrapperIjLb0EEEEE10hipError_tT1_PNSt15iterator_traitsISN_E10value_typeET2_T3_PNSO_IST_E10value_typeET4_T5_PSY_SZ_PNS1_23onesweep_lookback_stateEbbT6_jjT7_P12ihipStream_tbENKUlT_T0_SN_SS_E_clIPjSG_PS9_SI_EEDaS16_S17_SN_SS_EUlS16_E_NS1_11comp_targetILNS1_3genE2ELNS1_11target_archE906ELNS1_3gpuE6ELNS1_3repE0EEENS1_47radix_sort_onesweep_sort_config_static_selectorELNS0_4arch9wavefront6targetE0EEEvSN_,comdat
	.protected	_ZN7rocprim17ROCPRIM_400000_NS6detail17trampoline_kernelINS0_14default_configENS1_35radix_sort_onesweep_config_selectorIjN6thrust23THRUST_200600_302600_NS5tupleIffNS6_9null_typeES8_S8_S8_S8_S8_S8_S8_EEEEZZNS1_29radix_sort_onesweep_iterationIS3_Lb0ENS6_6detail15normal_iteratorINS6_10device_ptrIjEEEESG_NSD_INSE_IS9_EEEESI_jNS0_19identity_decomposerENS1_16block_id_wrapperIjLb0EEEEE10hipError_tT1_PNSt15iterator_traitsISN_E10value_typeET2_T3_PNSO_IST_E10value_typeET4_T5_PSY_SZ_PNS1_23onesweep_lookback_stateEbbT6_jjT7_P12ihipStream_tbENKUlT_T0_SN_SS_E_clIPjSG_PS9_SI_EEDaS16_S17_SN_SS_EUlS16_E_NS1_11comp_targetILNS1_3genE2ELNS1_11target_archE906ELNS1_3gpuE6ELNS1_3repE0EEENS1_47radix_sort_onesweep_sort_config_static_selectorELNS0_4arch9wavefront6targetE0EEEvSN_ ; -- Begin function _ZN7rocprim17ROCPRIM_400000_NS6detail17trampoline_kernelINS0_14default_configENS1_35radix_sort_onesweep_config_selectorIjN6thrust23THRUST_200600_302600_NS5tupleIffNS6_9null_typeES8_S8_S8_S8_S8_S8_S8_EEEEZZNS1_29radix_sort_onesweep_iterationIS3_Lb0ENS6_6detail15normal_iteratorINS6_10device_ptrIjEEEESG_NSD_INSE_IS9_EEEESI_jNS0_19identity_decomposerENS1_16block_id_wrapperIjLb0EEEEE10hipError_tT1_PNSt15iterator_traitsISN_E10value_typeET2_T3_PNSO_IST_E10value_typeET4_T5_PSY_SZ_PNS1_23onesweep_lookback_stateEbbT6_jjT7_P12ihipStream_tbENKUlT_T0_SN_SS_E_clIPjSG_PS9_SI_EEDaS16_S17_SN_SS_EUlS16_E_NS1_11comp_targetILNS1_3genE2ELNS1_11target_archE906ELNS1_3gpuE6ELNS1_3repE0EEENS1_47radix_sort_onesweep_sort_config_static_selectorELNS0_4arch9wavefront6targetE0EEEvSN_
	.globl	_ZN7rocprim17ROCPRIM_400000_NS6detail17trampoline_kernelINS0_14default_configENS1_35radix_sort_onesweep_config_selectorIjN6thrust23THRUST_200600_302600_NS5tupleIffNS6_9null_typeES8_S8_S8_S8_S8_S8_S8_EEEEZZNS1_29radix_sort_onesweep_iterationIS3_Lb0ENS6_6detail15normal_iteratorINS6_10device_ptrIjEEEESG_NSD_INSE_IS9_EEEESI_jNS0_19identity_decomposerENS1_16block_id_wrapperIjLb0EEEEE10hipError_tT1_PNSt15iterator_traitsISN_E10value_typeET2_T3_PNSO_IST_E10value_typeET4_T5_PSY_SZ_PNS1_23onesweep_lookback_stateEbbT6_jjT7_P12ihipStream_tbENKUlT_T0_SN_SS_E_clIPjSG_PS9_SI_EEDaS16_S17_SN_SS_EUlS16_E_NS1_11comp_targetILNS1_3genE2ELNS1_11target_archE906ELNS1_3gpuE6ELNS1_3repE0EEENS1_47radix_sort_onesweep_sort_config_static_selectorELNS0_4arch9wavefront6targetE0EEEvSN_
	.p2align	8
	.type	_ZN7rocprim17ROCPRIM_400000_NS6detail17trampoline_kernelINS0_14default_configENS1_35radix_sort_onesweep_config_selectorIjN6thrust23THRUST_200600_302600_NS5tupleIffNS6_9null_typeES8_S8_S8_S8_S8_S8_S8_EEEEZZNS1_29radix_sort_onesweep_iterationIS3_Lb0ENS6_6detail15normal_iteratorINS6_10device_ptrIjEEEESG_NSD_INSE_IS9_EEEESI_jNS0_19identity_decomposerENS1_16block_id_wrapperIjLb0EEEEE10hipError_tT1_PNSt15iterator_traitsISN_E10value_typeET2_T3_PNSO_IST_E10value_typeET4_T5_PSY_SZ_PNS1_23onesweep_lookback_stateEbbT6_jjT7_P12ihipStream_tbENKUlT_T0_SN_SS_E_clIPjSG_PS9_SI_EEDaS16_S17_SN_SS_EUlS16_E_NS1_11comp_targetILNS1_3genE2ELNS1_11target_archE906ELNS1_3gpuE6ELNS1_3repE0EEENS1_47radix_sort_onesweep_sort_config_static_selectorELNS0_4arch9wavefront6targetE0EEEvSN_,@function
_ZN7rocprim17ROCPRIM_400000_NS6detail17trampoline_kernelINS0_14default_configENS1_35radix_sort_onesweep_config_selectorIjN6thrust23THRUST_200600_302600_NS5tupleIffNS6_9null_typeES8_S8_S8_S8_S8_S8_S8_EEEEZZNS1_29radix_sort_onesweep_iterationIS3_Lb0ENS6_6detail15normal_iteratorINS6_10device_ptrIjEEEESG_NSD_INSE_IS9_EEEESI_jNS0_19identity_decomposerENS1_16block_id_wrapperIjLb0EEEEE10hipError_tT1_PNSt15iterator_traitsISN_E10value_typeET2_T3_PNSO_IST_E10value_typeET4_T5_PSY_SZ_PNS1_23onesweep_lookback_stateEbbT6_jjT7_P12ihipStream_tbENKUlT_T0_SN_SS_E_clIPjSG_PS9_SI_EEDaS16_S17_SN_SS_EUlS16_E_NS1_11comp_targetILNS1_3genE2ELNS1_11target_archE906ELNS1_3gpuE6ELNS1_3repE0EEENS1_47radix_sort_onesweep_sort_config_static_selectorELNS0_4arch9wavefront6targetE0EEEvSN_: ; @_ZN7rocprim17ROCPRIM_400000_NS6detail17trampoline_kernelINS0_14default_configENS1_35radix_sort_onesweep_config_selectorIjN6thrust23THRUST_200600_302600_NS5tupleIffNS6_9null_typeES8_S8_S8_S8_S8_S8_S8_EEEEZZNS1_29radix_sort_onesweep_iterationIS3_Lb0ENS6_6detail15normal_iteratorINS6_10device_ptrIjEEEESG_NSD_INSE_IS9_EEEESI_jNS0_19identity_decomposerENS1_16block_id_wrapperIjLb0EEEEE10hipError_tT1_PNSt15iterator_traitsISN_E10value_typeET2_T3_PNSO_IST_E10value_typeET4_T5_PSY_SZ_PNS1_23onesweep_lookback_stateEbbT6_jjT7_P12ihipStream_tbENKUlT_T0_SN_SS_E_clIPjSG_PS9_SI_EEDaS16_S17_SN_SS_EUlS16_E_NS1_11comp_targetILNS1_3genE2ELNS1_11target_archE906ELNS1_3gpuE6ELNS1_3repE0EEENS1_47radix_sort_onesweep_sort_config_static_selectorELNS0_4arch9wavefront6targetE0EEEvSN_
; %bb.0:
	.section	.rodata,"a",@progbits
	.p2align	6, 0x0
	.amdhsa_kernel _ZN7rocprim17ROCPRIM_400000_NS6detail17trampoline_kernelINS0_14default_configENS1_35radix_sort_onesweep_config_selectorIjN6thrust23THRUST_200600_302600_NS5tupleIffNS6_9null_typeES8_S8_S8_S8_S8_S8_S8_EEEEZZNS1_29radix_sort_onesweep_iterationIS3_Lb0ENS6_6detail15normal_iteratorINS6_10device_ptrIjEEEESG_NSD_INSE_IS9_EEEESI_jNS0_19identity_decomposerENS1_16block_id_wrapperIjLb0EEEEE10hipError_tT1_PNSt15iterator_traitsISN_E10value_typeET2_T3_PNSO_IST_E10value_typeET4_T5_PSY_SZ_PNS1_23onesweep_lookback_stateEbbT6_jjT7_P12ihipStream_tbENKUlT_T0_SN_SS_E_clIPjSG_PS9_SI_EEDaS16_S17_SN_SS_EUlS16_E_NS1_11comp_targetILNS1_3genE2ELNS1_11target_archE906ELNS1_3gpuE6ELNS1_3repE0EEENS1_47radix_sort_onesweep_sort_config_static_selectorELNS0_4arch9wavefront6targetE0EEEvSN_
		.amdhsa_group_segment_fixed_size 0
		.amdhsa_private_segment_fixed_size 0
		.amdhsa_kernarg_size 88
		.amdhsa_user_sgpr_count 2
		.amdhsa_user_sgpr_dispatch_ptr 0
		.amdhsa_user_sgpr_queue_ptr 0
		.amdhsa_user_sgpr_kernarg_segment_ptr 1
		.amdhsa_user_sgpr_dispatch_id 0
		.amdhsa_user_sgpr_kernarg_preload_length 0
		.amdhsa_user_sgpr_kernarg_preload_offset 0
		.amdhsa_user_sgpr_private_segment_size 0
		.amdhsa_wavefront_size32 1
		.amdhsa_uses_dynamic_stack 0
		.amdhsa_enable_private_segment 0
		.amdhsa_system_sgpr_workgroup_id_x 1
		.amdhsa_system_sgpr_workgroup_id_y 0
		.amdhsa_system_sgpr_workgroup_id_z 0
		.amdhsa_system_sgpr_workgroup_info 0
		.amdhsa_system_vgpr_workitem_id 0
		.amdhsa_next_free_vgpr 1
		.amdhsa_next_free_sgpr 1
		.amdhsa_named_barrier_count 0
		.amdhsa_reserve_vcc 0
		.amdhsa_float_round_mode_32 0
		.amdhsa_float_round_mode_16_64 0
		.amdhsa_float_denorm_mode_32 3
		.amdhsa_float_denorm_mode_16_64 3
		.amdhsa_fp16_overflow 0
		.amdhsa_memory_ordered 1
		.amdhsa_forward_progress 1
		.amdhsa_inst_pref_size 0
		.amdhsa_round_robin_scheduling 0
		.amdhsa_exception_fp_ieee_invalid_op 0
		.amdhsa_exception_fp_denorm_src 0
		.amdhsa_exception_fp_ieee_div_zero 0
		.amdhsa_exception_fp_ieee_overflow 0
		.amdhsa_exception_fp_ieee_underflow 0
		.amdhsa_exception_fp_ieee_inexact 0
		.amdhsa_exception_int_div_zero 0
	.end_amdhsa_kernel
	.section	.text._ZN7rocprim17ROCPRIM_400000_NS6detail17trampoline_kernelINS0_14default_configENS1_35radix_sort_onesweep_config_selectorIjN6thrust23THRUST_200600_302600_NS5tupleIffNS6_9null_typeES8_S8_S8_S8_S8_S8_S8_EEEEZZNS1_29radix_sort_onesweep_iterationIS3_Lb0ENS6_6detail15normal_iteratorINS6_10device_ptrIjEEEESG_NSD_INSE_IS9_EEEESI_jNS0_19identity_decomposerENS1_16block_id_wrapperIjLb0EEEEE10hipError_tT1_PNSt15iterator_traitsISN_E10value_typeET2_T3_PNSO_IST_E10value_typeET4_T5_PSY_SZ_PNS1_23onesweep_lookback_stateEbbT6_jjT7_P12ihipStream_tbENKUlT_T0_SN_SS_E_clIPjSG_PS9_SI_EEDaS16_S17_SN_SS_EUlS16_E_NS1_11comp_targetILNS1_3genE2ELNS1_11target_archE906ELNS1_3gpuE6ELNS1_3repE0EEENS1_47radix_sort_onesweep_sort_config_static_selectorELNS0_4arch9wavefront6targetE0EEEvSN_,"axG",@progbits,_ZN7rocprim17ROCPRIM_400000_NS6detail17trampoline_kernelINS0_14default_configENS1_35radix_sort_onesweep_config_selectorIjN6thrust23THRUST_200600_302600_NS5tupleIffNS6_9null_typeES8_S8_S8_S8_S8_S8_S8_EEEEZZNS1_29radix_sort_onesweep_iterationIS3_Lb0ENS6_6detail15normal_iteratorINS6_10device_ptrIjEEEESG_NSD_INSE_IS9_EEEESI_jNS0_19identity_decomposerENS1_16block_id_wrapperIjLb0EEEEE10hipError_tT1_PNSt15iterator_traitsISN_E10value_typeET2_T3_PNSO_IST_E10value_typeET4_T5_PSY_SZ_PNS1_23onesweep_lookback_stateEbbT6_jjT7_P12ihipStream_tbENKUlT_T0_SN_SS_E_clIPjSG_PS9_SI_EEDaS16_S17_SN_SS_EUlS16_E_NS1_11comp_targetILNS1_3genE2ELNS1_11target_archE906ELNS1_3gpuE6ELNS1_3repE0EEENS1_47radix_sort_onesweep_sort_config_static_selectorELNS0_4arch9wavefront6targetE0EEEvSN_,comdat
.Lfunc_end223:
	.size	_ZN7rocprim17ROCPRIM_400000_NS6detail17trampoline_kernelINS0_14default_configENS1_35radix_sort_onesweep_config_selectorIjN6thrust23THRUST_200600_302600_NS5tupleIffNS6_9null_typeES8_S8_S8_S8_S8_S8_S8_EEEEZZNS1_29radix_sort_onesweep_iterationIS3_Lb0ENS6_6detail15normal_iteratorINS6_10device_ptrIjEEEESG_NSD_INSE_IS9_EEEESI_jNS0_19identity_decomposerENS1_16block_id_wrapperIjLb0EEEEE10hipError_tT1_PNSt15iterator_traitsISN_E10value_typeET2_T3_PNSO_IST_E10value_typeET4_T5_PSY_SZ_PNS1_23onesweep_lookback_stateEbbT6_jjT7_P12ihipStream_tbENKUlT_T0_SN_SS_E_clIPjSG_PS9_SI_EEDaS16_S17_SN_SS_EUlS16_E_NS1_11comp_targetILNS1_3genE2ELNS1_11target_archE906ELNS1_3gpuE6ELNS1_3repE0EEENS1_47radix_sort_onesweep_sort_config_static_selectorELNS0_4arch9wavefront6targetE0EEEvSN_, .Lfunc_end223-_ZN7rocprim17ROCPRIM_400000_NS6detail17trampoline_kernelINS0_14default_configENS1_35radix_sort_onesweep_config_selectorIjN6thrust23THRUST_200600_302600_NS5tupleIffNS6_9null_typeES8_S8_S8_S8_S8_S8_S8_EEEEZZNS1_29radix_sort_onesweep_iterationIS3_Lb0ENS6_6detail15normal_iteratorINS6_10device_ptrIjEEEESG_NSD_INSE_IS9_EEEESI_jNS0_19identity_decomposerENS1_16block_id_wrapperIjLb0EEEEE10hipError_tT1_PNSt15iterator_traitsISN_E10value_typeET2_T3_PNSO_IST_E10value_typeET4_T5_PSY_SZ_PNS1_23onesweep_lookback_stateEbbT6_jjT7_P12ihipStream_tbENKUlT_T0_SN_SS_E_clIPjSG_PS9_SI_EEDaS16_S17_SN_SS_EUlS16_E_NS1_11comp_targetILNS1_3genE2ELNS1_11target_archE906ELNS1_3gpuE6ELNS1_3repE0EEENS1_47radix_sort_onesweep_sort_config_static_selectorELNS0_4arch9wavefront6targetE0EEEvSN_
                                        ; -- End function
	.set _ZN7rocprim17ROCPRIM_400000_NS6detail17trampoline_kernelINS0_14default_configENS1_35radix_sort_onesweep_config_selectorIjN6thrust23THRUST_200600_302600_NS5tupleIffNS6_9null_typeES8_S8_S8_S8_S8_S8_S8_EEEEZZNS1_29radix_sort_onesweep_iterationIS3_Lb0ENS6_6detail15normal_iteratorINS6_10device_ptrIjEEEESG_NSD_INSE_IS9_EEEESI_jNS0_19identity_decomposerENS1_16block_id_wrapperIjLb0EEEEE10hipError_tT1_PNSt15iterator_traitsISN_E10value_typeET2_T3_PNSO_IST_E10value_typeET4_T5_PSY_SZ_PNS1_23onesweep_lookback_stateEbbT6_jjT7_P12ihipStream_tbENKUlT_T0_SN_SS_E_clIPjSG_PS9_SI_EEDaS16_S17_SN_SS_EUlS16_E_NS1_11comp_targetILNS1_3genE2ELNS1_11target_archE906ELNS1_3gpuE6ELNS1_3repE0EEENS1_47radix_sort_onesweep_sort_config_static_selectorELNS0_4arch9wavefront6targetE0EEEvSN_.num_vgpr, 0
	.set _ZN7rocprim17ROCPRIM_400000_NS6detail17trampoline_kernelINS0_14default_configENS1_35radix_sort_onesweep_config_selectorIjN6thrust23THRUST_200600_302600_NS5tupleIffNS6_9null_typeES8_S8_S8_S8_S8_S8_S8_EEEEZZNS1_29radix_sort_onesweep_iterationIS3_Lb0ENS6_6detail15normal_iteratorINS6_10device_ptrIjEEEESG_NSD_INSE_IS9_EEEESI_jNS0_19identity_decomposerENS1_16block_id_wrapperIjLb0EEEEE10hipError_tT1_PNSt15iterator_traitsISN_E10value_typeET2_T3_PNSO_IST_E10value_typeET4_T5_PSY_SZ_PNS1_23onesweep_lookback_stateEbbT6_jjT7_P12ihipStream_tbENKUlT_T0_SN_SS_E_clIPjSG_PS9_SI_EEDaS16_S17_SN_SS_EUlS16_E_NS1_11comp_targetILNS1_3genE2ELNS1_11target_archE906ELNS1_3gpuE6ELNS1_3repE0EEENS1_47radix_sort_onesweep_sort_config_static_selectorELNS0_4arch9wavefront6targetE0EEEvSN_.num_agpr, 0
	.set _ZN7rocprim17ROCPRIM_400000_NS6detail17trampoline_kernelINS0_14default_configENS1_35radix_sort_onesweep_config_selectorIjN6thrust23THRUST_200600_302600_NS5tupleIffNS6_9null_typeES8_S8_S8_S8_S8_S8_S8_EEEEZZNS1_29radix_sort_onesweep_iterationIS3_Lb0ENS6_6detail15normal_iteratorINS6_10device_ptrIjEEEESG_NSD_INSE_IS9_EEEESI_jNS0_19identity_decomposerENS1_16block_id_wrapperIjLb0EEEEE10hipError_tT1_PNSt15iterator_traitsISN_E10value_typeET2_T3_PNSO_IST_E10value_typeET4_T5_PSY_SZ_PNS1_23onesweep_lookback_stateEbbT6_jjT7_P12ihipStream_tbENKUlT_T0_SN_SS_E_clIPjSG_PS9_SI_EEDaS16_S17_SN_SS_EUlS16_E_NS1_11comp_targetILNS1_3genE2ELNS1_11target_archE906ELNS1_3gpuE6ELNS1_3repE0EEENS1_47radix_sort_onesweep_sort_config_static_selectorELNS0_4arch9wavefront6targetE0EEEvSN_.numbered_sgpr, 0
	.set _ZN7rocprim17ROCPRIM_400000_NS6detail17trampoline_kernelINS0_14default_configENS1_35radix_sort_onesweep_config_selectorIjN6thrust23THRUST_200600_302600_NS5tupleIffNS6_9null_typeES8_S8_S8_S8_S8_S8_S8_EEEEZZNS1_29radix_sort_onesweep_iterationIS3_Lb0ENS6_6detail15normal_iteratorINS6_10device_ptrIjEEEESG_NSD_INSE_IS9_EEEESI_jNS0_19identity_decomposerENS1_16block_id_wrapperIjLb0EEEEE10hipError_tT1_PNSt15iterator_traitsISN_E10value_typeET2_T3_PNSO_IST_E10value_typeET4_T5_PSY_SZ_PNS1_23onesweep_lookback_stateEbbT6_jjT7_P12ihipStream_tbENKUlT_T0_SN_SS_E_clIPjSG_PS9_SI_EEDaS16_S17_SN_SS_EUlS16_E_NS1_11comp_targetILNS1_3genE2ELNS1_11target_archE906ELNS1_3gpuE6ELNS1_3repE0EEENS1_47radix_sort_onesweep_sort_config_static_selectorELNS0_4arch9wavefront6targetE0EEEvSN_.num_named_barrier, 0
	.set _ZN7rocprim17ROCPRIM_400000_NS6detail17trampoline_kernelINS0_14default_configENS1_35radix_sort_onesweep_config_selectorIjN6thrust23THRUST_200600_302600_NS5tupleIffNS6_9null_typeES8_S8_S8_S8_S8_S8_S8_EEEEZZNS1_29radix_sort_onesweep_iterationIS3_Lb0ENS6_6detail15normal_iteratorINS6_10device_ptrIjEEEESG_NSD_INSE_IS9_EEEESI_jNS0_19identity_decomposerENS1_16block_id_wrapperIjLb0EEEEE10hipError_tT1_PNSt15iterator_traitsISN_E10value_typeET2_T3_PNSO_IST_E10value_typeET4_T5_PSY_SZ_PNS1_23onesweep_lookback_stateEbbT6_jjT7_P12ihipStream_tbENKUlT_T0_SN_SS_E_clIPjSG_PS9_SI_EEDaS16_S17_SN_SS_EUlS16_E_NS1_11comp_targetILNS1_3genE2ELNS1_11target_archE906ELNS1_3gpuE6ELNS1_3repE0EEENS1_47radix_sort_onesweep_sort_config_static_selectorELNS0_4arch9wavefront6targetE0EEEvSN_.private_seg_size, 0
	.set _ZN7rocprim17ROCPRIM_400000_NS6detail17trampoline_kernelINS0_14default_configENS1_35radix_sort_onesweep_config_selectorIjN6thrust23THRUST_200600_302600_NS5tupleIffNS6_9null_typeES8_S8_S8_S8_S8_S8_S8_EEEEZZNS1_29radix_sort_onesweep_iterationIS3_Lb0ENS6_6detail15normal_iteratorINS6_10device_ptrIjEEEESG_NSD_INSE_IS9_EEEESI_jNS0_19identity_decomposerENS1_16block_id_wrapperIjLb0EEEEE10hipError_tT1_PNSt15iterator_traitsISN_E10value_typeET2_T3_PNSO_IST_E10value_typeET4_T5_PSY_SZ_PNS1_23onesweep_lookback_stateEbbT6_jjT7_P12ihipStream_tbENKUlT_T0_SN_SS_E_clIPjSG_PS9_SI_EEDaS16_S17_SN_SS_EUlS16_E_NS1_11comp_targetILNS1_3genE2ELNS1_11target_archE906ELNS1_3gpuE6ELNS1_3repE0EEENS1_47radix_sort_onesweep_sort_config_static_selectorELNS0_4arch9wavefront6targetE0EEEvSN_.uses_vcc, 0
	.set _ZN7rocprim17ROCPRIM_400000_NS6detail17trampoline_kernelINS0_14default_configENS1_35radix_sort_onesweep_config_selectorIjN6thrust23THRUST_200600_302600_NS5tupleIffNS6_9null_typeES8_S8_S8_S8_S8_S8_S8_EEEEZZNS1_29radix_sort_onesweep_iterationIS3_Lb0ENS6_6detail15normal_iteratorINS6_10device_ptrIjEEEESG_NSD_INSE_IS9_EEEESI_jNS0_19identity_decomposerENS1_16block_id_wrapperIjLb0EEEEE10hipError_tT1_PNSt15iterator_traitsISN_E10value_typeET2_T3_PNSO_IST_E10value_typeET4_T5_PSY_SZ_PNS1_23onesweep_lookback_stateEbbT6_jjT7_P12ihipStream_tbENKUlT_T0_SN_SS_E_clIPjSG_PS9_SI_EEDaS16_S17_SN_SS_EUlS16_E_NS1_11comp_targetILNS1_3genE2ELNS1_11target_archE906ELNS1_3gpuE6ELNS1_3repE0EEENS1_47radix_sort_onesweep_sort_config_static_selectorELNS0_4arch9wavefront6targetE0EEEvSN_.uses_flat_scratch, 0
	.set _ZN7rocprim17ROCPRIM_400000_NS6detail17trampoline_kernelINS0_14default_configENS1_35radix_sort_onesweep_config_selectorIjN6thrust23THRUST_200600_302600_NS5tupleIffNS6_9null_typeES8_S8_S8_S8_S8_S8_S8_EEEEZZNS1_29radix_sort_onesweep_iterationIS3_Lb0ENS6_6detail15normal_iteratorINS6_10device_ptrIjEEEESG_NSD_INSE_IS9_EEEESI_jNS0_19identity_decomposerENS1_16block_id_wrapperIjLb0EEEEE10hipError_tT1_PNSt15iterator_traitsISN_E10value_typeET2_T3_PNSO_IST_E10value_typeET4_T5_PSY_SZ_PNS1_23onesweep_lookback_stateEbbT6_jjT7_P12ihipStream_tbENKUlT_T0_SN_SS_E_clIPjSG_PS9_SI_EEDaS16_S17_SN_SS_EUlS16_E_NS1_11comp_targetILNS1_3genE2ELNS1_11target_archE906ELNS1_3gpuE6ELNS1_3repE0EEENS1_47radix_sort_onesweep_sort_config_static_selectorELNS0_4arch9wavefront6targetE0EEEvSN_.has_dyn_sized_stack, 0
	.set _ZN7rocprim17ROCPRIM_400000_NS6detail17trampoline_kernelINS0_14default_configENS1_35radix_sort_onesweep_config_selectorIjN6thrust23THRUST_200600_302600_NS5tupleIffNS6_9null_typeES8_S8_S8_S8_S8_S8_S8_EEEEZZNS1_29radix_sort_onesweep_iterationIS3_Lb0ENS6_6detail15normal_iteratorINS6_10device_ptrIjEEEESG_NSD_INSE_IS9_EEEESI_jNS0_19identity_decomposerENS1_16block_id_wrapperIjLb0EEEEE10hipError_tT1_PNSt15iterator_traitsISN_E10value_typeET2_T3_PNSO_IST_E10value_typeET4_T5_PSY_SZ_PNS1_23onesweep_lookback_stateEbbT6_jjT7_P12ihipStream_tbENKUlT_T0_SN_SS_E_clIPjSG_PS9_SI_EEDaS16_S17_SN_SS_EUlS16_E_NS1_11comp_targetILNS1_3genE2ELNS1_11target_archE906ELNS1_3gpuE6ELNS1_3repE0EEENS1_47radix_sort_onesweep_sort_config_static_selectorELNS0_4arch9wavefront6targetE0EEEvSN_.has_recursion, 0
	.set _ZN7rocprim17ROCPRIM_400000_NS6detail17trampoline_kernelINS0_14default_configENS1_35radix_sort_onesweep_config_selectorIjN6thrust23THRUST_200600_302600_NS5tupleIffNS6_9null_typeES8_S8_S8_S8_S8_S8_S8_EEEEZZNS1_29radix_sort_onesweep_iterationIS3_Lb0ENS6_6detail15normal_iteratorINS6_10device_ptrIjEEEESG_NSD_INSE_IS9_EEEESI_jNS0_19identity_decomposerENS1_16block_id_wrapperIjLb0EEEEE10hipError_tT1_PNSt15iterator_traitsISN_E10value_typeET2_T3_PNSO_IST_E10value_typeET4_T5_PSY_SZ_PNS1_23onesweep_lookback_stateEbbT6_jjT7_P12ihipStream_tbENKUlT_T0_SN_SS_E_clIPjSG_PS9_SI_EEDaS16_S17_SN_SS_EUlS16_E_NS1_11comp_targetILNS1_3genE2ELNS1_11target_archE906ELNS1_3gpuE6ELNS1_3repE0EEENS1_47radix_sort_onesweep_sort_config_static_selectorELNS0_4arch9wavefront6targetE0EEEvSN_.has_indirect_call, 0
	.section	.AMDGPU.csdata,"",@progbits
; Kernel info:
; codeLenInByte = 0
; TotalNumSgprs: 0
; NumVgprs: 0
; ScratchSize: 0
; MemoryBound: 0
; FloatMode: 240
; IeeeMode: 1
; LDSByteSize: 0 bytes/workgroup (compile time only)
; SGPRBlocks: 0
; VGPRBlocks: 0
; NumSGPRsForWavesPerEU: 1
; NumVGPRsForWavesPerEU: 1
; NamedBarCnt: 0
; Occupancy: 16
; WaveLimiterHint : 0
; COMPUTE_PGM_RSRC2:SCRATCH_EN: 0
; COMPUTE_PGM_RSRC2:USER_SGPR: 2
; COMPUTE_PGM_RSRC2:TRAP_HANDLER: 0
; COMPUTE_PGM_RSRC2:TGID_X_EN: 1
; COMPUTE_PGM_RSRC2:TGID_Y_EN: 0
; COMPUTE_PGM_RSRC2:TGID_Z_EN: 0
; COMPUTE_PGM_RSRC2:TIDIG_COMP_CNT: 0
	.section	.text._ZN7rocprim17ROCPRIM_400000_NS6detail17trampoline_kernelINS0_14default_configENS1_35radix_sort_onesweep_config_selectorIjN6thrust23THRUST_200600_302600_NS5tupleIffNS6_9null_typeES8_S8_S8_S8_S8_S8_S8_EEEEZZNS1_29radix_sort_onesweep_iterationIS3_Lb0ENS6_6detail15normal_iteratorINS6_10device_ptrIjEEEESG_NSD_INSE_IS9_EEEESI_jNS0_19identity_decomposerENS1_16block_id_wrapperIjLb0EEEEE10hipError_tT1_PNSt15iterator_traitsISN_E10value_typeET2_T3_PNSO_IST_E10value_typeET4_T5_PSY_SZ_PNS1_23onesweep_lookback_stateEbbT6_jjT7_P12ihipStream_tbENKUlT_T0_SN_SS_E_clIPjSG_PS9_SI_EEDaS16_S17_SN_SS_EUlS16_E_NS1_11comp_targetILNS1_3genE4ELNS1_11target_archE910ELNS1_3gpuE8ELNS1_3repE0EEENS1_47radix_sort_onesweep_sort_config_static_selectorELNS0_4arch9wavefront6targetE0EEEvSN_,"axG",@progbits,_ZN7rocprim17ROCPRIM_400000_NS6detail17trampoline_kernelINS0_14default_configENS1_35radix_sort_onesweep_config_selectorIjN6thrust23THRUST_200600_302600_NS5tupleIffNS6_9null_typeES8_S8_S8_S8_S8_S8_S8_EEEEZZNS1_29radix_sort_onesweep_iterationIS3_Lb0ENS6_6detail15normal_iteratorINS6_10device_ptrIjEEEESG_NSD_INSE_IS9_EEEESI_jNS0_19identity_decomposerENS1_16block_id_wrapperIjLb0EEEEE10hipError_tT1_PNSt15iterator_traitsISN_E10value_typeET2_T3_PNSO_IST_E10value_typeET4_T5_PSY_SZ_PNS1_23onesweep_lookback_stateEbbT6_jjT7_P12ihipStream_tbENKUlT_T0_SN_SS_E_clIPjSG_PS9_SI_EEDaS16_S17_SN_SS_EUlS16_E_NS1_11comp_targetILNS1_3genE4ELNS1_11target_archE910ELNS1_3gpuE8ELNS1_3repE0EEENS1_47radix_sort_onesweep_sort_config_static_selectorELNS0_4arch9wavefront6targetE0EEEvSN_,comdat
	.protected	_ZN7rocprim17ROCPRIM_400000_NS6detail17trampoline_kernelINS0_14default_configENS1_35radix_sort_onesweep_config_selectorIjN6thrust23THRUST_200600_302600_NS5tupleIffNS6_9null_typeES8_S8_S8_S8_S8_S8_S8_EEEEZZNS1_29radix_sort_onesweep_iterationIS3_Lb0ENS6_6detail15normal_iteratorINS6_10device_ptrIjEEEESG_NSD_INSE_IS9_EEEESI_jNS0_19identity_decomposerENS1_16block_id_wrapperIjLb0EEEEE10hipError_tT1_PNSt15iterator_traitsISN_E10value_typeET2_T3_PNSO_IST_E10value_typeET4_T5_PSY_SZ_PNS1_23onesweep_lookback_stateEbbT6_jjT7_P12ihipStream_tbENKUlT_T0_SN_SS_E_clIPjSG_PS9_SI_EEDaS16_S17_SN_SS_EUlS16_E_NS1_11comp_targetILNS1_3genE4ELNS1_11target_archE910ELNS1_3gpuE8ELNS1_3repE0EEENS1_47radix_sort_onesweep_sort_config_static_selectorELNS0_4arch9wavefront6targetE0EEEvSN_ ; -- Begin function _ZN7rocprim17ROCPRIM_400000_NS6detail17trampoline_kernelINS0_14default_configENS1_35radix_sort_onesweep_config_selectorIjN6thrust23THRUST_200600_302600_NS5tupleIffNS6_9null_typeES8_S8_S8_S8_S8_S8_S8_EEEEZZNS1_29radix_sort_onesweep_iterationIS3_Lb0ENS6_6detail15normal_iteratorINS6_10device_ptrIjEEEESG_NSD_INSE_IS9_EEEESI_jNS0_19identity_decomposerENS1_16block_id_wrapperIjLb0EEEEE10hipError_tT1_PNSt15iterator_traitsISN_E10value_typeET2_T3_PNSO_IST_E10value_typeET4_T5_PSY_SZ_PNS1_23onesweep_lookback_stateEbbT6_jjT7_P12ihipStream_tbENKUlT_T0_SN_SS_E_clIPjSG_PS9_SI_EEDaS16_S17_SN_SS_EUlS16_E_NS1_11comp_targetILNS1_3genE4ELNS1_11target_archE910ELNS1_3gpuE8ELNS1_3repE0EEENS1_47radix_sort_onesweep_sort_config_static_selectorELNS0_4arch9wavefront6targetE0EEEvSN_
	.globl	_ZN7rocprim17ROCPRIM_400000_NS6detail17trampoline_kernelINS0_14default_configENS1_35radix_sort_onesweep_config_selectorIjN6thrust23THRUST_200600_302600_NS5tupleIffNS6_9null_typeES8_S8_S8_S8_S8_S8_S8_EEEEZZNS1_29radix_sort_onesweep_iterationIS3_Lb0ENS6_6detail15normal_iteratorINS6_10device_ptrIjEEEESG_NSD_INSE_IS9_EEEESI_jNS0_19identity_decomposerENS1_16block_id_wrapperIjLb0EEEEE10hipError_tT1_PNSt15iterator_traitsISN_E10value_typeET2_T3_PNSO_IST_E10value_typeET4_T5_PSY_SZ_PNS1_23onesweep_lookback_stateEbbT6_jjT7_P12ihipStream_tbENKUlT_T0_SN_SS_E_clIPjSG_PS9_SI_EEDaS16_S17_SN_SS_EUlS16_E_NS1_11comp_targetILNS1_3genE4ELNS1_11target_archE910ELNS1_3gpuE8ELNS1_3repE0EEENS1_47radix_sort_onesweep_sort_config_static_selectorELNS0_4arch9wavefront6targetE0EEEvSN_
	.p2align	8
	.type	_ZN7rocprim17ROCPRIM_400000_NS6detail17trampoline_kernelINS0_14default_configENS1_35radix_sort_onesweep_config_selectorIjN6thrust23THRUST_200600_302600_NS5tupleIffNS6_9null_typeES8_S8_S8_S8_S8_S8_S8_EEEEZZNS1_29radix_sort_onesweep_iterationIS3_Lb0ENS6_6detail15normal_iteratorINS6_10device_ptrIjEEEESG_NSD_INSE_IS9_EEEESI_jNS0_19identity_decomposerENS1_16block_id_wrapperIjLb0EEEEE10hipError_tT1_PNSt15iterator_traitsISN_E10value_typeET2_T3_PNSO_IST_E10value_typeET4_T5_PSY_SZ_PNS1_23onesweep_lookback_stateEbbT6_jjT7_P12ihipStream_tbENKUlT_T0_SN_SS_E_clIPjSG_PS9_SI_EEDaS16_S17_SN_SS_EUlS16_E_NS1_11comp_targetILNS1_3genE4ELNS1_11target_archE910ELNS1_3gpuE8ELNS1_3repE0EEENS1_47radix_sort_onesweep_sort_config_static_selectorELNS0_4arch9wavefront6targetE0EEEvSN_,@function
_ZN7rocprim17ROCPRIM_400000_NS6detail17trampoline_kernelINS0_14default_configENS1_35radix_sort_onesweep_config_selectorIjN6thrust23THRUST_200600_302600_NS5tupleIffNS6_9null_typeES8_S8_S8_S8_S8_S8_S8_EEEEZZNS1_29radix_sort_onesweep_iterationIS3_Lb0ENS6_6detail15normal_iteratorINS6_10device_ptrIjEEEESG_NSD_INSE_IS9_EEEESI_jNS0_19identity_decomposerENS1_16block_id_wrapperIjLb0EEEEE10hipError_tT1_PNSt15iterator_traitsISN_E10value_typeET2_T3_PNSO_IST_E10value_typeET4_T5_PSY_SZ_PNS1_23onesweep_lookback_stateEbbT6_jjT7_P12ihipStream_tbENKUlT_T0_SN_SS_E_clIPjSG_PS9_SI_EEDaS16_S17_SN_SS_EUlS16_E_NS1_11comp_targetILNS1_3genE4ELNS1_11target_archE910ELNS1_3gpuE8ELNS1_3repE0EEENS1_47radix_sort_onesweep_sort_config_static_selectorELNS0_4arch9wavefront6targetE0EEEvSN_: ; @_ZN7rocprim17ROCPRIM_400000_NS6detail17trampoline_kernelINS0_14default_configENS1_35radix_sort_onesweep_config_selectorIjN6thrust23THRUST_200600_302600_NS5tupleIffNS6_9null_typeES8_S8_S8_S8_S8_S8_S8_EEEEZZNS1_29radix_sort_onesweep_iterationIS3_Lb0ENS6_6detail15normal_iteratorINS6_10device_ptrIjEEEESG_NSD_INSE_IS9_EEEESI_jNS0_19identity_decomposerENS1_16block_id_wrapperIjLb0EEEEE10hipError_tT1_PNSt15iterator_traitsISN_E10value_typeET2_T3_PNSO_IST_E10value_typeET4_T5_PSY_SZ_PNS1_23onesweep_lookback_stateEbbT6_jjT7_P12ihipStream_tbENKUlT_T0_SN_SS_E_clIPjSG_PS9_SI_EEDaS16_S17_SN_SS_EUlS16_E_NS1_11comp_targetILNS1_3genE4ELNS1_11target_archE910ELNS1_3gpuE8ELNS1_3repE0EEENS1_47radix_sort_onesweep_sort_config_static_selectorELNS0_4arch9wavefront6targetE0EEEvSN_
; %bb.0:
	.section	.rodata,"a",@progbits
	.p2align	6, 0x0
	.amdhsa_kernel _ZN7rocprim17ROCPRIM_400000_NS6detail17trampoline_kernelINS0_14default_configENS1_35radix_sort_onesweep_config_selectorIjN6thrust23THRUST_200600_302600_NS5tupleIffNS6_9null_typeES8_S8_S8_S8_S8_S8_S8_EEEEZZNS1_29radix_sort_onesweep_iterationIS3_Lb0ENS6_6detail15normal_iteratorINS6_10device_ptrIjEEEESG_NSD_INSE_IS9_EEEESI_jNS0_19identity_decomposerENS1_16block_id_wrapperIjLb0EEEEE10hipError_tT1_PNSt15iterator_traitsISN_E10value_typeET2_T3_PNSO_IST_E10value_typeET4_T5_PSY_SZ_PNS1_23onesweep_lookback_stateEbbT6_jjT7_P12ihipStream_tbENKUlT_T0_SN_SS_E_clIPjSG_PS9_SI_EEDaS16_S17_SN_SS_EUlS16_E_NS1_11comp_targetILNS1_3genE4ELNS1_11target_archE910ELNS1_3gpuE8ELNS1_3repE0EEENS1_47radix_sort_onesweep_sort_config_static_selectorELNS0_4arch9wavefront6targetE0EEEvSN_
		.amdhsa_group_segment_fixed_size 0
		.amdhsa_private_segment_fixed_size 0
		.amdhsa_kernarg_size 88
		.amdhsa_user_sgpr_count 2
		.amdhsa_user_sgpr_dispatch_ptr 0
		.amdhsa_user_sgpr_queue_ptr 0
		.amdhsa_user_sgpr_kernarg_segment_ptr 1
		.amdhsa_user_sgpr_dispatch_id 0
		.amdhsa_user_sgpr_kernarg_preload_length 0
		.amdhsa_user_sgpr_kernarg_preload_offset 0
		.amdhsa_user_sgpr_private_segment_size 0
		.amdhsa_wavefront_size32 1
		.amdhsa_uses_dynamic_stack 0
		.amdhsa_enable_private_segment 0
		.amdhsa_system_sgpr_workgroup_id_x 1
		.amdhsa_system_sgpr_workgroup_id_y 0
		.amdhsa_system_sgpr_workgroup_id_z 0
		.amdhsa_system_sgpr_workgroup_info 0
		.amdhsa_system_vgpr_workitem_id 0
		.amdhsa_next_free_vgpr 1
		.amdhsa_next_free_sgpr 1
		.amdhsa_named_barrier_count 0
		.amdhsa_reserve_vcc 0
		.amdhsa_float_round_mode_32 0
		.amdhsa_float_round_mode_16_64 0
		.amdhsa_float_denorm_mode_32 3
		.amdhsa_float_denorm_mode_16_64 3
		.amdhsa_fp16_overflow 0
		.amdhsa_memory_ordered 1
		.amdhsa_forward_progress 1
		.amdhsa_inst_pref_size 0
		.amdhsa_round_robin_scheduling 0
		.amdhsa_exception_fp_ieee_invalid_op 0
		.amdhsa_exception_fp_denorm_src 0
		.amdhsa_exception_fp_ieee_div_zero 0
		.amdhsa_exception_fp_ieee_overflow 0
		.amdhsa_exception_fp_ieee_underflow 0
		.amdhsa_exception_fp_ieee_inexact 0
		.amdhsa_exception_int_div_zero 0
	.end_amdhsa_kernel
	.section	.text._ZN7rocprim17ROCPRIM_400000_NS6detail17trampoline_kernelINS0_14default_configENS1_35radix_sort_onesweep_config_selectorIjN6thrust23THRUST_200600_302600_NS5tupleIffNS6_9null_typeES8_S8_S8_S8_S8_S8_S8_EEEEZZNS1_29radix_sort_onesweep_iterationIS3_Lb0ENS6_6detail15normal_iteratorINS6_10device_ptrIjEEEESG_NSD_INSE_IS9_EEEESI_jNS0_19identity_decomposerENS1_16block_id_wrapperIjLb0EEEEE10hipError_tT1_PNSt15iterator_traitsISN_E10value_typeET2_T3_PNSO_IST_E10value_typeET4_T5_PSY_SZ_PNS1_23onesweep_lookback_stateEbbT6_jjT7_P12ihipStream_tbENKUlT_T0_SN_SS_E_clIPjSG_PS9_SI_EEDaS16_S17_SN_SS_EUlS16_E_NS1_11comp_targetILNS1_3genE4ELNS1_11target_archE910ELNS1_3gpuE8ELNS1_3repE0EEENS1_47radix_sort_onesweep_sort_config_static_selectorELNS0_4arch9wavefront6targetE0EEEvSN_,"axG",@progbits,_ZN7rocprim17ROCPRIM_400000_NS6detail17trampoline_kernelINS0_14default_configENS1_35radix_sort_onesweep_config_selectorIjN6thrust23THRUST_200600_302600_NS5tupleIffNS6_9null_typeES8_S8_S8_S8_S8_S8_S8_EEEEZZNS1_29radix_sort_onesweep_iterationIS3_Lb0ENS6_6detail15normal_iteratorINS6_10device_ptrIjEEEESG_NSD_INSE_IS9_EEEESI_jNS0_19identity_decomposerENS1_16block_id_wrapperIjLb0EEEEE10hipError_tT1_PNSt15iterator_traitsISN_E10value_typeET2_T3_PNSO_IST_E10value_typeET4_T5_PSY_SZ_PNS1_23onesweep_lookback_stateEbbT6_jjT7_P12ihipStream_tbENKUlT_T0_SN_SS_E_clIPjSG_PS9_SI_EEDaS16_S17_SN_SS_EUlS16_E_NS1_11comp_targetILNS1_3genE4ELNS1_11target_archE910ELNS1_3gpuE8ELNS1_3repE0EEENS1_47radix_sort_onesweep_sort_config_static_selectorELNS0_4arch9wavefront6targetE0EEEvSN_,comdat
.Lfunc_end224:
	.size	_ZN7rocprim17ROCPRIM_400000_NS6detail17trampoline_kernelINS0_14default_configENS1_35radix_sort_onesweep_config_selectorIjN6thrust23THRUST_200600_302600_NS5tupleIffNS6_9null_typeES8_S8_S8_S8_S8_S8_S8_EEEEZZNS1_29radix_sort_onesweep_iterationIS3_Lb0ENS6_6detail15normal_iteratorINS6_10device_ptrIjEEEESG_NSD_INSE_IS9_EEEESI_jNS0_19identity_decomposerENS1_16block_id_wrapperIjLb0EEEEE10hipError_tT1_PNSt15iterator_traitsISN_E10value_typeET2_T3_PNSO_IST_E10value_typeET4_T5_PSY_SZ_PNS1_23onesweep_lookback_stateEbbT6_jjT7_P12ihipStream_tbENKUlT_T0_SN_SS_E_clIPjSG_PS9_SI_EEDaS16_S17_SN_SS_EUlS16_E_NS1_11comp_targetILNS1_3genE4ELNS1_11target_archE910ELNS1_3gpuE8ELNS1_3repE0EEENS1_47radix_sort_onesweep_sort_config_static_selectorELNS0_4arch9wavefront6targetE0EEEvSN_, .Lfunc_end224-_ZN7rocprim17ROCPRIM_400000_NS6detail17trampoline_kernelINS0_14default_configENS1_35radix_sort_onesweep_config_selectorIjN6thrust23THRUST_200600_302600_NS5tupleIffNS6_9null_typeES8_S8_S8_S8_S8_S8_S8_EEEEZZNS1_29radix_sort_onesweep_iterationIS3_Lb0ENS6_6detail15normal_iteratorINS6_10device_ptrIjEEEESG_NSD_INSE_IS9_EEEESI_jNS0_19identity_decomposerENS1_16block_id_wrapperIjLb0EEEEE10hipError_tT1_PNSt15iterator_traitsISN_E10value_typeET2_T3_PNSO_IST_E10value_typeET4_T5_PSY_SZ_PNS1_23onesweep_lookback_stateEbbT6_jjT7_P12ihipStream_tbENKUlT_T0_SN_SS_E_clIPjSG_PS9_SI_EEDaS16_S17_SN_SS_EUlS16_E_NS1_11comp_targetILNS1_3genE4ELNS1_11target_archE910ELNS1_3gpuE8ELNS1_3repE0EEENS1_47radix_sort_onesweep_sort_config_static_selectorELNS0_4arch9wavefront6targetE0EEEvSN_
                                        ; -- End function
	.set _ZN7rocprim17ROCPRIM_400000_NS6detail17trampoline_kernelINS0_14default_configENS1_35radix_sort_onesweep_config_selectorIjN6thrust23THRUST_200600_302600_NS5tupleIffNS6_9null_typeES8_S8_S8_S8_S8_S8_S8_EEEEZZNS1_29radix_sort_onesweep_iterationIS3_Lb0ENS6_6detail15normal_iteratorINS6_10device_ptrIjEEEESG_NSD_INSE_IS9_EEEESI_jNS0_19identity_decomposerENS1_16block_id_wrapperIjLb0EEEEE10hipError_tT1_PNSt15iterator_traitsISN_E10value_typeET2_T3_PNSO_IST_E10value_typeET4_T5_PSY_SZ_PNS1_23onesweep_lookback_stateEbbT6_jjT7_P12ihipStream_tbENKUlT_T0_SN_SS_E_clIPjSG_PS9_SI_EEDaS16_S17_SN_SS_EUlS16_E_NS1_11comp_targetILNS1_3genE4ELNS1_11target_archE910ELNS1_3gpuE8ELNS1_3repE0EEENS1_47radix_sort_onesweep_sort_config_static_selectorELNS0_4arch9wavefront6targetE0EEEvSN_.num_vgpr, 0
	.set _ZN7rocprim17ROCPRIM_400000_NS6detail17trampoline_kernelINS0_14default_configENS1_35radix_sort_onesweep_config_selectorIjN6thrust23THRUST_200600_302600_NS5tupleIffNS6_9null_typeES8_S8_S8_S8_S8_S8_S8_EEEEZZNS1_29radix_sort_onesweep_iterationIS3_Lb0ENS6_6detail15normal_iteratorINS6_10device_ptrIjEEEESG_NSD_INSE_IS9_EEEESI_jNS0_19identity_decomposerENS1_16block_id_wrapperIjLb0EEEEE10hipError_tT1_PNSt15iterator_traitsISN_E10value_typeET2_T3_PNSO_IST_E10value_typeET4_T5_PSY_SZ_PNS1_23onesweep_lookback_stateEbbT6_jjT7_P12ihipStream_tbENKUlT_T0_SN_SS_E_clIPjSG_PS9_SI_EEDaS16_S17_SN_SS_EUlS16_E_NS1_11comp_targetILNS1_3genE4ELNS1_11target_archE910ELNS1_3gpuE8ELNS1_3repE0EEENS1_47radix_sort_onesweep_sort_config_static_selectorELNS0_4arch9wavefront6targetE0EEEvSN_.num_agpr, 0
	.set _ZN7rocprim17ROCPRIM_400000_NS6detail17trampoline_kernelINS0_14default_configENS1_35radix_sort_onesweep_config_selectorIjN6thrust23THRUST_200600_302600_NS5tupleIffNS6_9null_typeES8_S8_S8_S8_S8_S8_S8_EEEEZZNS1_29radix_sort_onesweep_iterationIS3_Lb0ENS6_6detail15normal_iteratorINS6_10device_ptrIjEEEESG_NSD_INSE_IS9_EEEESI_jNS0_19identity_decomposerENS1_16block_id_wrapperIjLb0EEEEE10hipError_tT1_PNSt15iterator_traitsISN_E10value_typeET2_T3_PNSO_IST_E10value_typeET4_T5_PSY_SZ_PNS1_23onesweep_lookback_stateEbbT6_jjT7_P12ihipStream_tbENKUlT_T0_SN_SS_E_clIPjSG_PS9_SI_EEDaS16_S17_SN_SS_EUlS16_E_NS1_11comp_targetILNS1_3genE4ELNS1_11target_archE910ELNS1_3gpuE8ELNS1_3repE0EEENS1_47radix_sort_onesweep_sort_config_static_selectorELNS0_4arch9wavefront6targetE0EEEvSN_.numbered_sgpr, 0
	.set _ZN7rocprim17ROCPRIM_400000_NS6detail17trampoline_kernelINS0_14default_configENS1_35radix_sort_onesweep_config_selectorIjN6thrust23THRUST_200600_302600_NS5tupleIffNS6_9null_typeES8_S8_S8_S8_S8_S8_S8_EEEEZZNS1_29radix_sort_onesweep_iterationIS3_Lb0ENS6_6detail15normal_iteratorINS6_10device_ptrIjEEEESG_NSD_INSE_IS9_EEEESI_jNS0_19identity_decomposerENS1_16block_id_wrapperIjLb0EEEEE10hipError_tT1_PNSt15iterator_traitsISN_E10value_typeET2_T3_PNSO_IST_E10value_typeET4_T5_PSY_SZ_PNS1_23onesweep_lookback_stateEbbT6_jjT7_P12ihipStream_tbENKUlT_T0_SN_SS_E_clIPjSG_PS9_SI_EEDaS16_S17_SN_SS_EUlS16_E_NS1_11comp_targetILNS1_3genE4ELNS1_11target_archE910ELNS1_3gpuE8ELNS1_3repE0EEENS1_47radix_sort_onesweep_sort_config_static_selectorELNS0_4arch9wavefront6targetE0EEEvSN_.num_named_barrier, 0
	.set _ZN7rocprim17ROCPRIM_400000_NS6detail17trampoline_kernelINS0_14default_configENS1_35radix_sort_onesweep_config_selectorIjN6thrust23THRUST_200600_302600_NS5tupleIffNS6_9null_typeES8_S8_S8_S8_S8_S8_S8_EEEEZZNS1_29radix_sort_onesweep_iterationIS3_Lb0ENS6_6detail15normal_iteratorINS6_10device_ptrIjEEEESG_NSD_INSE_IS9_EEEESI_jNS0_19identity_decomposerENS1_16block_id_wrapperIjLb0EEEEE10hipError_tT1_PNSt15iterator_traitsISN_E10value_typeET2_T3_PNSO_IST_E10value_typeET4_T5_PSY_SZ_PNS1_23onesweep_lookback_stateEbbT6_jjT7_P12ihipStream_tbENKUlT_T0_SN_SS_E_clIPjSG_PS9_SI_EEDaS16_S17_SN_SS_EUlS16_E_NS1_11comp_targetILNS1_3genE4ELNS1_11target_archE910ELNS1_3gpuE8ELNS1_3repE0EEENS1_47radix_sort_onesweep_sort_config_static_selectorELNS0_4arch9wavefront6targetE0EEEvSN_.private_seg_size, 0
	.set _ZN7rocprim17ROCPRIM_400000_NS6detail17trampoline_kernelINS0_14default_configENS1_35radix_sort_onesweep_config_selectorIjN6thrust23THRUST_200600_302600_NS5tupleIffNS6_9null_typeES8_S8_S8_S8_S8_S8_S8_EEEEZZNS1_29radix_sort_onesweep_iterationIS3_Lb0ENS6_6detail15normal_iteratorINS6_10device_ptrIjEEEESG_NSD_INSE_IS9_EEEESI_jNS0_19identity_decomposerENS1_16block_id_wrapperIjLb0EEEEE10hipError_tT1_PNSt15iterator_traitsISN_E10value_typeET2_T3_PNSO_IST_E10value_typeET4_T5_PSY_SZ_PNS1_23onesweep_lookback_stateEbbT6_jjT7_P12ihipStream_tbENKUlT_T0_SN_SS_E_clIPjSG_PS9_SI_EEDaS16_S17_SN_SS_EUlS16_E_NS1_11comp_targetILNS1_3genE4ELNS1_11target_archE910ELNS1_3gpuE8ELNS1_3repE0EEENS1_47radix_sort_onesweep_sort_config_static_selectorELNS0_4arch9wavefront6targetE0EEEvSN_.uses_vcc, 0
	.set _ZN7rocprim17ROCPRIM_400000_NS6detail17trampoline_kernelINS0_14default_configENS1_35radix_sort_onesweep_config_selectorIjN6thrust23THRUST_200600_302600_NS5tupleIffNS6_9null_typeES8_S8_S8_S8_S8_S8_S8_EEEEZZNS1_29radix_sort_onesweep_iterationIS3_Lb0ENS6_6detail15normal_iteratorINS6_10device_ptrIjEEEESG_NSD_INSE_IS9_EEEESI_jNS0_19identity_decomposerENS1_16block_id_wrapperIjLb0EEEEE10hipError_tT1_PNSt15iterator_traitsISN_E10value_typeET2_T3_PNSO_IST_E10value_typeET4_T5_PSY_SZ_PNS1_23onesweep_lookback_stateEbbT6_jjT7_P12ihipStream_tbENKUlT_T0_SN_SS_E_clIPjSG_PS9_SI_EEDaS16_S17_SN_SS_EUlS16_E_NS1_11comp_targetILNS1_3genE4ELNS1_11target_archE910ELNS1_3gpuE8ELNS1_3repE0EEENS1_47radix_sort_onesweep_sort_config_static_selectorELNS0_4arch9wavefront6targetE0EEEvSN_.uses_flat_scratch, 0
	.set _ZN7rocprim17ROCPRIM_400000_NS6detail17trampoline_kernelINS0_14default_configENS1_35radix_sort_onesweep_config_selectorIjN6thrust23THRUST_200600_302600_NS5tupleIffNS6_9null_typeES8_S8_S8_S8_S8_S8_S8_EEEEZZNS1_29radix_sort_onesweep_iterationIS3_Lb0ENS6_6detail15normal_iteratorINS6_10device_ptrIjEEEESG_NSD_INSE_IS9_EEEESI_jNS0_19identity_decomposerENS1_16block_id_wrapperIjLb0EEEEE10hipError_tT1_PNSt15iterator_traitsISN_E10value_typeET2_T3_PNSO_IST_E10value_typeET4_T5_PSY_SZ_PNS1_23onesweep_lookback_stateEbbT6_jjT7_P12ihipStream_tbENKUlT_T0_SN_SS_E_clIPjSG_PS9_SI_EEDaS16_S17_SN_SS_EUlS16_E_NS1_11comp_targetILNS1_3genE4ELNS1_11target_archE910ELNS1_3gpuE8ELNS1_3repE0EEENS1_47radix_sort_onesweep_sort_config_static_selectorELNS0_4arch9wavefront6targetE0EEEvSN_.has_dyn_sized_stack, 0
	.set _ZN7rocprim17ROCPRIM_400000_NS6detail17trampoline_kernelINS0_14default_configENS1_35radix_sort_onesweep_config_selectorIjN6thrust23THRUST_200600_302600_NS5tupleIffNS6_9null_typeES8_S8_S8_S8_S8_S8_S8_EEEEZZNS1_29radix_sort_onesweep_iterationIS3_Lb0ENS6_6detail15normal_iteratorINS6_10device_ptrIjEEEESG_NSD_INSE_IS9_EEEESI_jNS0_19identity_decomposerENS1_16block_id_wrapperIjLb0EEEEE10hipError_tT1_PNSt15iterator_traitsISN_E10value_typeET2_T3_PNSO_IST_E10value_typeET4_T5_PSY_SZ_PNS1_23onesweep_lookback_stateEbbT6_jjT7_P12ihipStream_tbENKUlT_T0_SN_SS_E_clIPjSG_PS9_SI_EEDaS16_S17_SN_SS_EUlS16_E_NS1_11comp_targetILNS1_3genE4ELNS1_11target_archE910ELNS1_3gpuE8ELNS1_3repE0EEENS1_47radix_sort_onesweep_sort_config_static_selectorELNS0_4arch9wavefront6targetE0EEEvSN_.has_recursion, 0
	.set _ZN7rocprim17ROCPRIM_400000_NS6detail17trampoline_kernelINS0_14default_configENS1_35radix_sort_onesweep_config_selectorIjN6thrust23THRUST_200600_302600_NS5tupleIffNS6_9null_typeES8_S8_S8_S8_S8_S8_S8_EEEEZZNS1_29radix_sort_onesweep_iterationIS3_Lb0ENS6_6detail15normal_iteratorINS6_10device_ptrIjEEEESG_NSD_INSE_IS9_EEEESI_jNS0_19identity_decomposerENS1_16block_id_wrapperIjLb0EEEEE10hipError_tT1_PNSt15iterator_traitsISN_E10value_typeET2_T3_PNSO_IST_E10value_typeET4_T5_PSY_SZ_PNS1_23onesweep_lookback_stateEbbT6_jjT7_P12ihipStream_tbENKUlT_T0_SN_SS_E_clIPjSG_PS9_SI_EEDaS16_S17_SN_SS_EUlS16_E_NS1_11comp_targetILNS1_3genE4ELNS1_11target_archE910ELNS1_3gpuE8ELNS1_3repE0EEENS1_47radix_sort_onesweep_sort_config_static_selectorELNS0_4arch9wavefront6targetE0EEEvSN_.has_indirect_call, 0
	.section	.AMDGPU.csdata,"",@progbits
; Kernel info:
; codeLenInByte = 0
; TotalNumSgprs: 0
; NumVgprs: 0
; ScratchSize: 0
; MemoryBound: 0
; FloatMode: 240
; IeeeMode: 1
; LDSByteSize: 0 bytes/workgroup (compile time only)
; SGPRBlocks: 0
; VGPRBlocks: 0
; NumSGPRsForWavesPerEU: 1
; NumVGPRsForWavesPerEU: 1
; NamedBarCnt: 0
; Occupancy: 16
; WaveLimiterHint : 0
; COMPUTE_PGM_RSRC2:SCRATCH_EN: 0
; COMPUTE_PGM_RSRC2:USER_SGPR: 2
; COMPUTE_PGM_RSRC2:TRAP_HANDLER: 0
; COMPUTE_PGM_RSRC2:TGID_X_EN: 1
; COMPUTE_PGM_RSRC2:TGID_Y_EN: 0
; COMPUTE_PGM_RSRC2:TGID_Z_EN: 0
; COMPUTE_PGM_RSRC2:TIDIG_COMP_CNT: 0
	.section	.text._ZN7rocprim17ROCPRIM_400000_NS6detail17trampoline_kernelINS0_14default_configENS1_35radix_sort_onesweep_config_selectorIjN6thrust23THRUST_200600_302600_NS5tupleIffNS6_9null_typeES8_S8_S8_S8_S8_S8_S8_EEEEZZNS1_29radix_sort_onesweep_iterationIS3_Lb0ENS6_6detail15normal_iteratorINS6_10device_ptrIjEEEESG_NSD_INSE_IS9_EEEESI_jNS0_19identity_decomposerENS1_16block_id_wrapperIjLb0EEEEE10hipError_tT1_PNSt15iterator_traitsISN_E10value_typeET2_T3_PNSO_IST_E10value_typeET4_T5_PSY_SZ_PNS1_23onesweep_lookback_stateEbbT6_jjT7_P12ihipStream_tbENKUlT_T0_SN_SS_E_clIPjSG_PS9_SI_EEDaS16_S17_SN_SS_EUlS16_E_NS1_11comp_targetILNS1_3genE3ELNS1_11target_archE908ELNS1_3gpuE7ELNS1_3repE0EEENS1_47radix_sort_onesweep_sort_config_static_selectorELNS0_4arch9wavefront6targetE0EEEvSN_,"axG",@progbits,_ZN7rocprim17ROCPRIM_400000_NS6detail17trampoline_kernelINS0_14default_configENS1_35radix_sort_onesweep_config_selectorIjN6thrust23THRUST_200600_302600_NS5tupleIffNS6_9null_typeES8_S8_S8_S8_S8_S8_S8_EEEEZZNS1_29radix_sort_onesweep_iterationIS3_Lb0ENS6_6detail15normal_iteratorINS6_10device_ptrIjEEEESG_NSD_INSE_IS9_EEEESI_jNS0_19identity_decomposerENS1_16block_id_wrapperIjLb0EEEEE10hipError_tT1_PNSt15iterator_traitsISN_E10value_typeET2_T3_PNSO_IST_E10value_typeET4_T5_PSY_SZ_PNS1_23onesweep_lookback_stateEbbT6_jjT7_P12ihipStream_tbENKUlT_T0_SN_SS_E_clIPjSG_PS9_SI_EEDaS16_S17_SN_SS_EUlS16_E_NS1_11comp_targetILNS1_3genE3ELNS1_11target_archE908ELNS1_3gpuE7ELNS1_3repE0EEENS1_47radix_sort_onesweep_sort_config_static_selectorELNS0_4arch9wavefront6targetE0EEEvSN_,comdat
	.protected	_ZN7rocprim17ROCPRIM_400000_NS6detail17trampoline_kernelINS0_14default_configENS1_35radix_sort_onesweep_config_selectorIjN6thrust23THRUST_200600_302600_NS5tupleIffNS6_9null_typeES8_S8_S8_S8_S8_S8_S8_EEEEZZNS1_29radix_sort_onesweep_iterationIS3_Lb0ENS6_6detail15normal_iteratorINS6_10device_ptrIjEEEESG_NSD_INSE_IS9_EEEESI_jNS0_19identity_decomposerENS1_16block_id_wrapperIjLb0EEEEE10hipError_tT1_PNSt15iterator_traitsISN_E10value_typeET2_T3_PNSO_IST_E10value_typeET4_T5_PSY_SZ_PNS1_23onesweep_lookback_stateEbbT6_jjT7_P12ihipStream_tbENKUlT_T0_SN_SS_E_clIPjSG_PS9_SI_EEDaS16_S17_SN_SS_EUlS16_E_NS1_11comp_targetILNS1_3genE3ELNS1_11target_archE908ELNS1_3gpuE7ELNS1_3repE0EEENS1_47radix_sort_onesweep_sort_config_static_selectorELNS0_4arch9wavefront6targetE0EEEvSN_ ; -- Begin function _ZN7rocprim17ROCPRIM_400000_NS6detail17trampoline_kernelINS0_14default_configENS1_35radix_sort_onesweep_config_selectorIjN6thrust23THRUST_200600_302600_NS5tupleIffNS6_9null_typeES8_S8_S8_S8_S8_S8_S8_EEEEZZNS1_29radix_sort_onesweep_iterationIS3_Lb0ENS6_6detail15normal_iteratorINS6_10device_ptrIjEEEESG_NSD_INSE_IS9_EEEESI_jNS0_19identity_decomposerENS1_16block_id_wrapperIjLb0EEEEE10hipError_tT1_PNSt15iterator_traitsISN_E10value_typeET2_T3_PNSO_IST_E10value_typeET4_T5_PSY_SZ_PNS1_23onesweep_lookback_stateEbbT6_jjT7_P12ihipStream_tbENKUlT_T0_SN_SS_E_clIPjSG_PS9_SI_EEDaS16_S17_SN_SS_EUlS16_E_NS1_11comp_targetILNS1_3genE3ELNS1_11target_archE908ELNS1_3gpuE7ELNS1_3repE0EEENS1_47radix_sort_onesweep_sort_config_static_selectorELNS0_4arch9wavefront6targetE0EEEvSN_
	.globl	_ZN7rocprim17ROCPRIM_400000_NS6detail17trampoline_kernelINS0_14default_configENS1_35radix_sort_onesweep_config_selectorIjN6thrust23THRUST_200600_302600_NS5tupleIffNS6_9null_typeES8_S8_S8_S8_S8_S8_S8_EEEEZZNS1_29radix_sort_onesweep_iterationIS3_Lb0ENS6_6detail15normal_iteratorINS6_10device_ptrIjEEEESG_NSD_INSE_IS9_EEEESI_jNS0_19identity_decomposerENS1_16block_id_wrapperIjLb0EEEEE10hipError_tT1_PNSt15iterator_traitsISN_E10value_typeET2_T3_PNSO_IST_E10value_typeET4_T5_PSY_SZ_PNS1_23onesweep_lookback_stateEbbT6_jjT7_P12ihipStream_tbENKUlT_T0_SN_SS_E_clIPjSG_PS9_SI_EEDaS16_S17_SN_SS_EUlS16_E_NS1_11comp_targetILNS1_3genE3ELNS1_11target_archE908ELNS1_3gpuE7ELNS1_3repE0EEENS1_47radix_sort_onesweep_sort_config_static_selectorELNS0_4arch9wavefront6targetE0EEEvSN_
	.p2align	8
	.type	_ZN7rocprim17ROCPRIM_400000_NS6detail17trampoline_kernelINS0_14default_configENS1_35radix_sort_onesweep_config_selectorIjN6thrust23THRUST_200600_302600_NS5tupleIffNS6_9null_typeES8_S8_S8_S8_S8_S8_S8_EEEEZZNS1_29radix_sort_onesweep_iterationIS3_Lb0ENS6_6detail15normal_iteratorINS6_10device_ptrIjEEEESG_NSD_INSE_IS9_EEEESI_jNS0_19identity_decomposerENS1_16block_id_wrapperIjLb0EEEEE10hipError_tT1_PNSt15iterator_traitsISN_E10value_typeET2_T3_PNSO_IST_E10value_typeET4_T5_PSY_SZ_PNS1_23onesweep_lookback_stateEbbT6_jjT7_P12ihipStream_tbENKUlT_T0_SN_SS_E_clIPjSG_PS9_SI_EEDaS16_S17_SN_SS_EUlS16_E_NS1_11comp_targetILNS1_3genE3ELNS1_11target_archE908ELNS1_3gpuE7ELNS1_3repE0EEENS1_47radix_sort_onesweep_sort_config_static_selectorELNS0_4arch9wavefront6targetE0EEEvSN_,@function
_ZN7rocprim17ROCPRIM_400000_NS6detail17trampoline_kernelINS0_14default_configENS1_35radix_sort_onesweep_config_selectorIjN6thrust23THRUST_200600_302600_NS5tupleIffNS6_9null_typeES8_S8_S8_S8_S8_S8_S8_EEEEZZNS1_29radix_sort_onesweep_iterationIS3_Lb0ENS6_6detail15normal_iteratorINS6_10device_ptrIjEEEESG_NSD_INSE_IS9_EEEESI_jNS0_19identity_decomposerENS1_16block_id_wrapperIjLb0EEEEE10hipError_tT1_PNSt15iterator_traitsISN_E10value_typeET2_T3_PNSO_IST_E10value_typeET4_T5_PSY_SZ_PNS1_23onesweep_lookback_stateEbbT6_jjT7_P12ihipStream_tbENKUlT_T0_SN_SS_E_clIPjSG_PS9_SI_EEDaS16_S17_SN_SS_EUlS16_E_NS1_11comp_targetILNS1_3genE3ELNS1_11target_archE908ELNS1_3gpuE7ELNS1_3repE0EEENS1_47radix_sort_onesweep_sort_config_static_selectorELNS0_4arch9wavefront6targetE0EEEvSN_: ; @_ZN7rocprim17ROCPRIM_400000_NS6detail17trampoline_kernelINS0_14default_configENS1_35radix_sort_onesweep_config_selectorIjN6thrust23THRUST_200600_302600_NS5tupleIffNS6_9null_typeES8_S8_S8_S8_S8_S8_S8_EEEEZZNS1_29radix_sort_onesweep_iterationIS3_Lb0ENS6_6detail15normal_iteratorINS6_10device_ptrIjEEEESG_NSD_INSE_IS9_EEEESI_jNS0_19identity_decomposerENS1_16block_id_wrapperIjLb0EEEEE10hipError_tT1_PNSt15iterator_traitsISN_E10value_typeET2_T3_PNSO_IST_E10value_typeET4_T5_PSY_SZ_PNS1_23onesweep_lookback_stateEbbT6_jjT7_P12ihipStream_tbENKUlT_T0_SN_SS_E_clIPjSG_PS9_SI_EEDaS16_S17_SN_SS_EUlS16_E_NS1_11comp_targetILNS1_3genE3ELNS1_11target_archE908ELNS1_3gpuE7ELNS1_3repE0EEENS1_47radix_sort_onesweep_sort_config_static_selectorELNS0_4arch9wavefront6targetE0EEEvSN_
; %bb.0:
	.section	.rodata,"a",@progbits
	.p2align	6, 0x0
	.amdhsa_kernel _ZN7rocprim17ROCPRIM_400000_NS6detail17trampoline_kernelINS0_14default_configENS1_35radix_sort_onesweep_config_selectorIjN6thrust23THRUST_200600_302600_NS5tupleIffNS6_9null_typeES8_S8_S8_S8_S8_S8_S8_EEEEZZNS1_29radix_sort_onesweep_iterationIS3_Lb0ENS6_6detail15normal_iteratorINS6_10device_ptrIjEEEESG_NSD_INSE_IS9_EEEESI_jNS0_19identity_decomposerENS1_16block_id_wrapperIjLb0EEEEE10hipError_tT1_PNSt15iterator_traitsISN_E10value_typeET2_T3_PNSO_IST_E10value_typeET4_T5_PSY_SZ_PNS1_23onesweep_lookback_stateEbbT6_jjT7_P12ihipStream_tbENKUlT_T0_SN_SS_E_clIPjSG_PS9_SI_EEDaS16_S17_SN_SS_EUlS16_E_NS1_11comp_targetILNS1_3genE3ELNS1_11target_archE908ELNS1_3gpuE7ELNS1_3repE0EEENS1_47radix_sort_onesweep_sort_config_static_selectorELNS0_4arch9wavefront6targetE0EEEvSN_
		.amdhsa_group_segment_fixed_size 0
		.amdhsa_private_segment_fixed_size 0
		.amdhsa_kernarg_size 88
		.amdhsa_user_sgpr_count 2
		.amdhsa_user_sgpr_dispatch_ptr 0
		.amdhsa_user_sgpr_queue_ptr 0
		.amdhsa_user_sgpr_kernarg_segment_ptr 1
		.amdhsa_user_sgpr_dispatch_id 0
		.amdhsa_user_sgpr_kernarg_preload_length 0
		.amdhsa_user_sgpr_kernarg_preload_offset 0
		.amdhsa_user_sgpr_private_segment_size 0
		.amdhsa_wavefront_size32 1
		.amdhsa_uses_dynamic_stack 0
		.amdhsa_enable_private_segment 0
		.amdhsa_system_sgpr_workgroup_id_x 1
		.amdhsa_system_sgpr_workgroup_id_y 0
		.amdhsa_system_sgpr_workgroup_id_z 0
		.amdhsa_system_sgpr_workgroup_info 0
		.amdhsa_system_vgpr_workitem_id 0
		.amdhsa_next_free_vgpr 1
		.amdhsa_next_free_sgpr 1
		.amdhsa_named_barrier_count 0
		.amdhsa_reserve_vcc 0
		.amdhsa_float_round_mode_32 0
		.amdhsa_float_round_mode_16_64 0
		.amdhsa_float_denorm_mode_32 3
		.amdhsa_float_denorm_mode_16_64 3
		.amdhsa_fp16_overflow 0
		.amdhsa_memory_ordered 1
		.amdhsa_forward_progress 1
		.amdhsa_inst_pref_size 0
		.amdhsa_round_robin_scheduling 0
		.amdhsa_exception_fp_ieee_invalid_op 0
		.amdhsa_exception_fp_denorm_src 0
		.amdhsa_exception_fp_ieee_div_zero 0
		.amdhsa_exception_fp_ieee_overflow 0
		.amdhsa_exception_fp_ieee_underflow 0
		.amdhsa_exception_fp_ieee_inexact 0
		.amdhsa_exception_int_div_zero 0
	.end_amdhsa_kernel
	.section	.text._ZN7rocprim17ROCPRIM_400000_NS6detail17trampoline_kernelINS0_14default_configENS1_35radix_sort_onesweep_config_selectorIjN6thrust23THRUST_200600_302600_NS5tupleIffNS6_9null_typeES8_S8_S8_S8_S8_S8_S8_EEEEZZNS1_29radix_sort_onesweep_iterationIS3_Lb0ENS6_6detail15normal_iteratorINS6_10device_ptrIjEEEESG_NSD_INSE_IS9_EEEESI_jNS0_19identity_decomposerENS1_16block_id_wrapperIjLb0EEEEE10hipError_tT1_PNSt15iterator_traitsISN_E10value_typeET2_T3_PNSO_IST_E10value_typeET4_T5_PSY_SZ_PNS1_23onesweep_lookback_stateEbbT6_jjT7_P12ihipStream_tbENKUlT_T0_SN_SS_E_clIPjSG_PS9_SI_EEDaS16_S17_SN_SS_EUlS16_E_NS1_11comp_targetILNS1_3genE3ELNS1_11target_archE908ELNS1_3gpuE7ELNS1_3repE0EEENS1_47radix_sort_onesweep_sort_config_static_selectorELNS0_4arch9wavefront6targetE0EEEvSN_,"axG",@progbits,_ZN7rocprim17ROCPRIM_400000_NS6detail17trampoline_kernelINS0_14default_configENS1_35radix_sort_onesweep_config_selectorIjN6thrust23THRUST_200600_302600_NS5tupleIffNS6_9null_typeES8_S8_S8_S8_S8_S8_S8_EEEEZZNS1_29radix_sort_onesweep_iterationIS3_Lb0ENS6_6detail15normal_iteratorINS6_10device_ptrIjEEEESG_NSD_INSE_IS9_EEEESI_jNS0_19identity_decomposerENS1_16block_id_wrapperIjLb0EEEEE10hipError_tT1_PNSt15iterator_traitsISN_E10value_typeET2_T3_PNSO_IST_E10value_typeET4_T5_PSY_SZ_PNS1_23onesweep_lookback_stateEbbT6_jjT7_P12ihipStream_tbENKUlT_T0_SN_SS_E_clIPjSG_PS9_SI_EEDaS16_S17_SN_SS_EUlS16_E_NS1_11comp_targetILNS1_3genE3ELNS1_11target_archE908ELNS1_3gpuE7ELNS1_3repE0EEENS1_47radix_sort_onesweep_sort_config_static_selectorELNS0_4arch9wavefront6targetE0EEEvSN_,comdat
.Lfunc_end225:
	.size	_ZN7rocprim17ROCPRIM_400000_NS6detail17trampoline_kernelINS0_14default_configENS1_35radix_sort_onesweep_config_selectorIjN6thrust23THRUST_200600_302600_NS5tupleIffNS6_9null_typeES8_S8_S8_S8_S8_S8_S8_EEEEZZNS1_29radix_sort_onesweep_iterationIS3_Lb0ENS6_6detail15normal_iteratorINS6_10device_ptrIjEEEESG_NSD_INSE_IS9_EEEESI_jNS0_19identity_decomposerENS1_16block_id_wrapperIjLb0EEEEE10hipError_tT1_PNSt15iterator_traitsISN_E10value_typeET2_T3_PNSO_IST_E10value_typeET4_T5_PSY_SZ_PNS1_23onesweep_lookback_stateEbbT6_jjT7_P12ihipStream_tbENKUlT_T0_SN_SS_E_clIPjSG_PS9_SI_EEDaS16_S17_SN_SS_EUlS16_E_NS1_11comp_targetILNS1_3genE3ELNS1_11target_archE908ELNS1_3gpuE7ELNS1_3repE0EEENS1_47radix_sort_onesweep_sort_config_static_selectorELNS0_4arch9wavefront6targetE0EEEvSN_, .Lfunc_end225-_ZN7rocprim17ROCPRIM_400000_NS6detail17trampoline_kernelINS0_14default_configENS1_35radix_sort_onesweep_config_selectorIjN6thrust23THRUST_200600_302600_NS5tupleIffNS6_9null_typeES8_S8_S8_S8_S8_S8_S8_EEEEZZNS1_29radix_sort_onesweep_iterationIS3_Lb0ENS6_6detail15normal_iteratorINS6_10device_ptrIjEEEESG_NSD_INSE_IS9_EEEESI_jNS0_19identity_decomposerENS1_16block_id_wrapperIjLb0EEEEE10hipError_tT1_PNSt15iterator_traitsISN_E10value_typeET2_T3_PNSO_IST_E10value_typeET4_T5_PSY_SZ_PNS1_23onesweep_lookback_stateEbbT6_jjT7_P12ihipStream_tbENKUlT_T0_SN_SS_E_clIPjSG_PS9_SI_EEDaS16_S17_SN_SS_EUlS16_E_NS1_11comp_targetILNS1_3genE3ELNS1_11target_archE908ELNS1_3gpuE7ELNS1_3repE0EEENS1_47radix_sort_onesweep_sort_config_static_selectorELNS0_4arch9wavefront6targetE0EEEvSN_
                                        ; -- End function
	.set _ZN7rocprim17ROCPRIM_400000_NS6detail17trampoline_kernelINS0_14default_configENS1_35radix_sort_onesweep_config_selectorIjN6thrust23THRUST_200600_302600_NS5tupleIffNS6_9null_typeES8_S8_S8_S8_S8_S8_S8_EEEEZZNS1_29radix_sort_onesweep_iterationIS3_Lb0ENS6_6detail15normal_iteratorINS6_10device_ptrIjEEEESG_NSD_INSE_IS9_EEEESI_jNS0_19identity_decomposerENS1_16block_id_wrapperIjLb0EEEEE10hipError_tT1_PNSt15iterator_traitsISN_E10value_typeET2_T3_PNSO_IST_E10value_typeET4_T5_PSY_SZ_PNS1_23onesweep_lookback_stateEbbT6_jjT7_P12ihipStream_tbENKUlT_T0_SN_SS_E_clIPjSG_PS9_SI_EEDaS16_S17_SN_SS_EUlS16_E_NS1_11comp_targetILNS1_3genE3ELNS1_11target_archE908ELNS1_3gpuE7ELNS1_3repE0EEENS1_47radix_sort_onesweep_sort_config_static_selectorELNS0_4arch9wavefront6targetE0EEEvSN_.num_vgpr, 0
	.set _ZN7rocprim17ROCPRIM_400000_NS6detail17trampoline_kernelINS0_14default_configENS1_35radix_sort_onesweep_config_selectorIjN6thrust23THRUST_200600_302600_NS5tupleIffNS6_9null_typeES8_S8_S8_S8_S8_S8_S8_EEEEZZNS1_29radix_sort_onesweep_iterationIS3_Lb0ENS6_6detail15normal_iteratorINS6_10device_ptrIjEEEESG_NSD_INSE_IS9_EEEESI_jNS0_19identity_decomposerENS1_16block_id_wrapperIjLb0EEEEE10hipError_tT1_PNSt15iterator_traitsISN_E10value_typeET2_T3_PNSO_IST_E10value_typeET4_T5_PSY_SZ_PNS1_23onesweep_lookback_stateEbbT6_jjT7_P12ihipStream_tbENKUlT_T0_SN_SS_E_clIPjSG_PS9_SI_EEDaS16_S17_SN_SS_EUlS16_E_NS1_11comp_targetILNS1_3genE3ELNS1_11target_archE908ELNS1_3gpuE7ELNS1_3repE0EEENS1_47radix_sort_onesweep_sort_config_static_selectorELNS0_4arch9wavefront6targetE0EEEvSN_.num_agpr, 0
	.set _ZN7rocprim17ROCPRIM_400000_NS6detail17trampoline_kernelINS0_14default_configENS1_35radix_sort_onesweep_config_selectorIjN6thrust23THRUST_200600_302600_NS5tupleIffNS6_9null_typeES8_S8_S8_S8_S8_S8_S8_EEEEZZNS1_29radix_sort_onesweep_iterationIS3_Lb0ENS6_6detail15normal_iteratorINS6_10device_ptrIjEEEESG_NSD_INSE_IS9_EEEESI_jNS0_19identity_decomposerENS1_16block_id_wrapperIjLb0EEEEE10hipError_tT1_PNSt15iterator_traitsISN_E10value_typeET2_T3_PNSO_IST_E10value_typeET4_T5_PSY_SZ_PNS1_23onesweep_lookback_stateEbbT6_jjT7_P12ihipStream_tbENKUlT_T0_SN_SS_E_clIPjSG_PS9_SI_EEDaS16_S17_SN_SS_EUlS16_E_NS1_11comp_targetILNS1_3genE3ELNS1_11target_archE908ELNS1_3gpuE7ELNS1_3repE0EEENS1_47radix_sort_onesweep_sort_config_static_selectorELNS0_4arch9wavefront6targetE0EEEvSN_.numbered_sgpr, 0
	.set _ZN7rocprim17ROCPRIM_400000_NS6detail17trampoline_kernelINS0_14default_configENS1_35radix_sort_onesweep_config_selectorIjN6thrust23THRUST_200600_302600_NS5tupleIffNS6_9null_typeES8_S8_S8_S8_S8_S8_S8_EEEEZZNS1_29radix_sort_onesweep_iterationIS3_Lb0ENS6_6detail15normal_iteratorINS6_10device_ptrIjEEEESG_NSD_INSE_IS9_EEEESI_jNS0_19identity_decomposerENS1_16block_id_wrapperIjLb0EEEEE10hipError_tT1_PNSt15iterator_traitsISN_E10value_typeET2_T3_PNSO_IST_E10value_typeET4_T5_PSY_SZ_PNS1_23onesweep_lookback_stateEbbT6_jjT7_P12ihipStream_tbENKUlT_T0_SN_SS_E_clIPjSG_PS9_SI_EEDaS16_S17_SN_SS_EUlS16_E_NS1_11comp_targetILNS1_3genE3ELNS1_11target_archE908ELNS1_3gpuE7ELNS1_3repE0EEENS1_47radix_sort_onesweep_sort_config_static_selectorELNS0_4arch9wavefront6targetE0EEEvSN_.num_named_barrier, 0
	.set _ZN7rocprim17ROCPRIM_400000_NS6detail17trampoline_kernelINS0_14default_configENS1_35radix_sort_onesweep_config_selectorIjN6thrust23THRUST_200600_302600_NS5tupleIffNS6_9null_typeES8_S8_S8_S8_S8_S8_S8_EEEEZZNS1_29radix_sort_onesweep_iterationIS3_Lb0ENS6_6detail15normal_iteratorINS6_10device_ptrIjEEEESG_NSD_INSE_IS9_EEEESI_jNS0_19identity_decomposerENS1_16block_id_wrapperIjLb0EEEEE10hipError_tT1_PNSt15iterator_traitsISN_E10value_typeET2_T3_PNSO_IST_E10value_typeET4_T5_PSY_SZ_PNS1_23onesweep_lookback_stateEbbT6_jjT7_P12ihipStream_tbENKUlT_T0_SN_SS_E_clIPjSG_PS9_SI_EEDaS16_S17_SN_SS_EUlS16_E_NS1_11comp_targetILNS1_3genE3ELNS1_11target_archE908ELNS1_3gpuE7ELNS1_3repE0EEENS1_47radix_sort_onesweep_sort_config_static_selectorELNS0_4arch9wavefront6targetE0EEEvSN_.private_seg_size, 0
	.set _ZN7rocprim17ROCPRIM_400000_NS6detail17trampoline_kernelINS0_14default_configENS1_35radix_sort_onesweep_config_selectorIjN6thrust23THRUST_200600_302600_NS5tupleIffNS6_9null_typeES8_S8_S8_S8_S8_S8_S8_EEEEZZNS1_29radix_sort_onesweep_iterationIS3_Lb0ENS6_6detail15normal_iteratorINS6_10device_ptrIjEEEESG_NSD_INSE_IS9_EEEESI_jNS0_19identity_decomposerENS1_16block_id_wrapperIjLb0EEEEE10hipError_tT1_PNSt15iterator_traitsISN_E10value_typeET2_T3_PNSO_IST_E10value_typeET4_T5_PSY_SZ_PNS1_23onesweep_lookback_stateEbbT6_jjT7_P12ihipStream_tbENKUlT_T0_SN_SS_E_clIPjSG_PS9_SI_EEDaS16_S17_SN_SS_EUlS16_E_NS1_11comp_targetILNS1_3genE3ELNS1_11target_archE908ELNS1_3gpuE7ELNS1_3repE0EEENS1_47radix_sort_onesweep_sort_config_static_selectorELNS0_4arch9wavefront6targetE0EEEvSN_.uses_vcc, 0
	.set _ZN7rocprim17ROCPRIM_400000_NS6detail17trampoline_kernelINS0_14default_configENS1_35radix_sort_onesweep_config_selectorIjN6thrust23THRUST_200600_302600_NS5tupleIffNS6_9null_typeES8_S8_S8_S8_S8_S8_S8_EEEEZZNS1_29radix_sort_onesweep_iterationIS3_Lb0ENS6_6detail15normal_iteratorINS6_10device_ptrIjEEEESG_NSD_INSE_IS9_EEEESI_jNS0_19identity_decomposerENS1_16block_id_wrapperIjLb0EEEEE10hipError_tT1_PNSt15iterator_traitsISN_E10value_typeET2_T3_PNSO_IST_E10value_typeET4_T5_PSY_SZ_PNS1_23onesweep_lookback_stateEbbT6_jjT7_P12ihipStream_tbENKUlT_T0_SN_SS_E_clIPjSG_PS9_SI_EEDaS16_S17_SN_SS_EUlS16_E_NS1_11comp_targetILNS1_3genE3ELNS1_11target_archE908ELNS1_3gpuE7ELNS1_3repE0EEENS1_47radix_sort_onesweep_sort_config_static_selectorELNS0_4arch9wavefront6targetE0EEEvSN_.uses_flat_scratch, 0
	.set _ZN7rocprim17ROCPRIM_400000_NS6detail17trampoline_kernelINS0_14default_configENS1_35radix_sort_onesweep_config_selectorIjN6thrust23THRUST_200600_302600_NS5tupleIffNS6_9null_typeES8_S8_S8_S8_S8_S8_S8_EEEEZZNS1_29radix_sort_onesweep_iterationIS3_Lb0ENS6_6detail15normal_iteratorINS6_10device_ptrIjEEEESG_NSD_INSE_IS9_EEEESI_jNS0_19identity_decomposerENS1_16block_id_wrapperIjLb0EEEEE10hipError_tT1_PNSt15iterator_traitsISN_E10value_typeET2_T3_PNSO_IST_E10value_typeET4_T5_PSY_SZ_PNS1_23onesweep_lookback_stateEbbT6_jjT7_P12ihipStream_tbENKUlT_T0_SN_SS_E_clIPjSG_PS9_SI_EEDaS16_S17_SN_SS_EUlS16_E_NS1_11comp_targetILNS1_3genE3ELNS1_11target_archE908ELNS1_3gpuE7ELNS1_3repE0EEENS1_47radix_sort_onesweep_sort_config_static_selectorELNS0_4arch9wavefront6targetE0EEEvSN_.has_dyn_sized_stack, 0
	.set _ZN7rocprim17ROCPRIM_400000_NS6detail17trampoline_kernelINS0_14default_configENS1_35radix_sort_onesweep_config_selectorIjN6thrust23THRUST_200600_302600_NS5tupleIffNS6_9null_typeES8_S8_S8_S8_S8_S8_S8_EEEEZZNS1_29radix_sort_onesweep_iterationIS3_Lb0ENS6_6detail15normal_iteratorINS6_10device_ptrIjEEEESG_NSD_INSE_IS9_EEEESI_jNS0_19identity_decomposerENS1_16block_id_wrapperIjLb0EEEEE10hipError_tT1_PNSt15iterator_traitsISN_E10value_typeET2_T3_PNSO_IST_E10value_typeET4_T5_PSY_SZ_PNS1_23onesweep_lookback_stateEbbT6_jjT7_P12ihipStream_tbENKUlT_T0_SN_SS_E_clIPjSG_PS9_SI_EEDaS16_S17_SN_SS_EUlS16_E_NS1_11comp_targetILNS1_3genE3ELNS1_11target_archE908ELNS1_3gpuE7ELNS1_3repE0EEENS1_47radix_sort_onesweep_sort_config_static_selectorELNS0_4arch9wavefront6targetE0EEEvSN_.has_recursion, 0
	.set _ZN7rocprim17ROCPRIM_400000_NS6detail17trampoline_kernelINS0_14default_configENS1_35radix_sort_onesweep_config_selectorIjN6thrust23THRUST_200600_302600_NS5tupleIffNS6_9null_typeES8_S8_S8_S8_S8_S8_S8_EEEEZZNS1_29radix_sort_onesweep_iterationIS3_Lb0ENS6_6detail15normal_iteratorINS6_10device_ptrIjEEEESG_NSD_INSE_IS9_EEEESI_jNS0_19identity_decomposerENS1_16block_id_wrapperIjLb0EEEEE10hipError_tT1_PNSt15iterator_traitsISN_E10value_typeET2_T3_PNSO_IST_E10value_typeET4_T5_PSY_SZ_PNS1_23onesweep_lookback_stateEbbT6_jjT7_P12ihipStream_tbENKUlT_T0_SN_SS_E_clIPjSG_PS9_SI_EEDaS16_S17_SN_SS_EUlS16_E_NS1_11comp_targetILNS1_3genE3ELNS1_11target_archE908ELNS1_3gpuE7ELNS1_3repE0EEENS1_47radix_sort_onesweep_sort_config_static_selectorELNS0_4arch9wavefront6targetE0EEEvSN_.has_indirect_call, 0
	.section	.AMDGPU.csdata,"",@progbits
; Kernel info:
; codeLenInByte = 0
; TotalNumSgprs: 0
; NumVgprs: 0
; ScratchSize: 0
; MemoryBound: 0
; FloatMode: 240
; IeeeMode: 1
; LDSByteSize: 0 bytes/workgroup (compile time only)
; SGPRBlocks: 0
; VGPRBlocks: 0
; NumSGPRsForWavesPerEU: 1
; NumVGPRsForWavesPerEU: 1
; NamedBarCnt: 0
; Occupancy: 16
; WaveLimiterHint : 0
; COMPUTE_PGM_RSRC2:SCRATCH_EN: 0
; COMPUTE_PGM_RSRC2:USER_SGPR: 2
; COMPUTE_PGM_RSRC2:TRAP_HANDLER: 0
; COMPUTE_PGM_RSRC2:TGID_X_EN: 1
; COMPUTE_PGM_RSRC2:TGID_Y_EN: 0
; COMPUTE_PGM_RSRC2:TGID_Z_EN: 0
; COMPUTE_PGM_RSRC2:TIDIG_COMP_CNT: 0
	.section	.text._ZN7rocprim17ROCPRIM_400000_NS6detail17trampoline_kernelINS0_14default_configENS1_35radix_sort_onesweep_config_selectorIjN6thrust23THRUST_200600_302600_NS5tupleIffNS6_9null_typeES8_S8_S8_S8_S8_S8_S8_EEEEZZNS1_29radix_sort_onesweep_iterationIS3_Lb0ENS6_6detail15normal_iteratorINS6_10device_ptrIjEEEESG_NSD_INSE_IS9_EEEESI_jNS0_19identity_decomposerENS1_16block_id_wrapperIjLb0EEEEE10hipError_tT1_PNSt15iterator_traitsISN_E10value_typeET2_T3_PNSO_IST_E10value_typeET4_T5_PSY_SZ_PNS1_23onesweep_lookback_stateEbbT6_jjT7_P12ihipStream_tbENKUlT_T0_SN_SS_E_clIPjSG_PS9_SI_EEDaS16_S17_SN_SS_EUlS16_E_NS1_11comp_targetILNS1_3genE10ELNS1_11target_archE1201ELNS1_3gpuE5ELNS1_3repE0EEENS1_47radix_sort_onesweep_sort_config_static_selectorELNS0_4arch9wavefront6targetE0EEEvSN_,"axG",@progbits,_ZN7rocprim17ROCPRIM_400000_NS6detail17trampoline_kernelINS0_14default_configENS1_35radix_sort_onesweep_config_selectorIjN6thrust23THRUST_200600_302600_NS5tupleIffNS6_9null_typeES8_S8_S8_S8_S8_S8_S8_EEEEZZNS1_29radix_sort_onesweep_iterationIS3_Lb0ENS6_6detail15normal_iteratorINS6_10device_ptrIjEEEESG_NSD_INSE_IS9_EEEESI_jNS0_19identity_decomposerENS1_16block_id_wrapperIjLb0EEEEE10hipError_tT1_PNSt15iterator_traitsISN_E10value_typeET2_T3_PNSO_IST_E10value_typeET4_T5_PSY_SZ_PNS1_23onesweep_lookback_stateEbbT6_jjT7_P12ihipStream_tbENKUlT_T0_SN_SS_E_clIPjSG_PS9_SI_EEDaS16_S17_SN_SS_EUlS16_E_NS1_11comp_targetILNS1_3genE10ELNS1_11target_archE1201ELNS1_3gpuE5ELNS1_3repE0EEENS1_47radix_sort_onesweep_sort_config_static_selectorELNS0_4arch9wavefront6targetE0EEEvSN_,comdat
	.protected	_ZN7rocprim17ROCPRIM_400000_NS6detail17trampoline_kernelINS0_14default_configENS1_35radix_sort_onesweep_config_selectorIjN6thrust23THRUST_200600_302600_NS5tupleIffNS6_9null_typeES8_S8_S8_S8_S8_S8_S8_EEEEZZNS1_29radix_sort_onesweep_iterationIS3_Lb0ENS6_6detail15normal_iteratorINS6_10device_ptrIjEEEESG_NSD_INSE_IS9_EEEESI_jNS0_19identity_decomposerENS1_16block_id_wrapperIjLb0EEEEE10hipError_tT1_PNSt15iterator_traitsISN_E10value_typeET2_T3_PNSO_IST_E10value_typeET4_T5_PSY_SZ_PNS1_23onesweep_lookback_stateEbbT6_jjT7_P12ihipStream_tbENKUlT_T0_SN_SS_E_clIPjSG_PS9_SI_EEDaS16_S17_SN_SS_EUlS16_E_NS1_11comp_targetILNS1_3genE10ELNS1_11target_archE1201ELNS1_3gpuE5ELNS1_3repE0EEENS1_47radix_sort_onesweep_sort_config_static_selectorELNS0_4arch9wavefront6targetE0EEEvSN_ ; -- Begin function _ZN7rocprim17ROCPRIM_400000_NS6detail17trampoline_kernelINS0_14default_configENS1_35radix_sort_onesweep_config_selectorIjN6thrust23THRUST_200600_302600_NS5tupleIffNS6_9null_typeES8_S8_S8_S8_S8_S8_S8_EEEEZZNS1_29radix_sort_onesweep_iterationIS3_Lb0ENS6_6detail15normal_iteratorINS6_10device_ptrIjEEEESG_NSD_INSE_IS9_EEEESI_jNS0_19identity_decomposerENS1_16block_id_wrapperIjLb0EEEEE10hipError_tT1_PNSt15iterator_traitsISN_E10value_typeET2_T3_PNSO_IST_E10value_typeET4_T5_PSY_SZ_PNS1_23onesweep_lookback_stateEbbT6_jjT7_P12ihipStream_tbENKUlT_T0_SN_SS_E_clIPjSG_PS9_SI_EEDaS16_S17_SN_SS_EUlS16_E_NS1_11comp_targetILNS1_3genE10ELNS1_11target_archE1201ELNS1_3gpuE5ELNS1_3repE0EEENS1_47radix_sort_onesweep_sort_config_static_selectorELNS0_4arch9wavefront6targetE0EEEvSN_
	.globl	_ZN7rocprim17ROCPRIM_400000_NS6detail17trampoline_kernelINS0_14default_configENS1_35radix_sort_onesweep_config_selectorIjN6thrust23THRUST_200600_302600_NS5tupleIffNS6_9null_typeES8_S8_S8_S8_S8_S8_S8_EEEEZZNS1_29radix_sort_onesweep_iterationIS3_Lb0ENS6_6detail15normal_iteratorINS6_10device_ptrIjEEEESG_NSD_INSE_IS9_EEEESI_jNS0_19identity_decomposerENS1_16block_id_wrapperIjLb0EEEEE10hipError_tT1_PNSt15iterator_traitsISN_E10value_typeET2_T3_PNSO_IST_E10value_typeET4_T5_PSY_SZ_PNS1_23onesweep_lookback_stateEbbT6_jjT7_P12ihipStream_tbENKUlT_T0_SN_SS_E_clIPjSG_PS9_SI_EEDaS16_S17_SN_SS_EUlS16_E_NS1_11comp_targetILNS1_3genE10ELNS1_11target_archE1201ELNS1_3gpuE5ELNS1_3repE0EEENS1_47radix_sort_onesweep_sort_config_static_selectorELNS0_4arch9wavefront6targetE0EEEvSN_
	.p2align	8
	.type	_ZN7rocprim17ROCPRIM_400000_NS6detail17trampoline_kernelINS0_14default_configENS1_35radix_sort_onesweep_config_selectorIjN6thrust23THRUST_200600_302600_NS5tupleIffNS6_9null_typeES8_S8_S8_S8_S8_S8_S8_EEEEZZNS1_29radix_sort_onesweep_iterationIS3_Lb0ENS6_6detail15normal_iteratorINS6_10device_ptrIjEEEESG_NSD_INSE_IS9_EEEESI_jNS0_19identity_decomposerENS1_16block_id_wrapperIjLb0EEEEE10hipError_tT1_PNSt15iterator_traitsISN_E10value_typeET2_T3_PNSO_IST_E10value_typeET4_T5_PSY_SZ_PNS1_23onesweep_lookback_stateEbbT6_jjT7_P12ihipStream_tbENKUlT_T0_SN_SS_E_clIPjSG_PS9_SI_EEDaS16_S17_SN_SS_EUlS16_E_NS1_11comp_targetILNS1_3genE10ELNS1_11target_archE1201ELNS1_3gpuE5ELNS1_3repE0EEENS1_47radix_sort_onesweep_sort_config_static_selectorELNS0_4arch9wavefront6targetE0EEEvSN_,@function
_ZN7rocprim17ROCPRIM_400000_NS6detail17trampoline_kernelINS0_14default_configENS1_35radix_sort_onesweep_config_selectorIjN6thrust23THRUST_200600_302600_NS5tupleIffNS6_9null_typeES8_S8_S8_S8_S8_S8_S8_EEEEZZNS1_29radix_sort_onesweep_iterationIS3_Lb0ENS6_6detail15normal_iteratorINS6_10device_ptrIjEEEESG_NSD_INSE_IS9_EEEESI_jNS0_19identity_decomposerENS1_16block_id_wrapperIjLb0EEEEE10hipError_tT1_PNSt15iterator_traitsISN_E10value_typeET2_T3_PNSO_IST_E10value_typeET4_T5_PSY_SZ_PNS1_23onesweep_lookback_stateEbbT6_jjT7_P12ihipStream_tbENKUlT_T0_SN_SS_E_clIPjSG_PS9_SI_EEDaS16_S17_SN_SS_EUlS16_E_NS1_11comp_targetILNS1_3genE10ELNS1_11target_archE1201ELNS1_3gpuE5ELNS1_3repE0EEENS1_47radix_sort_onesweep_sort_config_static_selectorELNS0_4arch9wavefront6targetE0EEEvSN_: ; @_ZN7rocprim17ROCPRIM_400000_NS6detail17trampoline_kernelINS0_14default_configENS1_35radix_sort_onesweep_config_selectorIjN6thrust23THRUST_200600_302600_NS5tupleIffNS6_9null_typeES8_S8_S8_S8_S8_S8_S8_EEEEZZNS1_29radix_sort_onesweep_iterationIS3_Lb0ENS6_6detail15normal_iteratorINS6_10device_ptrIjEEEESG_NSD_INSE_IS9_EEEESI_jNS0_19identity_decomposerENS1_16block_id_wrapperIjLb0EEEEE10hipError_tT1_PNSt15iterator_traitsISN_E10value_typeET2_T3_PNSO_IST_E10value_typeET4_T5_PSY_SZ_PNS1_23onesweep_lookback_stateEbbT6_jjT7_P12ihipStream_tbENKUlT_T0_SN_SS_E_clIPjSG_PS9_SI_EEDaS16_S17_SN_SS_EUlS16_E_NS1_11comp_targetILNS1_3genE10ELNS1_11target_archE1201ELNS1_3gpuE5ELNS1_3repE0EEENS1_47radix_sort_onesweep_sort_config_static_selectorELNS0_4arch9wavefront6targetE0EEEvSN_
; %bb.0:
	.section	.rodata,"a",@progbits
	.p2align	6, 0x0
	.amdhsa_kernel _ZN7rocprim17ROCPRIM_400000_NS6detail17trampoline_kernelINS0_14default_configENS1_35radix_sort_onesweep_config_selectorIjN6thrust23THRUST_200600_302600_NS5tupleIffNS6_9null_typeES8_S8_S8_S8_S8_S8_S8_EEEEZZNS1_29radix_sort_onesweep_iterationIS3_Lb0ENS6_6detail15normal_iteratorINS6_10device_ptrIjEEEESG_NSD_INSE_IS9_EEEESI_jNS0_19identity_decomposerENS1_16block_id_wrapperIjLb0EEEEE10hipError_tT1_PNSt15iterator_traitsISN_E10value_typeET2_T3_PNSO_IST_E10value_typeET4_T5_PSY_SZ_PNS1_23onesweep_lookback_stateEbbT6_jjT7_P12ihipStream_tbENKUlT_T0_SN_SS_E_clIPjSG_PS9_SI_EEDaS16_S17_SN_SS_EUlS16_E_NS1_11comp_targetILNS1_3genE10ELNS1_11target_archE1201ELNS1_3gpuE5ELNS1_3repE0EEENS1_47radix_sort_onesweep_sort_config_static_selectorELNS0_4arch9wavefront6targetE0EEEvSN_
		.amdhsa_group_segment_fixed_size 0
		.amdhsa_private_segment_fixed_size 0
		.amdhsa_kernarg_size 88
		.amdhsa_user_sgpr_count 2
		.amdhsa_user_sgpr_dispatch_ptr 0
		.amdhsa_user_sgpr_queue_ptr 0
		.amdhsa_user_sgpr_kernarg_segment_ptr 1
		.amdhsa_user_sgpr_dispatch_id 0
		.amdhsa_user_sgpr_kernarg_preload_length 0
		.amdhsa_user_sgpr_kernarg_preload_offset 0
		.amdhsa_user_sgpr_private_segment_size 0
		.amdhsa_wavefront_size32 1
		.amdhsa_uses_dynamic_stack 0
		.amdhsa_enable_private_segment 0
		.amdhsa_system_sgpr_workgroup_id_x 1
		.amdhsa_system_sgpr_workgroup_id_y 0
		.amdhsa_system_sgpr_workgroup_id_z 0
		.amdhsa_system_sgpr_workgroup_info 0
		.amdhsa_system_vgpr_workitem_id 0
		.amdhsa_next_free_vgpr 1
		.amdhsa_next_free_sgpr 1
		.amdhsa_named_barrier_count 0
		.amdhsa_reserve_vcc 0
		.amdhsa_float_round_mode_32 0
		.amdhsa_float_round_mode_16_64 0
		.amdhsa_float_denorm_mode_32 3
		.amdhsa_float_denorm_mode_16_64 3
		.amdhsa_fp16_overflow 0
		.amdhsa_memory_ordered 1
		.amdhsa_forward_progress 1
		.amdhsa_inst_pref_size 0
		.amdhsa_round_robin_scheduling 0
		.amdhsa_exception_fp_ieee_invalid_op 0
		.amdhsa_exception_fp_denorm_src 0
		.amdhsa_exception_fp_ieee_div_zero 0
		.amdhsa_exception_fp_ieee_overflow 0
		.amdhsa_exception_fp_ieee_underflow 0
		.amdhsa_exception_fp_ieee_inexact 0
		.amdhsa_exception_int_div_zero 0
	.end_amdhsa_kernel
	.section	.text._ZN7rocprim17ROCPRIM_400000_NS6detail17trampoline_kernelINS0_14default_configENS1_35radix_sort_onesweep_config_selectorIjN6thrust23THRUST_200600_302600_NS5tupleIffNS6_9null_typeES8_S8_S8_S8_S8_S8_S8_EEEEZZNS1_29radix_sort_onesweep_iterationIS3_Lb0ENS6_6detail15normal_iteratorINS6_10device_ptrIjEEEESG_NSD_INSE_IS9_EEEESI_jNS0_19identity_decomposerENS1_16block_id_wrapperIjLb0EEEEE10hipError_tT1_PNSt15iterator_traitsISN_E10value_typeET2_T3_PNSO_IST_E10value_typeET4_T5_PSY_SZ_PNS1_23onesweep_lookback_stateEbbT6_jjT7_P12ihipStream_tbENKUlT_T0_SN_SS_E_clIPjSG_PS9_SI_EEDaS16_S17_SN_SS_EUlS16_E_NS1_11comp_targetILNS1_3genE10ELNS1_11target_archE1201ELNS1_3gpuE5ELNS1_3repE0EEENS1_47radix_sort_onesweep_sort_config_static_selectorELNS0_4arch9wavefront6targetE0EEEvSN_,"axG",@progbits,_ZN7rocprim17ROCPRIM_400000_NS6detail17trampoline_kernelINS0_14default_configENS1_35radix_sort_onesweep_config_selectorIjN6thrust23THRUST_200600_302600_NS5tupleIffNS6_9null_typeES8_S8_S8_S8_S8_S8_S8_EEEEZZNS1_29radix_sort_onesweep_iterationIS3_Lb0ENS6_6detail15normal_iteratorINS6_10device_ptrIjEEEESG_NSD_INSE_IS9_EEEESI_jNS0_19identity_decomposerENS1_16block_id_wrapperIjLb0EEEEE10hipError_tT1_PNSt15iterator_traitsISN_E10value_typeET2_T3_PNSO_IST_E10value_typeET4_T5_PSY_SZ_PNS1_23onesweep_lookback_stateEbbT6_jjT7_P12ihipStream_tbENKUlT_T0_SN_SS_E_clIPjSG_PS9_SI_EEDaS16_S17_SN_SS_EUlS16_E_NS1_11comp_targetILNS1_3genE10ELNS1_11target_archE1201ELNS1_3gpuE5ELNS1_3repE0EEENS1_47radix_sort_onesweep_sort_config_static_selectorELNS0_4arch9wavefront6targetE0EEEvSN_,comdat
.Lfunc_end226:
	.size	_ZN7rocprim17ROCPRIM_400000_NS6detail17trampoline_kernelINS0_14default_configENS1_35radix_sort_onesweep_config_selectorIjN6thrust23THRUST_200600_302600_NS5tupleIffNS6_9null_typeES8_S8_S8_S8_S8_S8_S8_EEEEZZNS1_29radix_sort_onesweep_iterationIS3_Lb0ENS6_6detail15normal_iteratorINS6_10device_ptrIjEEEESG_NSD_INSE_IS9_EEEESI_jNS0_19identity_decomposerENS1_16block_id_wrapperIjLb0EEEEE10hipError_tT1_PNSt15iterator_traitsISN_E10value_typeET2_T3_PNSO_IST_E10value_typeET4_T5_PSY_SZ_PNS1_23onesweep_lookback_stateEbbT6_jjT7_P12ihipStream_tbENKUlT_T0_SN_SS_E_clIPjSG_PS9_SI_EEDaS16_S17_SN_SS_EUlS16_E_NS1_11comp_targetILNS1_3genE10ELNS1_11target_archE1201ELNS1_3gpuE5ELNS1_3repE0EEENS1_47radix_sort_onesweep_sort_config_static_selectorELNS0_4arch9wavefront6targetE0EEEvSN_, .Lfunc_end226-_ZN7rocprim17ROCPRIM_400000_NS6detail17trampoline_kernelINS0_14default_configENS1_35radix_sort_onesweep_config_selectorIjN6thrust23THRUST_200600_302600_NS5tupleIffNS6_9null_typeES8_S8_S8_S8_S8_S8_S8_EEEEZZNS1_29radix_sort_onesweep_iterationIS3_Lb0ENS6_6detail15normal_iteratorINS6_10device_ptrIjEEEESG_NSD_INSE_IS9_EEEESI_jNS0_19identity_decomposerENS1_16block_id_wrapperIjLb0EEEEE10hipError_tT1_PNSt15iterator_traitsISN_E10value_typeET2_T3_PNSO_IST_E10value_typeET4_T5_PSY_SZ_PNS1_23onesweep_lookback_stateEbbT6_jjT7_P12ihipStream_tbENKUlT_T0_SN_SS_E_clIPjSG_PS9_SI_EEDaS16_S17_SN_SS_EUlS16_E_NS1_11comp_targetILNS1_3genE10ELNS1_11target_archE1201ELNS1_3gpuE5ELNS1_3repE0EEENS1_47radix_sort_onesweep_sort_config_static_selectorELNS0_4arch9wavefront6targetE0EEEvSN_
                                        ; -- End function
	.set _ZN7rocprim17ROCPRIM_400000_NS6detail17trampoline_kernelINS0_14default_configENS1_35radix_sort_onesweep_config_selectorIjN6thrust23THRUST_200600_302600_NS5tupleIffNS6_9null_typeES8_S8_S8_S8_S8_S8_S8_EEEEZZNS1_29radix_sort_onesweep_iterationIS3_Lb0ENS6_6detail15normal_iteratorINS6_10device_ptrIjEEEESG_NSD_INSE_IS9_EEEESI_jNS0_19identity_decomposerENS1_16block_id_wrapperIjLb0EEEEE10hipError_tT1_PNSt15iterator_traitsISN_E10value_typeET2_T3_PNSO_IST_E10value_typeET4_T5_PSY_SZ_PNS1_23onesweep_lookback_stateEbbT6_jjT7_P12ihipStream_tbENKUlT_T0_SN_SS_E_clIPjSG_PS9_SI_EEDaS16_S17_SN_SS_EUlS16_E_NS1_11comp_targetILNS1_3genE10ELNS1_11target_archE1201ELNS1_3gpuE5ELNS1_3repE0EEENS1_47radix_sort_onesweep_sort_config_static_selectorELNS0_4arch9wavefront6targetE0EEEvSN_.num_vgpr, 0
	.set _ZN7rocprim17ROCPRIM_400000_NS6detail17trampoline_kernelINS0_14default_configENS1_35radix_sort_onesweep_config_selectorIjN6thrust23THRUST_200600_302600_NS5tupleIffNS6_9null_typeES8_S8_S8_S8_S8_S8_S8_EEEEZZNS1_29radix_sort_onesweep_iterationIS3_Lb0ENS6_6detail15normal_iteratorINS6_10device_ptrIjEEEESG_NSD_INSE_IS9_EEEESI_jNS0_19identity_decomposerENS1_16block_id_wrapperIjLb0EEEEE10hipError_tT1_PNSt15iterator_traitsISN_E10value_typeET2_T3_PNSO_IST_E10value_typeET4_T5_PSY_SZ_PNS1_23onesweep_lookback_stateEbbT6_jjT7_P12ihipStream_tbENKUlT_T0_SN_SS_E_clIPjSG_PS9_SI_EEDaS16_S17_SN_SS_EUlS16_E_NS1_11comp_targetILNS1_3genE10ELNS1_11target_archE1201ELNS1_3gpuE5ELNS1_3repE0EEENS1_47radix_sort_onesweep_sort_config_static_selectorELNS0_4arch9wavefront6targetE0EEEvSN_.num_agpr, 0
	.set _ZN7rocprim17ROCPRIM_400000_NS6detail17trampoline_kernelINS0_14default_configENS1_35radix_sort_onesweep_config_selectorIjN6thrust23THRUST_200600_302600_NS5tupleIffNS6_9null_typeES8_S8_S8_S8_S8_S8_S8_EEEEZZNS1_29radix_sort_onesweep_iterationIS3_Lb0ENS6_6detail15normal_iteratorINS6_10device_ptrIjEEEESG_NSD_INSE_IS9_EEEESI_jNS0_19identity_decomposerENS1_16block_id_wrapperIjLb0EEEEE10hipError_tT1_PNSt15iterator_traitsISN_E10value_typeET2_T3_PNSO_IST_E10value_typeET4_T5_PSY_SZ_PNS1_23onesweep_lookback_stateEbbT6_jjT7_P12ihipStream_tbENKUlT_T0_SN_SS_E_clIPjSG_PS9_SI_EEDaS16_S17_SN_SS_EUlS16_E_NS1_11comp_targetILNS1_3genE10ELNS1_11target_archE1201ELNS1_3gpuE5ELNS1_3repE0EEENS1_47radix_sort_onesweep_sort_config_static_selectorELNS0_4arch9wavefront6targetE0EEEvSN_.numbered_sgpr, 0
	.set _ZN7rocprim17ROCPRIM_400000_NS6detail17trampoline_kernelINS0_14default_configENS1_35radix_sort_onesweep_config_selectorIjN6thrust23THRUST_200600_302600_NS5tupleIffNS6_9null_typeES8_S8_S8_S8_S8_S8_S8_EEEEZZNS1_29radix_sort_onesweep_iterationIS3_Lb0ENS6_6detail15normal_iteratorINS6_10device_ptrIjEEEESG_NSD_INSE_IS9_EEEESI_jNS0_19identity_decomposerENS1_16block_id_wrapperIjLb0EEEEE10hipError_tT1_PNSt15iterator_traitsISN_E10value_typeET2_T3_PNSO_IST_E10value_typeET4_T5_PSY_SZ_PNS1_23onesweep_lookback_stateEbbT6_jjT7_P12ihipStream_tbENKUlT_T0_SN_SS_E_clIPjSG_PS9_SI_EEDaS16_S17_SN_SS_EUlS16_E_NS1_11comp_targetILNS1_3genE10ELNS1_11target_archE1201ELNS1_3gpuE5ELNS1_3repE0EEENS1_47radix_sort_onesweep_sort_config_static_selectorELNS0_4arch9wavefront6targetE0EEEvSN_.num_named_barrier, 0
	.set _ZN7rocprim17ROCPRIM_400000_NS6detail17trampoline_kernelINS0_14default_configENS1_35radix_sort_onesweep_config_selectorIjN6thrust23THRUST_200600_302600_NS5tupleIffNS6_9null_typeES8_S8_S8_S8_S8_S8_S8_EEEEZZNS1_29radix_sort_onesweep_iterationIS3_Lb0ENS6_6detail15normal_iteratorINS6_10device_ptrIjEEEESG_NSD_INSE_IS9_EEEESI_jNS0_19identity_decomposerENS1_16block_id_wrapperIjLb0EEEEE10hipError_tT1_PNSt15iterator_traitsISN_E10value_typeET2_T3_PNSO_IST_E10value_typeET4_T5_PSY_SZ_PNS1_23onesweep_lookback_stateEbbT6_jjT7_P12ihipStream_tbENKUlT_T0_SN_SS_E_clIPjSG_PS9_SI_EEDaS16_S17_SN_SS_EUlS16_E_NS1_11comp_targetILNS1_3genE10ELNS1_11target_archE1201ELNS1_3gpuE5ELNS1_3repE0EEENS1_47radix_sort_onesweep_sort_config_static_selectorELNS0_4arch9wavefront6targetE0EEEvSN_.private_seg_size, 0
	.set _ZN7rocprim17ROCPRIM_400000_NS6detail17trampoline_kernelINS0_14default_configENS1_35radix_sort_onesweep_config_selectorIjN6thrust23THRUST_200600_302600_NS5tupleIffNS6_9null_typeES8_S8_S8_S8_S8_S8_S8_EEEEZZNS1_29radix_sort_onesweep_iterationIS3_Lb0ENS6_6detail15normal_iteratorINS6_10device_ptrIjEEEESG_NSD_INSE_IS9_EEEESI_jNS0_19identity_decomposerENS1_16block_id_wrapperIjLb0EEEEE10hipError_tT1_PNSt15iterator_traitsISN_E10value_typeET2_T3_PNSO_IST_E10value_typeET4_T5_PSY_SZ_PNS1_23onesweep_lookback_stateEbbT6_jjT7_P12ihipStream_tbENKUlT_T0_SN_SS_E_clIPjSG_PS9_SI_EEDaS16_S17_SN_SS_EUlS16_E_NS1_11comp_targetILNS1_3genE10ELNS1_11target_archE1201ELNS1_3gpuE5ELNS1_3repE0EEENS1_47radix_sort_onesweep_sort_config_static_selectorELNS0_4arch9wavefront6targetE0EEEvSN_.uses_vcc, 0
	.set _ZN7rocprim17ROCPRIM_400000_NS6detail17trampoline_kernelINS0_14default_configENS1_35radix_sort_onesweep_config_selectorIjN6thrust23THRUST_200600_302600_NS5tupleIffNS6_9null_typeES8_S8_S8_S8_S8_S8_S8_EEEEZZNS1_29radix_sort_onesweep_iterationIS3_Lb0ENS6_6detail15normal_iteratorINS6_10device_ptrIjEEEESG_NSD_INSE_IS9_EEEESI_jNS0_19identity_decomposerENS1_16block_id_wrapperIjLb0EEEEE10hipError_tT1_PNSt15iterator_traitsISN_E10value_typeET2_T3_PNSO_IST_E10value_typeET4_T5_PSY_SZ_PNS1_23onesweep_lookback_stateEbbT6_jjT7_P12ihipStream_tbENKUlT_T0_SN_SS_E_clIPjSG_PS9_SI_EEDaS16_S17_SN_SS_EUlS16_E_NS1_11comp_targetILNS1_3genE10ELNS1_11target_archE1201ELNS1_3gpuE5ELNS1_3repE0EEENS1_47radix_sort_onesweep_sort_config_static_selectorELNS0_4arch9wavefront6targetE0EEEvSN_.uses_flat_scratch, 0
	.set _ZN7rocprim17ROCPRIM_400000_NS6detail17trampoline_kernelINS0_14default_configENS1_35radix_sort_onesweep_config_selectorIjN6thrust23THRUST_200600_302600_NS5tupleIffNS6_9null_typeES8_S8_S8_S8_S8_S8_S8_EEEEZZNS1_29radix_sort_onesweep_iterationIS3_Lb0ENS6_6detail15normal_iteratorINS6_10device_ptrIjEEEESG_NSD_INSE_IS9_EEEESI_jNS0_19identity_decomposerENS1_16block_id_wrapperIjLb0EEEEE10hipError_tT1_PNSt15iterator_traitsISN_E10value_typeET2_T3_PNSO_IST_E10value_typeET4_T5_PSY_SZ_PNS1_23onesweep_lookback_stateEbbT6_jjT7_P12ihipStream_tbENKUlT_T0_SN_SS_E_clIPjSG_PS9_SI_EEDaS16_S17_SN_SS_EUlS16_E_NS1_11comp_targetILNS1_3genE10ELNS1_11target_archE1201ELNS1_3gpuE5ELNS1_3repE0EEENS1_47radix_sort_onesweep_sort_config_static_selectorELNS0_4arch9wavefront6targetE0EEEvSN_.has_dyn_sized_stack, 0
	.set _ZN7rocprim17ROCPRIM_400000_NS6detail17trampoline_kernelINS0_14default_configENS1_35radix_sort_onesweep_config_selectorIjN6thrust23THRUST_200600_302600_NS5tupleIffNS6_9null_typeES8_S8_S8_S8_S8_S8_S8_EEEEZZNS1_29radix_sort_onesweep_iterationIS3_Lb0ENS6_6detail15normal_iteratorINS6_10device_ptrIjEEEESG_NSD_INSE_IS9_EEEESI_jNS0_19identity_decomposerENS1_16block_id_wrapperIjLb0EEEEE10hipError_tT1_PNSt15iterator_traitsISN_E10value_typeET2_T3_PNSO_IST_E10value_typeET4_T5_PSY_SZ_PNS1_23onesweep_lookback_stateEbbT6_jjT7_P12ihipStream_tbENKUlT_T0_SN_SS_E_clIPjSG_PS9_SI_EEDaS16_S17_SN_SS_EUlS16_E_NS1_11comp_targetILNS1_3genE10ELNS1_11target_archE1201ELNS1_3gpuE5ELNS1_3repE0EEENS1_47radix_sort_onesweep_sort_config_static_selectorELNS0_4arch9wavefront6targetE0EEEvSN_.has_recursion, 0
	.set _ZN7rocprim17ROCPRIM_400000_NS6detail17trampoline_kernelINS0_14default_configENS1_35radix_sort_onesweep_config_selectorIjN6thrust23THRUST_200600_302600_NS5tupleIffNS6_9null_typeES8_S8_S8_S8_S8_S8_S8_EEEEZZNS1_29radix_sort_onesweep_iterationIS3_Lb0ENS6_6detail15normal_iteratorINS6_10device_ptrIjEEEESG_NSD_INSE_IS9_EEEESI_jNS0_19identity_decomposerENS1_16block_id_wrapperIjLb0EEEEE10hipError_tT1_PNSt15iterator_traitsISN_E10value_typeET2_T3_PNSO_IST_E10value_typeET4_T5_PSY_SZ_PNS1_23onesweep_lookback_stateEbbT6_jjT7_P12ihipStream_tbENKUlT_T0_SN_SS_E_clIPjSG_PS9_SI_EEDaS16_S17_SN_SS_EUlS16_E_NS1_11comp_targetILNS1_3genE10ELNS1_11target_archE1201ELNS1_3gpuE5ELNS1_3repE0EEENS1_47radix_sort_onesweep_sort_config_static_selectorELNS0_4arch9wavefront6targetE0EEEvSN_.has_indirect_call, 0
	.section	.AMDGPU.csdata,"",@progbits
; Kernel info:
; codeLenInByte = 0
; TotalNumSgprs: 0
; NumVgprs: 0
; ScratchSize: 0
; MemoryBound: 0
; FloatMode: 240
; IeeeMode: 1
; LDSByteSize: 0 bytes/workgroup (compile time only)
; SGPRBlocks: 0
; VGPRBlocks: 0
; NumSGPRsForWavesPerEU: 1
; NumVGPRsForWavesPerEU: 1
; NamedBarCnt: 0
; Occupancy: 16
; WaveLimiterHint : 0
; COMPUTE_PGM_RSRC2:SCRATCH_EN: 0
; COMPUTE_PGM_RSRC2:USER_SGPR: 2
; COMPUTE_PGM_RSRC2:TRAP_HANDLER: 0
; COMPUTE_PGM_RSRC2:TGID_X_EN: 1
; COMPUTE_PGM_RSRC2:TGID_Y_EN: 0
; COMPUTE_PGM_RSRC2:TGID_Z_EN: 0
; COMPUTE_PGM_RSRC2:TIDIG_COMP_CNT: 0
	.section	.text._ZN7rocprim17ROCPRIM_400000_NS6detail17trampoline_kernelINS0_14default_configENS1_35radix_sort_onesweep_config_selectorIjN6thrust23THRUST_200600_302600_NS5tupleIffNS6_9null_typeES8_S8_S8_S8_S8_S8_S8_EEEEZZNS1_29radix_sort_onesweep_iterationIS3_Lb0ENS6_6detail15normal_iteratorINS6_10device_ptrIjEEEESG_NSD_INSE_IS9_EEEESI_jNS0_19identity_decomposerENS1_16block_id_wrapperIjLb0EEEEE10hipError_tT1_PNSt15iterator_traitsISN_E10value_typeET2_T3_PNSO_IST_E10value_typeET4_T5_PSY_SZ_PNS1_23onesweep_lookback_stateEbbT6_jjT7_P12ihipStream_tbENKUlT_T0_SN_SS_E_clIPjSG_PS9_SI_EEDaS16_S17_SN_SS_EUlS16_E_NS1_11comp_targetILNS1_3genE9ELNS1_11target_archE1100ELNS1_3gpuE3ELNS1_3repE0EEENS1_47radix_sort_onesweep_sort_config_static_selectorELNS0_4arch9wavefront6targetE0EEEvSN_,"axG",@progbits,_ZN7rocprim17ROCPRIM_400000_NS6detail17trampoline_kernelINS0_14default_configENS1_35radix_sort_onesweep_config_selectorIjN6thrust23THRUST_200600_302600_NS5tupleIffNS6_9null_typeES8_S8_S8_S8_S8_S8_S8_EEEEZZNS1_29radix_sort_onesweep_iterationIS3_Lb0ENS6_6detail15normal_iteratorINS6_10device_ptrIjEEEESG_NSD_INSE_IS9_EEEESI_jNS0_19identity_decomposerENS1_16block_id_wrapperIjLb0EEEEE10hipError_tT1_PNSt15iterator_traitsISN_E10value_typeET2_T3_PNSO_IST_E10value_typeET4_T5_PSY_SZ_PNS1_23onesweep_lookback_stateEbbT6_jjT7_P12ihipStream_tbENKUlT_T0_SN_SS_E_clIPjSG_PS9_SI_EEDaS16_S17_SN_SS_EUlS16_E_NS1_11comp_targetILNS1_3genE9ELNS1_11target_archE1100ELNS1_3gpuE3ELNS1_3repE0EEENS1_47radix_sort_onesweep_sort_config_static_selectorELNS0_4arch9wavefront6targetE0EEEvSN_,comdat
	.protected	_ZN7rocprim17ROCPRIM_400000_NS6detail17trampoline_kernelINS0_14default_configENS1_35radix_sort_onesweep_config_selectorIjN6thrust23THRUST_200600_302600_NS5tupleIffNS6_9null_typeES8_S8_S8_S8_S8_S8_S8_EEEEZZNS1_29radix_sort_onesweep_iterationIS3_Lb0ENS6_6detail15normal_iteratorINS6_10device_ptrIjEEEESG_NSD_INSE_IS9_EEEESI_jNS0_19identity_decomposerENS1_16block_id_wrapperIjLb0EEEEE10hipError_tT1_PNSt15iterator_traitsISN_E10value_typeET2_T3_PNSO_IST_E10value_typeET4_T5_PSY_SZ_PNS1_23onesweep_lookback_stateEbbT6_jjT7_P12ihipStream_tbENKUlT_T0_SN_SS_E_clIPjSG_PS9_SI_EEDaS16_S17_SN_SS_EUlS16_E_NS1_11comp_targetILNS1_3genE9ELNS1_11target_archE1100ELNS1_3gpuE3ELNS1_3repE0EEENS1_47radix_sort_onesweep_sort_config_static_selectorELNS0_4arch9wavefront6targetE0EEEvSN_ ; -- Begin function _ZN7rocprim17ROCPRIM_400000_NS6detail17trampoline_kernelINS0_14default_configENS1_35radix_sort_onesweep_config_selectorIjN6thrust23THRUST_200600_302600_NS5tupleIffNS6_9null_typeES8_S8_S8_S8_S8_S8_S8_EEEEZZNS1_29radix_sort_onesweep_iterationIS3_Lb0ENS6_6detail15normal_iteratorINS6_10device_ptrIjEEEESG_NSD_INSE_IS9_EEEESI_jNS0_19identity_decomposerENS1_16block_id_wrapperIjLb0EEEEE10hipError_tT1_PNSt15iterator_traitsISN_E10value_typeET2_T3_PNSO_IST_E10value_typeET4_T5_PSY_SZ_PNS1_23onesweep_lookback_stateEbbT6_jjT7_P12ihipStream_tbENKUlT_T0_SN_SS_E_clIPjSG_PS9_SI_EEDaS16_S17_SN_SS_EUlS16_E_NS1_11comp_targetILNS1_3genE9ELNS1_11target_archE1100ELNS1_3gpuE3ELNS1_3repE0EEENS1_47radix_sort_onesweep_sort_config_static_selectorELNS0_4arch9wavefront6targetE0EEEvSN_
	.globl	_ZN7rocprim17ROCPRIM_400000_NS6detail17trampoline_kernelINS0_14default_configENS1_35radix_sort_onesweep_config_selectorIjN6thrust23THRUST_200600_302600_NS5tupleIffNS6_9null_typeES8_S8_S8_S8_S8_S8_S8_EEEEZZNS1_29radix_sort_onesweep_iterationIS3_Lb0ENS6_6detail15normal_iteratorINS6_10device_ptrIjEEEESG_NSD_INSE_IS9_EEEESI_jNS0_19identity_decomposerENS1_16block_id_wrapperIjLb0EEEEE10hipError_tT1_PNSt15iterator_traitsISN_E10value_typeET2_T3_PNSO_IST_E10value_typeET4_T5_PSY_SZ_PNS1_23onesweep_lookback_stateEbbT6_jjT7_P12ihipStream_tbENKUlT_T0_SN_SS_E_clIPjSG_PS9_SI_EEDaS16_S17_SN_SS_EUlS16_E_NS1_11comp_targetILNS1_3genE9ELNS1_11target_archE1100ELNS1_3gpuE3ELNS1_3repE0EEENS1_47radix_sort_onesweep_sort_config_static_selectorELNS0_4arch9wavefront6targetE0EEEvSN_
	.p2align	8
	.type	_ZN7rocprim17ROCPRIM_400000_NS6detail17trampoline_kernelINS0_14default_configENS1_35radix_sort_onesweep_config_selectorIjN6thrust23THRUST_200600_302600_NS5tupleIffNS6_9null_typeES8_S8_S8_S8_S8_S8_S8_EEEEZZNS1_29radix_sort_onesweep_iterationIS3_Lb0ENS6_6detail15normal_iteratorINS6_10device_ptrIjEEEESG_NSD_INSE_IS9_EEEESI_jNS0_19identity_decomposerENS1_16block_id_wrapperIjLb0EEEEE10hipError_tT1_PNSt15iterator_traitsISN_E10value_typeET2_T3_PNSO_IST_E10value_typeET4_T5_PSY_SZ_PNS1_23onesweep_lookback_stateEbbT6_jjT7_P12ihipStream_tbENKUlT_T0_SN_SS_E_clIPjSG_PS9_SI_EEDaS16_S17_SN_SS_EUlS16_E_NS1_11comp_targetILNS1_3genE9ELNS1_11target_archE1100ELNS1_3gpuE3ELNS1_3repE0EEENS1_47radix_sort_onesweep_sort_config_static_selectorELNS0_4arch9wavefront6targetE0EEEvSN_,@function
_ZN7rocprim17ROCPRIM_400000_NS6detail17trampoline_kernelINS0_14default_configENS1_35radix_sort_onesweep_config_selectorIjN6thrust23THRUST_200600_302600_NS5tupleIffNS6_9null_typeES8_S8_S8_S8_S8_S8_S8_EEEEZZNS1_29radix_sort_onesweep_iterationIS3_Lb0ENS6_6detail15normal_iteratorINS6_10device_ptrIjEEEESG_NSD_INSE_IS9_EEEESI_jNS0_19identity_decomposerENS1_16block_id_wrapperIjLb0EEEEE10hipError_tT1_PNSt15iterator_traitsISN_E10value_typeET2_T3_PNSO_IST_E10value_typeET4_T5_PSY_SZ_PNS1_23onesweep_lookback_stateEbbT6_jjT7_P12ihipStream_tbENKUlT_T0_SN_SS_E_clIPjSG_PS9_SI_EEDaS16_S17_SN_SS_EUlS16_E_NS1_11comp_targetILNS1_3genE9ELNS1_11target_archE1100ELNS1_3gpuE3ELNS1_3repE0EEENS1_47radix_sort_onesweep_sort_config_static_selectorELNS0_4arch9wavefront6targetE0EEEvSN_: ; @_ZN7rocprim17ROCPRIM_400000_NS6detail17trampoline_kernelINS0_14default_configENS1_35radix_sort_onesweep_config_selectorIjN6thrust23THRUST_200600_302600_NS5tupleIffNS6_9null_typeES8_S8_S8_S8_S8_S8_S8_EEEEZZNS1_29radix_sort_onesweep_iterationIS3_Lb0ENS6_6detail15normal_iteratorINS6_10device_ptrIjEEEESG_NSD_INSE_IS9_EEEESI_jNS0_19identity_decomposerENS1_16block_id_wrapperIjLb0EEEEE10hipError_tT1_PNSt15iterator_traitsISN_E10value_typeET2_T3_PNSO_IST_E10value_typeET4_T5_PSY_SZ_PNS1_23onesweep_lookback_stateEbbT6_jjT7_P12ihipStream_tbENKUlT_T0_SN_SS_E_clIPjSG_PS9_SI_EEDaS16_S17_SN_SS_EUlS16_E_NS1_11comp_targetILNS1_3genE9ELNS1_11target_archE1100ELNS1_3gpuE3ELNS1_3repE0EEENS1_47radix_sort_onesweep_sort_config_static_selectorELNS0_4arch9wavefront6targetE0EEEvSN_
; %bb.0:
	.section	.rodata,"a",@progbits
	.p2align	6, 0x0
	.amdhsa_kernel _ZN7rocprim17ROCPRIM_400000_NS6detail17trampoline_kernelINS0_14default_configENS1_35radix_sort_onesweep_config_selectorIjN6thrust23THRUST_200600_302600_NS5tupleIffNS6_9null_typeES8_S8_S8_S8_S8_S8_S8_EEEEZZNS1_29radix_sort_onesweep_iterationIS3_Lb0ENS6_6detail15normal_iteratorINS6_10device_ptrIjEEEESG_NSD_INSE_IS9_EEEESI_jNS0_19identity_decomposerENS1_16block_id_wrapperIjLb0EEEEE10hipError_tT1_PNSt15iterator_traitsISN_E10value_typeET2_T3_PNSO_IST_E10value_typeET4_T5_PSY_SZ_PNS1_23onesweep_lookback_stateEbbT6_jjT7_P12ihipStream_tbENKUlT_T0_SN_SS_E_clIPjSG_PS9_SI_EEDaS16_S17_SN_SS_EUlS16_E_NS1_11comp_targetILNS1_3genE9ELNS1_11target_archE1100ELNS1_3gpuE3ELNS1_3repE0EEENS1_47radix_sort_onesweep_sort_config_static_selectorELNS0_4arch9wavefront6targetE0EEEvSN_
		.amdhsa_group_segment_fixed_size 0
		.amdhsa_private_segment_fixed_size 0
		.amdhsa_kernarg_size 88
		.amdhsa_user_sgpr_count 2
		.amdhsa_user_sgpr_dispatch_ptr 0
		.amdhsa_user_sgpr_queue_ptr 0
		.amdhsa_user_sgpr_kernarg_segment_ptr 1
		.amdhsa_user_sgpr_dispatch_id 0
		.amdhsa_user_sgpr_kernarg_preload_length 0
		.amdhsa_user_sgpr_kernarg_preload_offset 0
		.amdhsa_user_sgpr_private_segment_size 0
		.amdhsa_wavefront_size32 1
		.amdhsa_uses_dynamic_stack 0
		.amdhsa_enable_private_segment 0
		.amdhsa_system_sgpr_workgroup_id_x 1
		.amdhsa_system_sgpr_workgroup_id_y 0
		.amdhsa_system_sgpr_workgroup_id_z 0
		.amdhsa_system_sgpr_workgroup_info 0
		.amdhsa_system_vgpr_workitem_id 0
		.amdhsa_next_free_vgpr 1
		.amdhsa_next_free_sgpr 1
		.amdhsa_named_barrier_count 0
		.amdhsa_reserve_vcc 0
		.amdhsa_float_round_mode_32 0
		.amdhsa_float_round_mode_16_64 0
		.amdhsa_float_denorm_mode_32 3
		.amdhsa_float_denorm_mode_16_64 3
		.amdhsa_fp16_overflow 0
		.amdhsa_memory_ordered 1
		.amdhsa_forward_progress 1
		.amdhsa_inst_pref_size 0
		.amdhsa_round_robin_scheduling 0
		.amdhsa_exception_fp_ieee_invalid_op 0
		.amdhsa_exception_fp_denorm_src 0
		.amdhsa_exception_fp_ieee_div_zero 0
		.amdhsa_exception_fp_ieee_overflow 0
		.amdhsa_exception_fp_ieee_underflow 0
		.amdhsa_exception_fp_ieee_inexact 0
		.amdhsa_exception_int_div_zero 0
	.end_amdhsa_kernel
	.section	.text._ZN7rocprim17ROCPRIM_400000_NS6detail17trampoline_kernelINS0_14default_configENS1_35radix_sort_onesweep_config_selectorIjN6thrust23THRUST_200600_302600_NS5tupleIffNS6_9null_typeES8_S8_S8_S8_S8_S8_S8_EEEEZZNS1_29radix_sort_onesweep_iterationIS3_Lb0ENS6_6detail15normal_iteratorINS6_10device_ptrIjEEEESG_NSD_INSE_IS9_EEEESI_jNS0_19identity_decomposerENS1_16block_id_wrapperIjLb0EEEEE10hipError_tT1_PNSt15iterator_traitsISN_E10value_typeET2_T3_PNSO_IST_E10value_typeET4_T5_PSY_SZ_PNS1_23onesweep_lookback_stateEbbT6_jjT7_P12ihipStream_tbENKUlT_T0_SN_SS_E_clIPjSG_PS9_SI_EEDaS16_S17_SN_SS_EUlS16_E_NS1_11comp_targetILNS1_3genE9ELNS1_11target_archE1100ELNS1_3gpuE3ELNS1_3repE0EEENS1_47radix_sort_onesweep_sort_config_static_selectorELNS0_4arch9wavefront6targetE0EEEvSN_,"axG",@progbits,_ZN7rocprim17ROCPRIM_400000_NS6detail17trampoline_kernelINS0_14default_configENS1_35radix_sort_onesweep_config_selectorIjN6thrust23THRUST_200600_302600_NS5tupleIffNS6_9null_typeES8_S8_S8_S8_S8_S8_S8_EEEEZZNS1_29radix_sort_onesweep_iterationIS3_Lb0ENS6_6detail15normal_iteratorINS6_10device_ptrIjEEEESG_NSD_INSE_IS9_EEEESI_jNS0_19identity_decomposerENS1_16block_id_wrapperIjLb0EEEEE10hipError_tT1_PNSt15iterator_traitsISN_E10value_typeET2_T3_PNSO_IST_E10value_typeET4_T5_PSY_SZ_PNS1_23onesweep_lookback_stateEbbT6_jjT7_P12ihipStream_tbENKUlT_T0_SN_SS_E_clIPjSG_PS9_SI_EEDaS16_S17_SN_SS_EUlS16_E_NS1_11comp_targetILNS1_3genE9ELNS1_11target_archE1100ELNS1_3gpuE3ELNS1_3repE0EEENS1_47radix_sort_onesweep_sort_config_static_selectorELNS0_4arch9wavefront6targetE0EEEvSN_,comdat
.Lfunc_end227:
	.size	_ZN7rocprim17ROCPRIM_400000_NS6detail17trampoline_kernelINS0_14default_configENS1_35radix_sort_onesweep_config_selectorIjN6thrust23THRUST_200600_302600_NS5tupleIffNS6_9null_typeES8_S8_S8_S8_S8_S8_S8_EEEEZZNS1_29radix_sort_onesweep_iterationIS3_Lb0ENS6_6detail15normal_iteratorINS6_10device_ptrIjEEEESG_NSD_INSE_IS9_EEEESI_jNS0_19identity_decomposerENS1_16block_id_wrapperIjLb0EEEEE10hipError_tT1_PNSt15iterator_traitsISN_E10value_typeET2_T3_PNSO_IST_E10value_typeET4_T5_PSY_SZ_PNS1_23onesweep_lookback_stateEbbT6_jjT7_P12ihipStream_tbENKUlT_T0_SN_SS_E_clIPjSG_PS9_SI_EEDaS16_S17_SN_SS_EUlS16_E_NS1_11comp_targetILNS1_3genE9ELNS1_11target_archE1100ELNS1_3gpuE3ELNS1_3repE0EEENS1_47radix_sort_onesweep_sort_config_static_selectorELNS0_4arch9wavefront6targetE0EEEvSN_, .Lfunc_end227-_ZN7rocprim17ROCPRIM_400000_NS6detail17trampoline_kernelINS0_14default_configENS1_35radix_sort_onesweep_config_selectorIjN6thrust23THRUST_200600_302600_NS5tupleIffNS6_9null_typeES8_S8_S8_S8_S8_S8_S8_EEEEZZNS1_29radix_sort_onesweep_iterationIS3_Lb0ENS6_6detail15normal_iteratorINS6_10device_ptrIjEEEESG_NSD_INSE_IS9_EEEESI_jNS0_19identity_decomposerENS1_16block_id_wrapperIjLb0EEEEE10hipError_tT1_PNSt15iterator_traitsISN_E10value_typeET2_T3_PNSO_IST_E10value_typeET4_T5_PSY_SZ_PNS1_23onesweep_lookback_stateEbbT6_jjT7_P12ihipStream_tbENKUlT_T0_SN_SS_E_clIPjSG_PS9_SI_EEDaS16_S17_SN_SS_EUlS16_E_NS1_11comp_targetILNS1_3genE9ELNS1_11target_archE1100ELNS1_3gpuE3ELNS1_3repE0EEENS1_47radix_sort_onesweep_sort_config_static_selectorELNS0_4arch9wavefront6targetE0EEEvSN_
                                        ; -- End function
	.set _ZN7rocprim17ROCPRIM_400000_NS6detail17trampoline_kernelINS0_14default_configENS1_35radix_sort_onesweep_config_selectorIjN6thrust23THRUST_200600_302600_NS5tupleIffNS6_9null_typeES8_S8_S8_S8_S8_S8_S8_EEEEZZNS1_29radix_sort_onesweep_iterationIS3_Lb0ENS6_6detail15normal_iteratorINS6_10device_ptrIjEEEESG_NSD_INSE_IS9_EEEESI_jNS0_19identity_decomposerENS1_16block_id_wrapperIjLb0EEEEE10hipError_tT1_PNSt15iterator_traitsISN_E10value_typeET2_T3_PNSO_IST_E10value_typeET4_T5_PSY_SZ_PNS1_23onesweep_lookback_stateEbbT6_jjT7_P12ihipStream_tbENKUlT_T0_SN_SS_E_clIPjSG_PS9_SI_EEDaS16_S17_SN_SS_EUlS16_E_NS1_11comp_targetILNS1_3genE9ELNS1_11target_archE1100ELNS1_3gpuE3ELNS1_3repE0EEENS1_47radix_sort_onesweep_sort_config_static_selectorELNS0_4arch9wavefront6targetE0EEEvSN_.num_vgpr, 0
	.set _ZN7rocprim17ROCPRIM_400000_NS6detail17trampoline_kernelINS0_14default_configENS1_35radix_sort_onesweep_config_selectorIjN6thrust23THRUST_200600_302600_NS5tupleIffNS6_9null_typeES8_S8_S8_S8_S8_S8_S8_EEEEZZNS1_29radix_sort_onesweep_iterationIS3_Lb0ENS6_6detail15normal_iteratorINS6_10device_ptrIjEEEESG_NSD_INSE_IS9_EEEESI_jNS0_19identity_decomposerENS1_16block_id_wrapperIjLb0EEEEE10hipError_tT1_PNSt15iterator_traitsISN_E10value_typeET2_T3_PNSO_IST_E10value_typeET4_T5_PSY_SZ_PNS1_23onesweep_lookback_stateEbbT6_jjT7_P12ihipStream_tbENKUlT_T0_SN_SS_E_clIPjSG_PS9_SI_EEDaS16_S17_SN_SS_EUlS16_E_NS1_11comp_targetILNS1_3genE9ELNS1_11target_archE1100ELNS1_3gpuE3ELNS1_3repE0EEENS1_47radix_sort_onesweep_sort_config_static_selectorELNS0_4arch9wavefront6targetE0EEEvSN_.num_agpr, 0
	.set _ZN7rocprim17ROCPRIM_400000_NS6detail17trampoline_kernelINS0_14default_configENS1_35radix_sort_onesweep_config_selectorIjN6thrust23THRUST_200600_302600_NS5tupleIffNS6_9null_typeES8_S8_S8_S8_S8_S8_S8_EEEEZZNS1_29radix_sort_onesweep_iterationIS3_Lb0ENS6_6detail15normal_iteratorINS6_10device_ptrIjEEEESG_NSD_INSE_IS9_EEEESI_jNS0_19identity_decomposerENS1_16block_id_wrapperIjLb0EEEEE10hipError_tT1_PNSt15iterator_traitsISN_E10value_typeET2_T3_PNSO_IST_E10value_typeET4_T5_PSY_SZ_PNS1_23onesweep_lookback_stateEbbT6_jjT7_P12ihipStream_tbENKUlT_T0_SN_SS_E_clIPjSG_PS9_SI_EEDaS16_S17_SN_SS_EUlS16_E_NS1_11comp_targetILNS1_3genE9ELNS1_11target_archE1100ELNS1_3gpuE3ELNS1_3repE0EEENS1_47radix_sort_onesweep_sort_config_static_selectorELNS0_4arch9wavefront6targetE0EEEvSN_.numbered_sgpr, 0
	.set _ZN7rocprim17ROCPRIM_400000_NS6detail17trampoline_kernelINS0_14default_configENS1_35radix_sort_onesweep_config_selectorIjN6thrust23THRUST_200600_302600_NS5tupleIffNS6_9null_typeES8_S8_S8_S8_S8_S8_S8_EEEEZZNS1_29radix_sort_onesweep_iterationIS3_Lb0ENS6_6detail15normal_iteratorINS6_10device_ptrIjEEEESG_NSD_INSE_IS9_EEEESI_jNS0_19identity_decomposerENS1_16block_id_wrapperIjLb0EEEEE10hipError_tT1_PNSt15iterator_traitsISN_E10value_typeET2_T3_PNSO_IST_E10value_typeET4_T5_PSY_SZ_PNS1_23onesweep_lookback_stateEbbT6_jjT7_P12ihipStream_tbENKUlT_T0_SN_SS_E_clIPjSG_PS9_SI_EEDaS16_S17_SN_SS_EUlS16_E_NS1_11comp_targetILNS1_3genE9ELNS1_11target_archE1100ELNS1_3gpuE3ELNS1_3repE0EEENS1_47radix_sort_onesweep_sort_config_static_selectorELNS0_4arch9wavefront6targetE0EEEvSN_.num_named_barrier, 0
	.set _ZN7rocprim17ROCPRIM_400000_NS6detail17trampoline_kernelINS0_14default_configENS1_35radix_sort_onesweep_config_selectorIjN6thrust23THRUST_200600_302600_NS5tupleIffNS6_9null_typeES8_S8_S8_S8_S8_S8_S8_EEEEZZNS1_29radix_sort_onesweep_iterationIS3_Lb0ENS6_6detail15normal_iteratorINS6_10device_ptrIjEEEESG_NSD_INSE_IS9_EEEESI_jNS0_19identity_decomposerENS1_16block_id_wrapperIjLb0EEEEE10hipError_tT1_PNSt15iterator_traitsISN_E10value_typeET2_T3_PNSO_IST_E10value_typeET4_T5_PSY_SZ_PNS1_23onesweep_lookback_stateEbbT6_jjT7_P12ihipStream_tbENKUlT_T0_SN_SS_E_clIPjSG_PS9_SI_EEDaS16_S17_SN_SS_EUlS16_E_NS1_11comp_targetILNS1_3genE9ELNS1_11target_archE1100ELNS1_3gpuE3ELNS1_3repE0EEENS1_47radix_sort_onesweep_sort_config_static_selectorELNS0_4arch9wavefront6targetE0EEEvSN_.private_seg_size, 0
	.set _ZN7rocprim17ROCPRIM_400000_NS6detail17trampoline_kernelINS0_14default_configENS1_35radix_sort_onesweep_config_selectorIjN6thrust23THRUST_200600_302600_NS5tupleIffNS6_9null_typeES8_S8_S8_S8_S8_S8_S8_EEEEZZNS1_29radix_sort_onesweep_iterationIS3_Lb0ENS6_6detail15normal_iteratorINS6_10device_ptrIjEEEESG_NSD_INSE_IS9_EEEESI_jNS0_19identity_decomposerENS1_16block_id_wrapperIjLb0EEEEE10hipError_tT1_PNSt15iterator_traitsISN_E10value_typeET2_T3_PNSO_IST_E10value_typeET4_T5_PSY_SZ_PNS1_23onesweep_lookback_stateEbbT6_jjT7_P12ihipStream_tbENKUlT_T0_SN_SS_E_clIPjSG_PS9_SI_EEDaS16_S17_SN_SS_EUlS16_E_NS1_11comp_targetILNS1_3genE9ELNS1_11target_archE1100ELNS1_3gpuE3ELNS1_3repE0EEENS1_47radix_sort_onesweep_sort_config_static_selectorELNS0_4arch9wavefront6targetE0EEEvSN_.uses_vcc, 0
	.set _ZN7rocprim17ROCPRIM_400000_NS6detail17trampoline_kernelINS0_14default_configENS1_35radix_sort_onesweep_config_selectorIjN6thrust23THRUST_200600_302600_NS5tupleIffNS6_9null_typeES8_S8_S8_S8_S8_S8_S8_EEEEZZNS1_29radix_sort_onesweep_iterationIS3_Lb0ENS6_6detail15normal_iteratorINS6_10device_ptrIjEEEESG_NSD_INSE_IS9_EEEESI_jNS0_19identity_decomposerENS1_16block_id_wrapperIjLb0EEEEE10hipError_tT1_PNSt15iterator_traitsISN_E10value_typeET2_T3_PNSO_IST_E10value_typeET4_T5_PSY_SZ_PNS1_23onesweep_lookback_stateEbbT6_jjT7_P12ihipStream_tbENKUlT_T0_SN_SS_E_clIPjSG_PS9_SI_EEDaS16_S17_SN_SS_EUlS16_E_NS1_11comp_targetILNS1_3genE9ELNS1_11target_archE1100ELNS1_3gpuE3ELNS1_3repE0EEENS1_47radix_sort_onesweep_sort_config_static_selectorELNS0_4arch9wavefront6targetE0EEEvSN_.uses_flat_scratch, 0
	.set _ZN7rocprim17ROCPRIM_400000_NS6detail17trampoline_kernelINS0_14default_configENS1_35radix_sort_onesweep_config_selectorIjN6thrust23THRUST_200600_302600_NS5tupleIffNS6_9null_typeES8_S8_S8_S8_S8_S8_S8_EEEEZZNS1_29radix_sort_onesweep_iterationIS3_Lb0ENS6_6detail15normal_iteratorINS6_10device_ptrIjEEEESG_NSD_INSE_IS9_EEEESI_jNS0_19identity_decomposerENS1_16block_id_wrapperIjLb0EEEEE10hipError_tT1_PNSt15iterator_traitsISN_E10value_typeET2_T3_PNSO_IST_E10value_typeET4_T5_PSY_SZ_PNS1_23onesweep_lookback_stateEbbT6_jjT7_P12ihipStream_tbENKUlT_T0_SN_SS_E_clIPjSG_PS9_SI_EEDaS16_S17_SN_SS_EUlS16_E_NS1_11comp_targetILNS1_3genE9ELNS1_11target_archE1100ELNS1_3gpuE3ELNS1_3repE0EEENS1_47radix_sort_onesweep_sort_config_static_selectorELNS0_4arch9wavefront6targetE0EEEvSN_.has_dyn_sized_stack, 0
	.set _ZN7rocprim17ROCPRIM_400000_NS6detail17trampoline_kernelINS0_14default_configENS1_35radix_sort_onesweep_config_selectorIjN6thrust23THRUST_200600_302600_NS5tupleIffNS6_9null_typeES8_S8_S8_S8_S8_S8_S8_EEEEZZNS1_29radix_sort_onesweep_iterationIS3_Lb0ENS6_6detail15normal_iteratorINS6_10device_ptrIjEEEESG_NSD_INSE_IS9_EEEESI_jNS0_19identity_decomposerENS1_16block_id_wrapperIjLb0EEEEE10hipError_tT1_PNSt15iterator_traitsISN_E10value_typeET2_T3_PNSO_IST_E10value_typeET4_T5_PSY_SZ_PNS1_23onesweep_lookback_stateEbbT6_jjT7_P12ihipStream_tbENKUlT_T0_SN_SS_E_clIPjSG_PS9_SI_EEDaS16_S17_SN_SS_EUlS16_E_NS1_11comp_targetILNS1_3genE9ELNS1_11target_archE1100ELNS1_3gpuE3ELNS1_3repE0EEENS1_47radix_sort_onesweep_sort_config_static_selectorELNS0_4arch9wavefront6targetE0EEEvSN_.has_recursion, 0
	.set _ZN7rocprim17ROCPRIM_400000_NS6detail17trampoline_kernelINS0_14default_configENS1_35radix_sort_onesweep_config_selectorIjN6thrust23THRUST_200600_302600_NS5tupleIffNS6_9null_typeES8_S8_S8_S8_S8_S8_S8_EEEEZZNS1_29radix_sort_onesweep_iterationIS3_Lb0ENS6_6detail15normal_iteratorINS6_10device_ptrIjEEEESG_NSD_INSE_IS9_EEEESI_jNS0_19identity_decomposerENS1_16block_id_wrapperIjLb0EEEEE10hipError_tT1_PNSt15iterator_traitsISN_E10value_typeET2_T3_PNSO_IST_E10value_typeET4_T5_PSY_SZ_PNS1_23onesweep_lookback_stateEbbT6_jjT7_P12ihipStream_tbENKUlT_T0_SN_SS_E_clIPjSG_PS9_SI_EEDaS16_S17_SN_SS_EUlS16_E_NS1_11comp_targetILNS1_3genE9ELNS1_11target_archE1100ELNS1_3gpuE3ELNS1_3repE0EEENS1_47radix_sort_onesweep_sort_config_static_selectorELNS0_4arch9wavefront6targetE0EEEvSN_.has_indirect_call, 0
	.section	.AMDGPU.csdata,"",@progbits
; Kernel info:
; codeLenInByte = 0
; TotalNumSgprs: 0
; NumVgprs: 0
; ScratchSize: 0
; MemoryBound: 0
; FloatMode: 240
; IeeeMode: 1
; LDSByteSize: 0 bytes/workgroup (compile time only)
; SGPRBlocks: 0
; VGPRBlocks: 0
; NumSGPRsForWavesPerEU: 1
; NumVGPRsForWavesPerEU: 1
; NamedBarCnt: 0
; Occupancy: 16
; WaveLimiterHint : 0
; COMPUTE_PGM_RSRC2:SCRATCH_EN: 0
; COMPUTE_PGM_RSRC2:USER_SGPR: 2
; COMPUTE_PGM_RSRC2:TRAP_HANDLER: 0
; COMPUTE_PGM_RSRC2:TGID_X_EN: 1
; COMPUTE_PGM_RSRC2:TGID_Y_EN: 0
; COMPUTE_PGM_RSRC2:TGID_Z_EN: 0
; COMPUTE_PGM_RSRC2:TIDIG_COMP_CNT: 0
	.section	.text._ZN7rocprim17ROCPRIM_400000_NS6detail17trampoline_kernelINS0_14default_configENS1_35radix_sort_onesweep_config_selectorIjN6thrust23THRUST_200600_302600_NS5tupleIffNS6_9null_typeES8_S8_S8_S8_S8_S8_S8_EEEEZZNS1_29radix_sort_onesweep_iterationIS3_Lb0ENS6_6detail15normal_iteratorINS6_10device_ptrIjEEEESG_NSD_INSE_IS9_EEEESI_jNS0_19identity_decomposerENS1_16block_id_wrapperIjLb0EEEEE10hipError_tT1_PNSt15iterator_traitsISN_E10value_typeET2_T3_PNSO_IST_E10value_typeET4_T5_PSY_SZ_PNS1_23onesweep_lookback_stateEbbT6_jjT7_P12ihipStream_tbENKUlT_T0_SN_SS_E_clIPjSG_PS9_SI_EEDaS16_S17_SN_SS_EUlS16_E_NS1_11comp_targetILNS1_3genE8ELNS1_11target_archE1030ELNS1_3gpuE2ELNS1_3repE0EEENS1_47radix_sort_onesweep_sort_config_static_selectorELNS0_4arch9wavefront6targetE0EEEvSN_,"axG",@progbits,_ZN7rocprim17ROCPRIM_400000_NS6detail17trampoline_kernelINS0_14default_configENS1_35radix_sort_onesweep_config_selectorIjN6thrust23THRUST_200600_302600_NS5tupleIffNS6_9null_typeES8_S8_S8_S8_S8_S8_S8_EEEEZZNS1_29radix_sort_onesweep_iterationIS3_Lb0ENS6_6detail15normal_iteratorINS6_10device_ptrIjEEEESG_NSD_INSE_IS9_EEEESI_jNS0_19identity_decomposerENS1_16block_id_wrapperIjLb0EEEEE10hipError_tT1_PNSt15iterator_traitsISN_E10value_typeET2_T3_PNSO_IST_E10value_typeET4_T5_PSY_SZ_PNS1_23onesweep_lookback_stateEbbT6_jjT7_P12ihipStream_tbENKUlT_T0_SN_SS_E_clIPjSG_PS9_SI_EEDaS16_S17_SN_SS_EUlS16_E_NS1_11comp_targetILNS1_3genE8ELNS1_11target_archE1030ELNS1_3gpuE2ELNS1_3repE0EEENS1_47radix_sort_onesweep_sort_config_static_selectorELNS0_4arch9wavefront6targetE0EEEvSN_,comdat
	.protected	_ZN7rocprim17ROCPRIM_400000_NS6detail17trampoline_kernelINS0_14default_configENS1_35radix_sort_onesweep_config_selectorIjN6thrust23THRUST_200600_302600_NS5tupleIffNS6_9null_typeES8_S8_S8_S8_S8_S8_S8_EEEEZZNS1_29radix_sort_onesweep_iterationIS3_Lb0ENS6_6detail15normal_iteratorINS6_10device_ptrIjEEEESG_NSD_INSE_IS9_EEEESI_jNS0_19identity_decomposerENS1_16block_id_wrapperIjLb0EEEEE10hipError_tT1_PNSt15iterator_traitsISN_E10value_typeET2_T3_PNSO_IST_E10value_typeET4_T5_PSY_SZ_PNS1_23onesweep_lookback_stateEbbT6_jjT7_P12ihipStream_tbENKUlT_T0_SN_SS_E_clIPjSG_PS9_SI_EEDaS16_S17_SN_SS_EUlS16_E_NS1_11comp_targetILNS1_3genE8ELNS1_11target_archE1030ELNS1_3gpuE2ELNS1_3repE0EEENS1_47radix_sort_onesweep_sort_config_static_selectorELNS0_4arch9wavefront6targetE0EEEvSN_ ; -- Begin function _ZN7rocprim17ROCPRIM_400000_NS6detail17trampoline_kernelINS0_14default_configENS1_35radix_sort_onesweep_config_selectorIjN6thrust23THRUST_200600_302600_NS5tupleIffNS6_9null_typeES8_S8_S8_S8_S8_S8_S8_EEEEZZNS1_29radix_sort_onesweep_iterationIS3_Lb0ENS6_6detail15normal_iteratorINS6_10device_ptrIjEEEESG_NSD_INSE_IS9_EEEESI_jNS0_19identity_decomposerENS1_16block_id_wrapperIjLb0EEEEE10hipError_tT1_PNSt15iterator_traitsISN_E10value_typeET2_T3_PNSO_IST_E10value_typeET4_T5_PSY_SZ_PNS1_23onesweep_lookback_stateEbbT6_jjT7_P12ihipStream_tbENKUlT_T0_SN_SS_E_clIPjSG_PS9_SI_EEDaS16_S17_SN_SS_EUlS16_E_NS1_11comp_targetILNS1_3genE8ELNS1_11target_archE1030ELNS1_3gpuE2ELNS1_3repE0EEENS1_47radix_sort_onesweep_sort_config_static_selectorELNS0_4arch9wavefront6targetE0EEEvSN_
	.globl	_ZN7rocprim17ROCPRIM_400000_NS6detail17trampoline_kernelINS0_14default_configENS1_35radix_sort_onesweep_config_selectorIjN6thrust23THRUST_200600_302600_NS5tupleIffNS6_9null_typeES8_S8_S8_S8_S8_S8_S8_EEEEZZNS1_29radix_sort_onesweep_iterationIS3_Lb0ENS6_6detail15normal_iteratorINS6_10device_ptrIjEEEESG_NSD_INSE_IS9_EEEESI_jNS0_19identity_decomposerENS1_16block_id_wrapperIjLb0EEEEE10hipError_tT1_PNSt15iterator_traitsISN_E10value_typeET2_T3_PNSO_IST_E10value_typeET4_T5_PSY_SZ_PNS1_23onesweep_lookback_stateEbbT6_jjT7_P12ihipStream_tbENKUlT_T0_SN_SS_E_clIPjSG_PS9_SI_EEDaS16_S17_SN_SS_EUlS16_E_NS1_11comp_targetILNS1_3genE8ELNS1_11target_archE1030ELNS1_3gpuE2ELNS1_3repE0EEENS1_47radix_sort_onesweep_sort_config_static_selectorELNS0_4arch9wavefront6targetE0EEEvSN_
	.p2align	8
	.type	_ZN7rocprim17ROCPRIM_400000_NS6detail17trampoline_kernelINS0_14default_configENS1_35radix_sort_onesweep_config_selectorIjN6thrust23THRUST_200600_302600_NS5tupleIffNS6_9null_typeES8_S8_S8_S8_S8_S8_S8_EEEEZZNS1_29radix_sort_onesweep_iterationIS3_Lb0ENS6_6detail15normal_iteratorINS6_10device_ptrIjEEEESG_NSD_INSE_IS9_EEEESI_jNS0_19identity_decomposerENS1_16block_id_wrapperIjLb0EEEEE10hipError_tT1_PNSt15iterator_traitsISN_E10value_typeET2_T3_PNSO_IST_E10value_typeET4_T5_PSY_SZ_PNS1_23onesweep_lookback_stateEbbT6_jjT7_P12ihipStream_tbENKUlT_T0_SN_SS_E_clIPjSG_PS9_SI_EEDaS16_S17_SN_SS_EUlS16_E_NS1_11comp_targetILNS1_3genE8ELNS1_11target_archE1030ELNS1_3gpuE2ELNS1_3repE0EEENS1_47radix_sort_onesweep_sort_config_static_selectorELNS0_4arch9wavefront6targetE0EEEvSN_,@function
_ZN7rocprim17ROCPRIM_400000_NS6detail17trampoline_kernelINS0_14default_configENS1_35radix_sort_onesweep_config_selectorIjN6thrust23THRUST_200600_302600_NS5tupleIffNS6_9null_typeES8_S8_S8_S8_S8_S8_S8_EEEEZZNS1_29radix_sort_onesweep_iterationIS3_Lb0ENS6_6detail15normal_iteratorINS6_10device_ptrIjEEEESG_NSD_INSE_IS9_EEEESI_jNS0_19identity_decomposerENS1_16block_id_wrapperIjLb0EEEEE10hipError_tT1_PNSt15iterator_traitsISN_E10value_typeET2_T3_PNSO_IST_E10value_typeET4_T5_PSY_SZ_PNS1_23onesweep_lookback_stateEbbT6_jjT7_P12ihipStream_tbENKUlT_T0_SN_SS_E_clIPjSG_PS9_SI_EEDaS16_S17_SN_SS_EUlS16_E_NS1_11comp_targetILNS1_3genE8ELNS1_11target_archE1030ELNS1_3gpuE2ELNS1_3repE0EEENS1_47radix_sort_onesweep_sort_config_static_selectorELNS0_4arch9wavefront6targetE0EEEvSN_: ; @_ZN7rocprim17ROCPRIM_400000_NS6detail17trampoline_kernelINS0_14default_configENS1_35radix_sort_onesweep_config_selectorIjN6thrust23THRUST_200600_302600_NS5tupleIffNS6_9null_typeES8_S8_S8_S8_S8_S8_S8_EEEEZZNS1_29radix_sort_onesweep_iterationIS3_Lb0ENS6_6detail15normal_iteratorINS6_10device_ptrIjEEEESG_NSD_INSE_IS9_EEEESI_jNS0_19identity_decomposerENS1_16block_id_wrapperIjLb0EEEEE10hipError_tT1_PNSt15iterator_traitsISN_E10value_typeET2_T3_PNSO_IST_E10value_typeET4_T5_PSY_SZ_PNS1_23onesweep_lookback_stateEbbT6_jjT7_P12ihipStream_tbENKUlT_T0_SN_SS_E_clIPjSG_PS9_SI_EEDaS16_S17_SN_SS_EUlS16_E_NS1_11comp_targetILNS1_3genE8ELNS1_11target_archE1030ELNS1_3gpuE2ELNS1_3repE0EEENS1_47radix_sort_onesweep_sort_config_static_selectorELNS0_4arch9wavefront6targetE0EEEvSN_
; %bb.0:
	.section	.rodata,"a",@progbits
	.p2align	6, 0x0
	.amdhsa_kernel _ZN7rocprim17ROCPRIM_400000_NS6detail17trampoline_kernelINS0_14default_configENS1_35radix_sort_onesweep_config_selectorIjN6thrust23THRUST_200600_302600_NS5tupleIffNS6_9null_typeES8_S8_S8_S8_S8_S8_S8_EEEEZZNS1_29radix_sort_onesweep_iterationIS3_Lb0ENS6_6detail15normal_iteratorINS6_10device_ptrIjEEEESG_NSD_INSE_IS9_EEEESI_jNS0_19identity_decomposerENS1_16block_id_wrapperIjLb0EEEEE10hipError_tT1_PNSt15iterator_traitsISN_E10value_typeET2_T3_PNSO_IST_E10value_typeET4_T5_PSY_SZ_PNS1_23onesweep_lookback_stateEbbT6_jjT7_P12ihipStream_tbENKUlT_T0_SN_SS_E_clIPjSG_PS9_SI_EEDaS16_S17_SN_SS_EUlS16_E_NS1_11comp_targetILNS1_3genE8ELNS1_11target_archE1030ELNS1_3gpuE2ELNS1_3repE0EEENS1_47radix_sort_onesweep_sort_config_static_selectorELNS0_4arch9wavefront6targetE0EEEvSN_
		.amdhsa_group_segment_fixed_size 0
		.amdhsa_private_segment_fixed_size 0
		.amdhsa_kernarg_size 88
		.amdhsa_user_sgpr_count 2
		.amdhsa_user_sgpr_dispatch_ptr 0
		.amdhsa_user_sgpr_queue_ptr 0
		.amdhsa_user_sgpr_kernarg_segment_ptr 1
		.amdhsa_user_sgpr_dispatch_id 0
		.amdhsa_user_sgpr_kernarg_preload_length 0
		.amdhsa_user_sgpr_kernarg_preload_offset 0
		.amdhsa_user_sgpr_private_segment_size 0
		.amdhsa_wavefront_size32 1
		.amdhsa_uses_dynamic_stack 0
		.amdhsa_enable_private_segment 0
		.amdhsa_system_sgpr_workgroup_id_x 1
		.amdhsa_system_sgpr_workgroup_id_y 0
		.amdhsa_system_sgpr_workgroup_id_z 0
		.amdhsa_system_sgpr_workgroup_info 0
		.amdhsa_system_vgpr_workitem_id 0
		.amdhsa_next_free_vgpr 1
		.amdhsa_next_free_sgpr 1
		.amdhsa_named_barrier_count 0
		.amdhsa_reserve_vcc 0
		.amdhsa_float_round_mode_32 0
		.amdhsa_float_round_mode_16_64 0
		.amdhsa_float_denorm_mode_32 3
		.amdhsa_float_denorm_mode_16_64 3
		.amdhsa_fp16_overflow 0
		.amdhsa_memory_ordered 1
		.amdhsa_forward_progress 1
		.amdhsa_inst_pref_size 0
		.amdhsa_round_robin_scheduling 0
		.amdhsa_exception_fp_ieee_invalid_op 0
		.amdhsa_exception_fp_denorm_src 0
		.amdhsa_exception_fp_ieee_div_zero 0
		.amdhsa_exception_fp_ieee_overflow 0
		.amdhsa_exception_fp_ieee_underflow 0
		.amdhsa_exception_fp_ieee_inexact 0
		.amdhsa_exception_int_div_zero 0
	.end_amdhsa_kernel
	.section	.text._ZN7rocprim17ROCPRIM_400000_NS6detail17trampoline_kernelINS0_14default_configENS1_35radix_sort_onesweep_config_selectorIjN6thrust23THRUST_200600_302600_NS5tupleIffNS6_9null_typeES8_S8_S8_S8_S8_S8_S8_EEEEZZNS1_29radix_sort_onesweep_iterationIS3_Lb0ENS6_6detail15normal_iteratorINS6_10device_ptrIjEEEESG_NSD_INSE_IS9_EEEESI_jNS0_19identity_decomposerENS1_16block_id_wrapperIjLb0EEEEE10hipError_tT1_PNSt15iterator_traitsISN_E10value_typeET2_T3_PNSO_IST_E10value_typeET4_T5_PSY_SZ_PNS1_23onesweep_lookback_stateEbbT6_jjT7_P12ihipStream_tbENKUlT_T0_SN_SS_E_clIPjSG_PS9_SI_EEDaS16_S17_SN_SS_EUlS16_E_NS1_11comp_targetILNS1_3genE8ELNS1_11target_archE1030ELNS1_3gpuE2ELNS1_3repE0EEENS1_47radix_sort_onesweep_sort_config_static_selectorELNS0_4arch9wavefront6targetE0EEEvSN_,"axG",@progbits,_ZN7rocprim17ROCPRIM_400000_NS6detail17trampoline_kernelINS0_14default_configENS1_35radix_sort_onesweep_config_selectorIjN6thrust23THRUST_200600_302600_NS5tupleIffNS6_9null_typeES8_S8_S8_S8_S8_S8_S8_EEEEZZNS1_29radix_sort_onesweep_iterationIS3_Lb0ENS6_6detail15normal_iteratorINS6_10device_ptrIjEEEESG_NSD_INSE_IS9_EEEESI_jNS0_19identity_decomposerENS1_16block_id_wrapperIjLb0EEEEE10hipError_tT1_PNSt15iterator_traitsISN_E10value_typeET2_T3_PNSO_IST_E10value_typeET4_T5_PSY_SZ_PNS1_23onesweep_lookback_stateEbbT6_jjT7_P12ihipStream_tbENKUlT_T0_SN_SS_E_clIPjSG_PS9_SI_EEDaS16_S17_SN_SS_EUlS16_E_NS1_11comp_targetILNS1_3genE8ELNS1_11target_archE1030ELNS1_3gpuE2ELNS1_3repE0EEENS1_47radix_sort_onesweep_sort_config_static_selectorELNS0_4arch9wavefront6targetE0EEEvSN_,comdat
.Lfunc_end228:
	.size	_ZN7rocprim17ROCPRIM_400000_NS6detail17trampoline_kernelINS0_14default_configENS1_35radix_sort_onesweep_config_selectorIjN6thrust23THRUST_200600_302600_NS5tupleIffNS6_9null_typeES8_S8_S8_S8_S8_S8_S8_EEEEZZNS1_29radix_sort_onesweep_iterationIS3_Lb0ENS6_6detail15normal_iteratorINS6_10device_ptrIjEEEESG_NSD_INSE_IS9_EEEESI_jNS0_19identity_decomposerENS1_16block_id_wrapperIjLb0EEEEE10hipError_tT1_PNSt15iterator_traitsISN_E10value_typeET2_T3_PNSO_IST_E10value_typeET4_T5_PSY_SZ_PNS1_23onesweep_lookback_stateEbbT6_jjT7_P12ihipStream_tbENKUlT_T0_SN_SS_E_clIPjSG_PS9_SI_EEDaS16_S17_SN_SS_EUlS16_E_NS1_11comp_targetILNS1_3genE8ELNS1_11target_archE1030ELNS1_3gpuE2ELNS1_3repE0EEENS1_47radix_sort_onesweep_sort_config_static_selectorELNS0_4arch9wavefront6targetE0EEEvSN_, .Lfunc_end228-_ZN7rocprim17ROCPRIM_400000_NS6detail17trampoline_kernelINS0_14default_configENS1_35radix_sort_onesweep_config_selectorIjN6thrust23THRUST_200600_302600_NS5tupleIffNS6_9null_typeES8_S8_S8_S8_S8_S8_S8_EEEEZZNS1_29radix_sort_onesweep_iterationIS3_Lb0ENS6_6detail15normal_iteratorINS6_10device_ptrIjEEEESG_NSD_INSE_IS9_EEEESI_jNS0_19identity_decomposerENS1_16block_id_wrapperIjLb0EEEEE10hipError_tT1_PNSt15iterator_traitsISN_E10value_typeET2_T3_PNSO_IST_E10value_typeET4_T5_PSY_SZ_PNS1_23onesweep_lookback_stateEbbT6_jjT7_P12ihipStream_tbENKUlT_T0_SN_SS_E_clIPjSG_PS9_SI_EEDaS16_S17_SN_SS_EUlS16_E_NS1_11comp_targetILNS1_3genE8ELNS1_11target_archE1030ELNS1_3gpuE2ELNS1_3repE0EEENS1_47radix_sort_onesweep_sort_config_static_selectorELNS0_4arch9wavefront6targetE0EEEvSN_
                                        ; -- End function
	.set _ZN7rocprim17ROCPRIM_400000_NS6detail17trampoline_kernelINS0_14default_configENS1_35radix_sort_onesweep_config_selectorIjN6thrust23THRUST_200600_302600_NS5tupleIffNS6_9null_typeES8_S8_S8_S8_S8_S8_S8_EEEEZZNS1_29radix_sort_onesweep_iterationIS3_Lb0ENS6_6detail15normal_iteratorINS6_10device_ptrIjEEEESG_NSD_INSE_IS9_EEEESI_jNS0_19identity_decomposerENS1_16block_id_wrapperIjLb0EEEEE10hipError_tT1_PNSt15iterator_traitsISN_E10value_typeET2_T3_PNSO_IST_E10value_typeET4_T5_PSY_SZ_PNS1_23onesweep_lookback_stateEbbT6_jjT7_P12ihipStream_tbENKUlT_T0_SN_SS_E_clIPjSG_PS9_SI_EEDaS16_S17_SN_SS_EUlS16_E_NS1_11comp_targetILNS1_3genE8ELNS1_11target_archE1030ELNS1_3gpuE2ELNS1_3repE0EEENS1_47radix_sort_onesweep_sort_config_static_selectorELNS0_4arch9wavefront6targetE0EEEvSN_.num_vgpr, 0
	.set _ZN7rocprim17ROCPRIM_400000_NS6detail17trampoline_kernelINS0_14default_configENS1_35radix_sort_onesweep_config_selectorIjN6thrust23THRUST_200600_302600_NS5tupleIffNS6_9null_typeES8_S8_S8_S8_S8_S8_S8_EEEEZZNS1_29radix_sort_onesweep_iterationIS3_Lb0ENS6_6detail15normal_iteratorINS6_10device_ptrIjEEEESG_NSD_INSE_IS9_EEEESI_jNS0_19identity_decomposerENS1_16block_id_wrapperIjLb0EEEEE10hipError_tT1_PNSt15iterator_traitsISN_E10value_typeET2_T3_PNSO_IST_E10value_typeET4_T5_PSY_SZ_PNS1_23onesweep_lookback_stateEbbT6_jjT7_P12ihipStream_tbENKUlT_T0_SN_SS_E_clIPjSG_PS9_SI_EEDaS16_S17_SN_SS_EUlS16_E_NS1_11comp_targetILNS1_3genE8ELNS1_11target_archE1030ELNS1_3gpuE2ELNS1_3repE0EEENS1_47radix_sort_onesweep_sort_config_static_selectorELNS0_4arch9wavefront6targetE0EEEvSN_.num_agpr, 0
	.set _ZN7rocprim17ROCPRIM_400000_NS6detail17trampoline_kernelINS0_14default_configENS1_35radix_sort_onesweep_config_selectorIjN6thrust23THRUST_200600_302600_NS5tupleIffNS6_9null_typeES8_S8_S8_S8_S8_S8_S8_EEEEZZNS1_29radix_sort_onesweep_iterationIS3_Lb0ENS6_6detail15normal_iteratorINS6_10device_ptrIjEEEESG_NSD_INSE_IS9_EEEESI_jNS0_19identity_decomposerENS1_16block_id_wrapperIjLb0EEEEE10hipError_tT1_PNSt15iterator_traitsISN_E10value_typeET2_T3_PNSO_IST_E10value_typeET4_T5_PSY_SZ_PNS1_23onesweep_lookback_stateEbbT6_jjT7_P12ihipStream_tbENKUlT_T0_SN_SS_E_clIPjSG_PS9_SI_EEDaS16_S17_SN_SS_EUlS16_E_NS1_11comp_targetILNS1_3genE8ELNS1_11target_archE1030ELNS1_3gpuE2ELNS1_3repE0EEENS1_47radix_sort_onesweep_sort_config_static_selectorELNS0_4arch9wavefront6targetE0EEEvSN_.numbered_sgpr, 0
	.set _ZN7rocprim17ROCPRIM_400000_NS6detail17trampoline_kernelINS0_14default_configENS1_35radix_sort_onesweep_config_selectorIjN6thrust23THRUST_200600_302600_NS5tupleIffNS6_9null_typeES8_S8_S8_S8_S8_S8_S8_EEEEZZNS1_29radix_sort_onesweep_iterationIS3_Lb0ENS6_6detail15normal_iteratorINS6_10device_ptrIjEEEESG_NSD_INSE_IS9_EEEESI_jNS0_19identity_decomposerENS1_16block_id_wrapperIjLb0EEEEE10hipError_tT1_PNSt15iterator_traitsISN_E10value_typeET2_T3_PNSO_IST_E10value_typeET4_T5_PSY_SZ_PNS1_23onesweep_lookback_stateEbbT6_jjT7_P12ihipStream_tbENKUlT_T0_SN_SS_E_clIPjSG_PS9_SI_EEDaS16_S17_SN_SS_EUlS16_E_NS1_11comp_targetILNS1_3genE8ELNS1_11target_archE1030ELNS1_3gpuE2ELNS1_3repE0EEENS1_47radix_sort_onesweep_sort_config_static_selectorELNS0_4arch9wavefront6targetE0EEEvSN_.num_named_barrier, 0
	.set _ZN7rocprim17ROCPRIM_400000_NS6detail17trampoline_kernelINS0_14default_configENS1_35radix_sort_onesweep_config_selectorIjN6thrust23THRUST_200600_302600_NS5tupleIffNS6_9null_typeES8_S8_S8_S8_S8_S8_S8_EEEEZZNS1_29radix_sort_onesweep_iterationIS3_Lb0ENS6_6detail15normal_iteratorINS6_10device_ptrIjEEEESG_NSD_INSE_IS9_EEEESI_jNS0_19identity_decomposerENS1_16block_id_wrapperIjLb0EEEEE10hipError_tT1_PNSt15iterator_traitsISN_E10value_typeET2_T3_PNSO_IST_E10value_typeET4_T5_PSY_SZ_PNS1_23onesweep_lookback_stateEbbT6_jjT7_P12ihipStream_tbENKUlT_T0_SN_SS_E_clIPjSG_PS9_SI_EEDaS16_S17_SN_SS_EUlS16_E_NS1_11comp_targetILNS1_3genE8ELNS1_11target_archE1030ELNS1_3gpuE2ELNS1_3repE0EEENS1_47radix_sort_onesweep_sort_config_static_selectorELNS0_4arch9wavefront6targetE0EEEvSN_.private_seg_size, 0
	.set _ZN7rocprim17ROCPRIM_400000_NS6detail17trampoline_kernelINS0_14default_configENS1_35radix_sort_onesweep_config_selectorIjN6thrust23THRUST_200600_302600_NS5tupleIffNS6_9null_typeES8_S8_S8_S8_S8_S8_S8_EEEEZZNS1_29radix_sort_onesweep_iterationIS3_Lb0ENS6_6detail15normal_iteratorINS6_10device_ptrIjEEEESG_NSD_INSE_IS9_EEEESI_jNS0_19identity_decomposerENS1_16block_id_wrapperIjLb0EEEEE10hipError_tT1_PNSt15iterator_traitsISN_E10value_typeET2_T3_PNSO_IST_E10value_typeET4_T5_PSY_SZ_PNS1_23onesweep_lookback_stateEbbT6_jjT7_P12ihipStream_tbENKUlT_T0_SN_SS_E_clIPjSG_PS9_SI_EEDaS16_S17_SN_SS_EUlS16_E_NS1_11comp_targetILNS1_3genE8ELNS1_11target_archE1030ELNS1_3gpuE2ELNS1_3repE0EEENS1_47radix_sort_onesweep_sort_config_static_selectorELNS0_4arch9wavefront6targetE0EEEvSN_.uses_vcc, 0
	.set _ZN7rocprim17ROCPRIM_400000_NS6detail17trampoline_kernelINS0_14default_configENS1_35radix_sort_onesweep_config_selectorIjN6thrust23THRUST_200600_302600_NS5tupleIffNS6_9null_typeES8_S8_S8_S8_S8_S8_S8_EEEEZZNS1_29radix_sort_onesweep_iterationIS3_Lb0ENS6_6detail15normal_iteratorINS6_10device_ptrIjEEEESG_NSD_INSE_IS9_EEEESI_jNS0_19identity_decomposerENS1_16block_id_wrapperIjLb0EEEEE10hipError_tT1_PNSt15iterator_traitsISN_E10value_typeET2_T3_PNSO_IST_E10value_typeET4_T5_PSY_SZ_PNS1_23onesweep_lookback_stateEbbT6_jjT7_P12ihipStream_tbENKUlT_T0_SN_SS_E_clIPjSG_PS9_SI_EEDaS16_S17_SN_SS_EUlS16_E_NS1_11comp_targetILNS1_3genE8ELNS1_11target_archE1030ELNS1_3gpuE2ELNS1_3repE0EEENS1_47radix_sort_onesweep_sort_config_static_selectorELNS0_4arch9wavefront6targetE0EEEvSN_.uses_flat_scratch, 0
	.set _ZN7rocprim17ROCPRIM_400000_NS6detail17trampoline_kernelINS0_14default_configENS1_35radix_sort_onesweep_config_selectorIjN6thrust23THRUST_200600_302600_NS5tupleIffNS6_9null_typeES8_S8_S8_S8_S8_S8_S8_EEEEZZNS1_29radix_sort_onesweep_iterationIS3_Lb0ENS6_6detail15normal_iteratorINS6_10device_ptrIjEEEESG_NSD_INSE_IS9_EEEESI_jNS0_19identity_decomposerENS1_16block_id_wrapperIjLb0EEEEE10hipError_tT1_PNSt15iterator_traitsISN_E10value_typeET2_T3_PNSO_IST_E10value_typeET4_T5_PSY_SZ_PNS1_23onesweep_lookback_stateEbbT6_jjT7_P12ihipStream_tbENKUlT_T0_SN_SS_E_clIPjSG_PS9_SI_EEDaS16_S17_SN_SS_EUlS16_E_NS1_11comp_targetILNS1_3genE8ELNS1_11target_archE1030ELNS1_3gpuE2ELNS1_3repE0EEENS1_47radix_sort_onesweep_sort_config_static_selectorELNS0_4arch9wavefront6targetE0EEEvSN_.has_dyn_sized_stack, 0
	.set _ZN7rocprim17ROCPRIM_400000_NS6detail17trampoline_kernelINS0_14default_configENS1_35radix_sort_onesweep_config_selectorIjN6thrust23THRUST_200600_302600_NS5tupleIffNS6_9null_typeES8_S8_S8_S8_S8_S8_S8_EEEEZZNS1_29radix_sort_onesweep_iterationIS3_Lb0ENS6_6detail15normal_iteratorINS6_10device_ptrIjEEEESG_NSD_INSE_IS9_EEEESI_jNS0_19identity_decomposerENS1_16block_id_wrapperIjLb0EEEEE10hipError_tT1_PNSt15iterator_traitsISN_E10value_typeET2_T3_PNSO_IST_E10value_typeET4_T5_PSY_SZ_PNS1_23onesweep_lookback_stateEbbT6_jjT7_P12ihipStream_tbENKUlT_T0_SN_SS_E_clIPjSG_PS9_SI_EEDaS16_S17_SN_SS_EUlS16_E_NS1_11comp_targetILNS1_3genE8ELNS1_11target_archE1030ELNS1_3gpuE2ELNS1_3repE0EEENS1_47radix_sort_onesweep_sort_config_static_selectorELNS0_4arch9wavefront6targetE0EEEvSN_.has_recursion, 0
	.set _ZN7rocprim17ROCPRIM_400000_NS6detail17trampoline_kernelINS0_14default_configENS1_35radix_sort_onesweep_config_selectorIjN6thrust23THRUST_200600_302600_NS5tupleIffNS6_9null_typeES8_S8_S8_S8_S8_S8_S8_EEEEZZNS1_29radix_sort_onesweep_iterationIS3_Lb0ENS6_6detail15normal_iteratorINS6_10device_ptrIjEEEESG_NSD_INSE_IS9_EEEESI_jNS0_19identity_decomposerENS1_16block_id_wrapperIjLb0EEEEE10hipError_tT1_PNSt15iterator_traitsISN_E10value_typeET2_T3_PNSO_IST_E10value_typeET4_T5_PSY_SZ_PNS1_23onesweep_lookback_stateEbbT6_jjT7_P12ihipStream_tbENKUlT_T0_SN_SS_E_clIPjSG_PS9_SI_EEDaS16_S17_SN_SS_EUlS16_E_NS1_11comp_targetILNS1_3genE8ELNS1_11target_archE1030ELNS1_3gpuE2ELNS1_3repE0EEENS1_47radix_sort_onesweep_sort_config_static_selectorELNS0_4arch9wavefront6targetE0EEEvSN_.has_indirect_call, 0
	.section	.AMDGPU.csdata,"",@progbits
; Kernel info:
; codeLenInByte = 0
; TotalNumSgprs: 0
; NumVgprs: 0
; ScratchSize: 0
; MemoryBound: 0
; FloatMode: 240
; IeeeMode: 1
; LDSByteSize: 0 bytes/workgroup (compile time only)
; SGPRBlocks: 0
; VGPRBlocks: 0
; NumSGPRsForWavesPerEU: 1
; NumVGPRsForWavesPerEU: 1
; NamedBarCnt: 0
; Occupancy: 16
; WaveLimiterHint : 0
; COMPUTE_PGM_RSRC2:SCRATCH_EN: 0
; COMPUTE_PGM_RSRC2:USER_SGPR: 2
; COMPUTE_PGM_RSRC2:TRAP_HANDLER: 0
; COMPUTE_PGM_RSRC2:TGID_X_EN: 1
; COMPUTE_PGM_RSRC2:TGID_Y_EN: 0
; COMPUTE_PGM_RSRC2:TGID_Z_EN: 0
; COMPUTE_PGM_RSRC2:TIDIG_COMP_CNT: 0
	.section	.text._ZN6thrust23THRUST_200600_302600_NS11hip_rocprim14__parallel_for6kernelILj256ENS1_11__transform17unary_transform_fINS0_10device_ptrINS0_5tupleIffNS0_9null_typeES8_S8_S8_S8_S8_S8_S8_EEEESA_NS4_14no_stencil_tagENS0_8identityIS9_EENS4_21always_true_predicateEEElLj1EEEvT0_T1_SH_,"axG",@progbits,_ZN6thrust23THRUST_200600_302600_NS11hip_rocprim14__parallel_for6kernelILj256ENS1_11__transform17unary_transform_fINS0_10device_ptrINS0_5tupleIffNS0_9null_typeES8_S8_S8_S8_S8_S8_S8_EEEESA_NS4_14no_stencil_tagENS0_8identityIS9_EENS4_21always_true_predicateEEElLj1EEEvT0_T1_SH_,comdat
	.protected	_ZN6thrust23THRUST_200600_302600_NS11hip_rocprim14__parallel_for6kernelILj256ENS1_11__transform17unary_transform_fINS0_10device_ptrINS0_5tupleIffNS0_9null_typeES8_S8_S8_S8_S8_S8_S8_EEEESA_NS4_14no_stencil_tagENS0_8identityIS9_EENS4_21always_true_predicateEEElLj1EEEvT0_T1_SH_ ; -- Begin function _ZN6thrust23THRUST_200600_302600_NS11hip_rocprim14__parallel_for6kernelILj256ENS1_11__transform17unary_transform_fINS0_10device_ptrINS0_5tupleIffNS0_9null_typeES8_S8_S8_S8_S8_S8_S8_EEEESA_NS4_14no_stencil_tagENS0_8identityIS9_EENS4_21always_true_predicateEEElLj1EEEvT0_T1_SH_
	.globl	_ZN6thrust23THRUST_200600_302600_NS11hip_rocprim14__parallel_for6kernelILj256ENS1_11__transform17unary_transform_fINS0_10device_ptrINS0_5tupleIffNS0_9null_typeES8_S8_S8_S8_S8_S8_S8_EEEESA_NS4_14no_stencil_tagENS0_8identityIS9_EENS4_21always_true_predicateEEElLj1EEEvT0_T1_SH_
	.p2align	8
	.type	_ZN6thrust23THRUST_200600_302600_NS11hip_rocprim14__parallel_for6kernelILj256ENS1_11__transform17unary_transform_fINS0_10device_ptrINS0_5tupleIffNS0_9null_typeES8_S8_S8_S8_S8_S8_S8_EEEESA_NS4_14no_stencil_tagENS0_8identityIS9_EENS4_21always_true_predicateEEElLj1EEEvT0_T1_SH_,@function
_ZN6thrust23THRUST_200600_302600_NS11hip_rocprim14__parallel_for6kernelILj256ENS1_11__transform17unary_transform_fINS0_10device_ptrINS0_5tupleIffNS0_9null_typeES8_S8_S8_S8_S8_S8_S8_EEEESA_NS4_14no_stencil_tagENS0_8identityIS9_EENS4_21always_true_predicateEEElLj1EEEvT0_T1_SH_: ; @_ZN6thrust23THRUST_200600_302600_NS11hip_rocprim14__parallel_for6kernelILj256ENS1_11__transform17unary_transform_fINS0_10device_ptrINS0_5tupleIffNS0_9null_typeES8_S8_S8_S8_S8_S8_S8_EEEESA_NS4_14no_stencil_tagENS0_8identityIS9_EENS4_21always_true_predicateEEElLj1EEEvT0_T1_SH_
; %bb.0:
	s_load_b128 s[4:7], s[0:1], 0x18
	s_bfe_u32 s2, ttmp6, 0x4000c
	s_and_b32 s3, ttmp6, 15
	s_add_co_i32 s2, s2, 1
	s_getreg_b32 s8, hwreg(HW_REG_IB_STS2, 6, 4)
	s_mul_i32 s2, ttmp9, s2
	s_delay_alu instid0(SALU_CYCLE_1)
	s_add_co_i32 s3, s3, s2
	s_cmp_eq_u32 s8, 0
	s_cselect_b32 s2, ttmp9, s3
	s_mov_b32 s3, 0
	s_lshl_b32 s2, s2, 8
	s_wait_kmcnt 0x0
	s_add_nc_u64 s[2:3], s[6:7], s[2:3]
	s_delay_alu instid0(SALU_CYCLE_1) | instskip(NEXT) | instid1(SALU_CYCLE_1)
	s_sub_nc_u64 s[4:5], s[4:5], s[2:3]
	v_min_i64 v[2:3], 0x100, s[4:5]
	s_load_b128 s[4:7], s[0:1], 0x0
	s_wait_xcnt 0x0
	s_mov_b32 s0, -1
	s_delay_alu instid0(VALU_DEP_1)
	v_cmp_eq_u32_e32 vcc_lo, 0x100, v2
	s_cbranch_vccz .LBB229_3
; %bb.1:
	s_and_not1_b32 vcc_lo, exec_lo, s0
	s_cbranch_vccz .LBB229_6
.LBB229_2:
	s_endpgm
.LBB229_3:
	s_mov_b32 s0, exec_lo
	v_cmpx_lt_u32_e64 v0, v2
	s_cbranch_execz .LBB229_5
; %bb.4:
	v_mov_b32_e32 v1, 0
	s_delay_alu instid0(VALU_DEP_1) | instskip(NEXT) | instid1(VALU_DEP_1)
	v_add_nc_u64_e32 v[2:3], s[2:3], v[0:1]
	v_lshlrev_b64_e32 v[2:3], 3, v[2:3]
	s_wait_kmcnt 0x0
	s_delay_alu instid0(VALU_DEP_1)
	v_add_nc_u64_e32 v[4:5], s[4:5], v[2:3]
	v_add_nc_u64_e32 v[2:3], s[6:7], v[2:3]
	flat_load_b64 v[4:5], v[4:5]
	s_wait_loadcnt_dscnt 0x0
	flat_store_b64 v[2:3], v[4:5]
.LBB229_5:
	s_wait_xcnt 0x0
	s_or_b32 exec_lo, exec_lo, s0
	s_cbranch_execnz .LBB229_2
.LBB229_6:
	v_mov_b32_e32 v1, 0
	s_delay_alu instid0(VALU_DEP_1) | instskip(NEXT) | instid1(VALU_DEP_1)
	v_add_nc_u64_e32 v[0:1], s[2:3], v[0:1]
	v_lshlrev_b64_e32 v[0:1], 3, v[0:1]
	s_wait_kmcnt 0x0
	s_delay_alu instid0(VALU_DEP_1)
	v_add_nc_u64_e32 v[2:3], s[4:5], v[0:1]
	v_add_nc_u64_e32 v[0:1], s[6:7], v[0:1]
	flat_load_b64 v[2:3], v[2:3]
	s_wait_loadcnt_dscnt 0x0
	flat_store_b64 v[0:1], v[2:3]
	s_endpgm
	.section	.rodata,"a",@progbits
	.p2align	6, 0x0
	.amdhsa_kernel _ZN6thrust23THRUST_200600_302600_NS11hip_rocprim14__parallel_for6kernelILj256ENS1_11__transform17unary_transform_fINS0_10device_ptrINS0_5tupleIffNS0_9null_typeES8_S8_S8_S8_S8_S8_S8_EEEESA_NS4_14no_stencil_tagENS0_8identityIS9_EENS4_21always_true_predicateEEElLj1EEEvT0_T1_SH_
		.amdhsa_group_segment_fixed_size 0
		.amdhsa_private_segment_fixed_size 0
		.amdhsa_kernarg_size 40
		.amdhsa_user_sgpr_count 2
		.amdhsa_user_sgpr_dispatch_ptr 0
		.amdhsa_user_sgpr_queue_ptr 0
		.amdhsa_user_sgpr_kernarg_segment_ptr 1
		.amdhsa_user_sgpr_dispatch_id 0
		.amdhsa_user_sgpr_kernarg_preload_length 0
		.amdhsa_user_sgpr_kernarg_preload_offset 0
		.amdhsa_user_sgpr_private_segment_size 0
		.amdhsa_wavefront_size32 1
		.amdhsa_uses_dynamic_stack 0
		.amdhsa_enable_private_segment 0
		.amdhsa_system_sgpr_workgroup_id_x 1
		.amdhsa_system_sgpr_workgroup_id_y 0
		.amdhsa_system_sgpr_workgroup_id_z 0
		.amdhsa_system_sgpr_workgroup_info 0
		.amdhsa_system_vgpr_workitem_id 0
		.amdhsa_next_free_vgpr 6
		.amdhsa_next_free_sgpr 9
		.amdhsa_named_barrier_count 0
		.amdhsa_reserve_vcc 1
		.amdhsa_float_round_mode_32 0
		.amdhsa_float_round_mode_16_64 0
		.amdhsa_float_denorm_mode_32 3
		.amdhsa_float_denorm_mode_16_64 3
		.amdhsa_fp16_overflow 0
		.amdhsa_memory_ordered 1
		.amdhsa_forward_progress 1
		.amdhsa_inst_pref_size 3
		.amdhsa_round_robin_scheduling 0
		.amdhsa_exception_fp_ieee_invalid_op 0
		.amdhsa_exception_fp_denorm_src 0
		.amdhsa_exception_fp_ieee_div_zero 0
		.amdhsa_exception_fp_ieee_overflow 0
		.amdhsa_exception_fp_ieee_underflow 0
		.amdhsa_exception_fp_ieee_inexact 0
		.amdhsa_exception_int_div_zero 0
	.end_amdhsa_kernel
	.section	.text._ZN6thrust23THRUST_200600_302600_NS11hip_rocprim14__parallel_for6kernelILj256ENS1_11__transform17unary_transform_fINS0_10device_ptrINS0_5tupleIffNS0_9null_typeES8_S8_S8_S8_S8_S8_S8_EEEESA_NS4_14no_stencil_tagENS0_8identityIS9_EENS4_21always_true_predicateEEElLj1EEEvT0_T1_SH_,"axG",@progbits,_ZN6thrust23THRUST_200600_302600_NS11hip_rocprim14__parallel_for6kernelILj256ENS1_11__transform17unary_transform_fINS0_10device_ptrINS0_5tupleIffNS0_9null_typeES8_S8_S8_S8_S8_S8_S8_EEEESA_NS4_14no_stencil_tagENS0_8identityIS9_EENS4_21always_true_predicateEEElLj1EEEvT0_T1_SH_,comdat
.Lfunc_end229:
	.size	_ZN6thrust23THRUST_200600_302600_NS11hip_rocprim14__parallel_for6kernelILj256ENS1_11__transform17unary_transform_fINS0_10device_ptrINS0_5tupleIffNS0_9null_typeES8_S8_S8_S8_S8_S8_S8_EEEESA_NS4_14no_stencil_tagENS0_8identityIS9_EENS4_21always_true_predicateEEElLj1EEEvT0_T1_SH_, .Lfunc_end229-_ZN6thrust23THRUST_200600_302600_NS11hip_rocprim14__parallel_for6kernelILj256ENS1_11__transform17unary_transform_fINS0_10device_ptrINS0_5tupleIffNS0_9null_typeES8_S8_S8_S8_S8_S8_S8_EEEESA_NS4_14no_stencil_tagENS0_8identityIS9_EENS4_21always_true_predicateEEElLj1EEEvT0_T1_SH_
                                        ; -- End function
	.set _ZN6thrust23THRUST_200600_302600_NS11hip_rocprim14__parallel_for6kernelILj256ENS1_11__transform17unary_transform_fINS0_10device_ptrINS0_5tupleIffNS0_9null_typeES8_S8_S8_S8_S8_S8_S8_EEEESA_NS4_14no_stencil_tagENS0_8identityIS9_EENS4_21always_true_predicateEEElLj1EEEvT0_T1_SH_.num_vgpr, 6
	.set _ZN6thrust23THRUST_200600_302600_NS11hip_rocprim14__parallel_for6kernelILj256ENS1_11__transform17unary_transform_fINS0_10device_ptrINS0_5tupleIffNS0_9null_typeES8_S8_S8_S8_S8_S8_S8_EEEESA_NS4_14no_stencil_tagENS0_8identityIS9_EENS4_21always_true_predicateEEElLj1EEEvT0_T1_SH_.num_agpr, 0
	.set _ZN6thrust23THRUST_200600_302600_NS11hip_rocprim14__parallel_for6kernelILj256ENS1_11__transform17unary_transform_fINS0_10device_ptrINS0_5tupleIffNS0_9null_typeES8_S8_S8_S8_S8_S8_S8_EEEESA_NS4_14no_stencil_tagENS0_8identityIS9_EENS4_21always_true_predicateEEElLj1EEEvT0_T1_SH_.numbered_sgpr, 9
	.set _ZN6thrust23THRUST_200600_302600_NS11hip_rocprim14__parallel_for6kernelILj256ENS1_11__transform17unary_transform_fINS0_10device_ptrINS0_5tupleIffNS0_9null_typeES8_S8_S8_S8_S8_S8_S8_EEEESA_NS4_14no_stencil_tagENS0_8identityIS9_EENS4_21always_true_predicateEEElLj1EEEvT0_T1_SH_.num_named_barrier, 0
	.set _ZN6thrust23THRUST_200600_302600_NS11hip_rocprim14__parallel_for6kernelILj256ENS1_11__transform17unary_transform_fINS0_10device_ptrINS0_5tupleIffNS0_9null_typeES8_S8_S8_S8_S8_S8_S8_EEEESA_NS4_14no_stencil_tagENS0_8identityIS9_EENS4_21always_true_predicateEEElLj1EEEvT0_T1_SH_.private_seg_size, 0
	.set _ZN6thrust23THRUST_200600_302600_NS11hip_rocprim14__parallel_for6kernelILj256ENS1_11__transform17unary_transform_fINS0_10device_ptrINS0_5tupleIffNS0_9null_typeES8_S8_S8_S8_S8_S8_S8_EEEESA_NS4_14no_stencil_tagENS0_8identityIS9_EENS4_21always_true_predicateEEElLj1EEEvT0_T1_SH_.uses_vcc, 1
	.set _ZN6thrust23THRUST_200600_302600_NS11hip_rocprim14__parallel_for6kernelILj256ENS1_11__transform17unary_transform_fINS0_10device_ptrINS0_5tupleIffNS0_9null_typeES8_S8_S8_S8_S8_S8_S8_EEEESA_NS4_14no_stencil_tagENS0_8identityIS9_EENS4_21always_true_predicateEEElLj1EEEvT0_T1_SH_.uses_flat_scratch, 0
	.set _ZN6thrust23THRUST_200600_302600_NS11hip_rocprim14__parallel_for6kernelILj256ENS1_11__transform17unary_transform_fINS0_10device_ptrINS0_5tupleIffNS0_9null_typeES8_S8_S8_S8_S8_S8_S8_EEEESA_NS4_14no_stencil_tagENS0_8identityIS9_EENS4_21always_true_predicateEEElLj1EEEvT0_T1_SH_.has_dyn_sized_stack, 0
	.set _ZN6thrust23THRUST_200600_302600_NS11hip_rocprim14__parallel_for6kernelILj256ENS1_11__transform17unary_transform_fINS0_10device_ptrINS0_5tupleIffNS0_9null_typeES8_S8_S8_S8_S8_S8_S8_EEEESA_NS4_14no_stencil_tagENS0_8identityIS9_EENS4_21always_true_predicateEEElLj1EEEvT0_T1_SH_.has_recursion, 0
	.set _ZN6thrust23THRUST_200600_302600_NS11hip_rocprim14__parallel_for6kernelILj256ENS1_11__transform17unary_transform_fINS0_10device_ptrINS0_5tupleIffNS0_9null_typeES8_S8_S8_S8_S8_S8_S8_EEEESA_NS4_14no_stencil_tagENS0_8identityIS9_EENS4_21always_true_predicateEEElLj1EEEvT0_T1_SH_.has_indirect_call, 0
	.section	.AMDGPU.csdata,"",@progbits
; Kernel info:
; codeLenInByte = 280
; TotalNumSgprs: 11
; NumVgprs: 6
; ScratchSize: 0
; MemoryBound: 0
; FloatMode: 240
; IeeeMode: 1
; LDSByteSize: 0 bytes/workgroup (compile time only)
; SGPRBlocks: 0
; VGPRBlocks: 0
; NumSGPRsForWavesPerEU: 11
; NumVGPRsForWavesPerEU: 6
; NamedBarCnt: 0
; Occupancy: 16
; WaveLimiterHint : 0
; COMPUTE_PGM_RSRC2:SCRATCH_EN: 0
; COMPUTE_PGM_RSRC2:USER_SGPR: 2
; COMPUTE_PGM_RSRC2:TRAP_HANDLER: 0
; COMPUTE_PGM_RSRC2:TGID_X_EN: 1
; COMPUTE_PGM_RSRC2:TGID_Y_EN: 0
; COMPUTE_PGM_RSRC2:TGID_Z_EN: 0
; COMPUTE_PGM_RSRC2:TIDIG_COMP_CNT: 0
	.section	.text._ZN7rocprim17ROCPRIM_400000_NS6detail17trampoline_kernelINS0_14default_configENS1_27lower_bound_config_selectorIjjEEZNS1_14transform_implILb0ES3_S5_N6thrust23THRUST_200600_302600_NS17counting_iteratorIjNS8_11use_defaultESA_SA_EENS8_6detail15normal_iteratorINS8_10device_ptrIjEEEEZNS1_13binary_searchIS3_S5_SG_SB_SG_NS1_21lower_bound_search_opENSC_16wrapped_functionINS0_4lessIvEEbEEEE10hipError_tPvRmT1_T2_T3_mmT4_T5_P12ihipStream_tbEUlRKjE_EESN_SR_SS_mST_SW_bEUlT_E_NS1_11comp_targetILNS1_3genE0ELNS1_11target_archE4294967295ELNS1_3gpuE0ELNS1_3repE0EEENS1_30default_config_static_selectorELNS0_4arch9wavefront6targetE0EEEvSQ_,"axG",@progbits,_ZN7rocprim17ROCPRIM_400000_NS6detail17trampoline_kernelINS0_14default_configENS1_27lower_bound_config_selectorIjjEEZNS1_14transform_implILb0ES3_S5_N6thrust23THRUST_200600_302600_NS17counting_iteratorIjNS8_11use_defaultESA_SA_EENS8_6detail15normal_iteratorINS8_10device_ptrIjEEEEZNS1_13binary_searchIS3_S5_SG_SB_SG_NS1_21lower_bound_search_opENSC_16wrapped_functionINS0_4lessIvEEbEEEE10hipError_tPvRmT1_T2_T3_mmT4_T5_P12ihipStream_tbEUlRKjE_EESN_SR_SS_mST_SW_bEUlT_E_NS1_11comp_targetILNS1_3genE0ELNS1_11target_archE4294967295ELNS1_3gpuE0ELNS1_3repE0EEENS1_30default_config_static_selectorELNS0_4arch9wavefront6targetE0EEEvSQ_,comdat
	.protected	_ZN7rocprim17ROCPRIM_400000_NS6detail17trampoline_kernelINS0_14default_configENS1_27lower_bound_config_selectorIjjEEZNS1_14transform_implILb0ES3_S5_N6thrust23THRUST_200600_302600_NS17counting_iteratorIjNS8_11use_defaultESA_SA_EENS8_6detail15normal_iteratorINS8_10device_ptrIjEEEEZNS1_13binary_searchIS3_S5_SG_SB_SG_NS1_21lower_bound_search_opENSC_16wrapped_functionINS0_4lessIvEEbEEEE10hipError_tPvRmT1_T2_T3_mmT4_T5_P12ihipStream_tbEUlRKjE_EESN_SR_SS_mST_SW_bEUlT_E_NS1_11comp_targetILNS1_3genE0ELNS1_11target_archE4294967295ELNS1_3gpuE0ELNS1_3repE0EEENS1_30default_config_static_selectorELNS0_4arch9wavefront6targetE0EEEvSQ_ ; -- Begin function _ZN7rocprim17ROCPRIM_400000_NS6detail17trampoline_kernelINS0_14default_configENS1_27lower_bound_config_selectorIjjEEZNS1_14transform_implILb0ES3_S5_N6thrust23THRUST_200600_302600_NS17counting_iteratorIjNS8_11use_defaultESA_SA_EENS8_6detail15normal_iteratorINS8_10device_ptrIjEEEEZNS1_13binary_searchIS3_S5_SG_SB_SG_NS1_21lower_bound_search_opENSC_16wrapped_functionINS0_4lessIvEEbEEEE10hipError_tPvRmT1_T2_T3_mmT4_T5_P12ihipStream_tbEUlRKjE_EESN_SR_SS_mST_SW_bEUlT_E_NS1_11comp_targetILNS1_3genE0ELNS1_11target_archE4294967295ELNS1_3gpuE0ELNS1_3repE0EEENS1_30default_config_static_selectorELNS0_4arch9wavefront6targetE0EEEvSQ_
	.globl	_ZN7rocprim17ROCPRIM_400000_NS6detail17trampoline_kernelINS0_14default_configENS1_27lower_bound_config_selectorIjjEEZNS1_14transform_implILb0ES3_S5_N6thrust23THRUST_200600_302600_NS17counting_iteratorIjNS8_11use_defaultESA_SA_EENS8_6detail15normal_iteratorINS8_10device_ptrIjEEEEZNS1_13binary_searchIS3_S5_SG_SB_SG_NS1_21lower_bound_search_opENSC_16wrapped_functionINS0_4lessIvEEbEEEE10hipError_tPvRmT1_T2_T3_mmT4_T5_P12ihipStream_tbEUlRKjE_EESN_SR_SS_mST_SW_bEUlT_E_NS1_11comp_targetILNS1_3genE0ELNS1_11target_archE4294967295ELNS1_3gpuE0ELNS1_3repE0EEENS1_30default_config_static_selectorELNS0_4arch9wavefront6targetE0EEEvSQ_
	.p2align	8
	.type	_ZN7rocprim17ROCPRIM_400000_NS6detail17trampoline_kernelINS0_14default_configENS1_27lower_bound_config_selectorIjjEEZNS1_14transform_implILb0ES3_S5_N6thrust23THRUST_200600_302600_NS17counting_iteratorIjNS8_11use_defaultESA_SA_EENS8_6detail15normal_iteratorINS8_10device_ptrIjEEEEZNS1_13binary_searchIS3_S5_SG_SB_SG_NS1_21lower_bound_search_opENSC_16wrapped_functionINS0_4lessIvEEbEEEE10hipError_tPvRmT1_T2_T3_mmT4_T5_P12ihipStream_tbEUlRKjE_EESN_SR_SS_mST_SW_bEUlT_E_NS1_11comp_targetILNS1_3genE0ELNS1_11target_archE4294967295ELNS1_3gpuE0ELNS1_3repE0EEENS1_30default_config_static_selectorELNS0_4arch9wavefront6targetE0EEEvSQ_,@function
_ZN7rocprim17ROCPRIM_400000_NS6detail17trampoline_kernelINS0_14default_configENS1_27lower_bound_config_selectorIjjEEZNS1_14transform_implILb0ES3_S5_N6thrust23THRUST_200600_302600_NS17counting_iteratorIjNS8_11use_defaultESA_SA_EENS8_6detail15normal_iteratorINS8_10device_ptrIjEEEEZNS1_13binary_searchIS3_S5_SG_SB_SG_NS1_21lower_bound_search_opENSC_16wrapped_functionINS0_4lessIvEEbEEEE10hipError_tPvRmT1_T2_T3_mmT4_T5_P12ihipStream_tbEUlRKjE_EESN_SR_SS_mST_SW_bEUlT_E_NS1_11comp_targetILNS1_3genE0ELNS1_11target_archE4294967295ELNS1_3gpuE0ELNS1_3repE0EEENS1_30default_config_static_selectorELNS0_4arch9wavefront6targetE0EEEvSQ_: ; @_ZN7rocprim17ROCPRIM_400000_NS6detail17trampoline_kernelINS0_14default_configENS1_27lower_bound_config_selectorIjjEEZNS1_14transform_implILb0ES3_S5_N6thrust23THRUST_200600_302600_NS17counting_iteratorIjNS8_11use_defaultESA_SA_EENS8_6detail15normal_iteratorINS8_10device_ptrIjEEEEZNS1_13binary_searchIS3_S5_SG_SB_SG_NS1_21lower_bound_search_opENSC_16wrapped_functionINS0_4lessIvEEbEEEE10hipError_tPvRmT1_T2_T3_mmT4_T5_P12ihipStream_tbEUlRKjE_EESN_SR_SS_mST_SW_bEUlT_E_NS1_11comp_targetILNS1_3genE0ELNS1_11target_archE4294967295ELNS1_3gpuE0ELNS1_3repE0EEENS1_30default_config_static_selectorELNS0_4arch9wavefront6targetE0EEEvSQ_
; %bb.0:
	s_clause 0x4
	s_load_b32 s2, s[0:1], 0x0
	s_load_b64 s[8:9], s[0:1], 0x8
	s_load_b128 s[4:7], s[0:1], 0x18
	s_load_b32 s3, s[0:1], 0x38
	s_load_b64 s[10:11], s[0:1], 0x28
	s_bfe_u32 s12, ttmp6, 0x4000c
	s_and_b32 s13, ttmp6, 15
	s_add_co_i32 s12, s12, 1
	s_getreg_b32 s14, hwreg(HW_REG_IB_STS2, 6, 4)
	s_mul_i32 s12, ttmp9, s12
	s_delay_alu instid0(SALU_CYCLE_1)
	s_add_co_i32 s13, s13, s12
	s_wait_kmcnt 0x0
	s_add_co_i32 s2, s2, s8
	s_lshl_b64 s[8:9], s[8:9], 2
	s_cmp_eq_u32 s14, 0
	s_add_nc_u64 s[4:5], s[4:5], s[8:9]
	s_cselect_b32 s12, ttmp9, s13
	s_add_co_i32 s3, s3, -1
	s_lshl_b32 s8, s12, 8
	s_mov_b32 s9, 0
	s_cmp_lg_u32 s12, s3
	s_mov_b32 s3, -1
	s_cbranch_scc0 .LBB230_14
; %bb.1:
	v_add3_u32 v1, s2, s8, v0
	s_cmp_lg_u64 s[10:11], 0
	s_cselect_b32 s3, -1, 0
	s_cmp_eq_u64 s[10:11], 0
	s_cbranch_scc1 .LBB230_15
; %bb.2:
	v_mov_b64_e32 v[2:3], 0
	v_mov_b64_e32 v[4:5], s[10:11]
	s_mov_b32 s12, 0
.LBB230_3:                              ; =>This Inner Loop Header: Depth=1
	s_delay_alu instid0(VALU_DEP_1) | instskip(NEXT) | instid1(VALU_DEP_1)
	v_sub_nc_u64_e32 v[6:7], v[4:5], v[2:3]
	v_lshrrev_b64 v[8:9], 1, v[6:7]
	v_lshrrev_b64 v[6:7], 6, v[6:7]
	s_delay_alu instid0(VALU_DEP_2) | instskip(NEXT) | instid1(VALU_DEP_1)
	v_add_nc_u64_e32 v[8:9], v[8:9], v[2:3]
	v_add_nc_u64_e32 v[6:7], v[8:9], v[6:7]
	s_delay_alu instid0(VALU_DEP_1)
	v_lshl_add_u64 v[8:9], v[6:7], 2, s[6:7]
	global_load_b32 v10, v[8:9], off
	s_wait_xcnt 0x0
	v_add_nc_u64_e32 v[8:9], 1, v[6:7]
	s_wait_loadcnt 0x0
	v_cmp_lt_u32_e32 vcc_lo, v10, v1
	v_dual_cndmask_b32 v5, v7, v5 :: v_dual_cndmask_b32 v4, v6, v4
	s_delay_alu instid0(VALU_DEP_3) | instskip(NEXT) | instid1(VALU_DEP_1)
	v_dual_cndmask_b32 v3, v3, v9 :: v_dual_cndmask_b32 v2, v2, v8
	v_cmp_ge_u64_e32 vcc_lo, v[2:3], v[4:5]
	s_or_b32 s12, vcc_lo, s12
	s_delay_alu instid0(SALU_CYCLE_1)
	s_and_not1_b32 exec_lo, exec_lo, s12
	s_cbranch_execnz .LBB230_3
; %bb.4:
	s_or_b32 exec_lo, exec_lo, s12
	v_cndmask_b32_e64 v3, 0, 1, s3
	s_and_not1_b32 vcc_lo, exec_lo, s3
	s_cbranch_vccnz .LBB230_16
.LBB230_5:
	v_mov_b64_e32 v[4:5], 0
	v_mov_b64_e32 v[6:7], s[10:11]
	v_add_nc_u32_e32 v8, 64, v1
	s_mov_b32 s3, 0
.LBB230_6:                              ; =>This Inner Loop Header: Depth=1
	s_delay_alu instid0(VALU_DEP_2) | instskip(NEXT) | instid1(VALU_DEP_1)
	v_sub_nc_u64_e32 v[10:11], v[6:7], v[4:5]
	v_lshrrev_b64 v[12:13], 1, v[10:11]
	v_lshrrev_b64 v[10:11], 6, v[10:11]
	s_delay_alu instid0(VALU_DEP_2) | instskip(NEXT) | instid1(VALU_DEP_1)
	v_add_nc_u64_e32 v[12:13], v[12:13], v[4:5]
	v_add_nc_u64_e32 v[10:11], v[12:13], v[10:11]
	s_delay_alu instid0(VALU_DEP_1)
	v_lshl_add_u64 v[12:13], v[10:11], 2, s[6:7]
	global_load_b32 v9, v[12:13], off
	s_wait_xcnt 0x0
	v_add_nc_u64_e32 v[12:13], 1, v[10:11]
	s_wait_loadcnt 0x0
	v_cmp_lt_u32_e32 vcc_lo, v9, v8
	v_dual_cndmask_b32 v7, v11, v7 :: v_dual_cndmask_b32 v6, v10, v6
	s_delay_alu instid0(VALU_DEP_3) | instskip(NEXT) | instid1(VALU_DEP_1)
	v_dual_cndmask_b32 v5, v5, v13 :: v_dual_cndmask_b32 v4, v4, v12
	v_cmp_ge_u64_e32 vcc_lo, v[4:5], v[6:7]
	s_or_b32 s3, vcc_lo, s3
	s_delay_alu instid0(SALU_CYCLE_1)
	s_and_not1_b32 exec_lo, exec_lo, s3
	s_cbranch_execnz .LBB230_6
; %bb.7:
	s_or_b32 exec_lo, exec_lo, s3
	v_cmp_ne_u32_e32 vcc_lo, 1, v3
	s_cbranch_vccnz .LBB230_17
.LBB230_8:
	v_mov_b64_e32 v[6:7], 0
	v_mov_b64_e32 v[8:9], s[10:11]
	v_add_nc_u32_e32 v5, 0x80, v1
	s_mov_b32 s3, 0
.LBB230_9:                              ; =>This Inner Loop Header: Depth=1
	s_delay_alu instid0(VALU_DEP_2) | instskip(NEXT) | instid1(VALU_DEP_1)
	v_sub_nc_u64_e32 v[10:11], v[8:9], v[6:7]
	v_lshrrev_b64 v[12:13], 1, v[10:11]
	v_lshrrev_b64 v[10:11], 6, v[10:11]
	s_delay_alu instid0(VALU_DEP_2) | instskip(NEXT) | instid1(VALU_DEP_1)
	v_add_nc_u64_e32 v[12:13], v[12:13], v[6:7]
	v_add_nc_u64_e32 v[10:11], v[12:13], v[10:11]
	s_delay_alu instid0(VALU_DEP_1)
	v_lshl_add_u64 v[12:13], v[10:11], 2, s[6:7]
	global_load_b32 v14, v[12:13], off
	s_wait_xcnt 0x0
	v_add_nc_u64_e32 v[12:13], 1, v[10:11]
	s_wait_loadcnt 0x0
	v_cmp_lt_u32_e32 vcc_lo, v14, v5
	v_dual_cndmask_b32 v9, v11, v9 :: v_dual_cndmask_b32 v8, v10, v8
	s_delay_alu instid0(VALU_DEP_3) | instskip(NEXT) | instid1(VALU_DEP_1)
	v_dual_cndmask_b32 v7, v7, v13 :: v_dual_cndmask_b32 v6, v6, v12
	v_cmp_ge_u64_e32 vcc_lo, v[6:7], v[8:9]
	s_or_b32 s3, vcc_lo, s3
	s_delay_alu instid0(SALU_CYCLE_1)
	s_and_not1_b32 exec_lo, exec_lo, s3
	s_cbranch_execnz .LBB230_9
; %bb.10:
	s_or_b32 exec_lo, exec_lo, s3
	v_cmp_ne_u32_e32 vcc_lo, 1, v3
	s_cbranch_vccnz .LBB230_18
.LBB230_11:
	v_mov_b64_e32 v[8:9], 0
	v_mov_b64_e32 v[10:11], s[10:11]
	v_add_nc_u32_e32 v1, 0xc0, v1
	s_mov_b32 s3, 0
.LBB230_12:                             ; =>This Inner Loop Header: Depth=1
	s_delay_alu instid0(VALU_DEP_2) | instskip(NEXT) | instid1(VALU_DEP_1)
	v_sub_nc_u64_e32 v[12:13], v[10:11], v[8:9]
	v_lshrrev_b64 v[14:15], 1, v[12:13]
	v_lshrrev_b64 v[12:13], 6, v[12:13]
	s_delay_alu instid0(VALU_DEP_2) | instskip(NEXT) | instid1(VALU_DEP_1)
	v_add_nc_u64_e32 v[14:15], v[14:15], v[8:9]
	v_add_nc_u64_e32 v[12:13], v[14:15], v[12:13]
	s_delay_alu instid0(VALU_DEP_1)
	v_lshl_add_u64 v[14:15], v[12:13], 2, s[6:7]
	global_load_b32 v3, v[14:15], off
	s_wait_xcnt 0x0
	v_add_nc_u64_e32 v[14:15], 1, v[12:13]
	s_wait_loadcnt 0x0
	v_cmp_lt_u32_e32 vcc_lo, v3, v1
	v_dual_cndmask_b32 v11, v13, v11 :: v_dual_cndmask_b32 v10, v12, v10
	s_delay_alu instid0(VALU_DEP_3) | instskip(NEXT) | instid1(VALU_DEP_1)
	v_dual_cndmask_b32 v9, v9, v15 :: v_dual_cndmask_b32 v8, v8, v14
	v_cmp_ge_u64_e32 vcc_lo, v[8:9], v[10:11]
	s_or_b32 s3, vcc_lo, s3
	s_delay_alu instid0(SALU_CYCLE_1)
	s_and_not1_b32 exec_lo, exec_lo, s3
	s_cbranch_execnz .LBB230_12
; %bb.13:
	s_or_b32 exec_lo, exec_lo, s3
	v_mov_b32_e32 v3, v8
	s_branch .LBB230_19
.LBB230_14:
	s_mov_b32 s12, s9
                                        ; implicit-def: $vgpr3
                                        ; implicit-def: $vgpr8_vgpr9
	s_and_b32 vcc_lo, exec_lo, s3
	s_cbranch_vccnz .LBB230_20
	s_branch .LBB230_52
.LBB230_15:
	v_mov_b32_e32 v2, 0
	v_cndmask_b32_e64 v3, 0, 1, s3
	s_and_not1_b32 vcc_lo, exec_lo, s3
	s_cbranch_vccz .LBB230_5
.LBB230_16:
	v_mov_b32_e32 v4, 0
	s_delay_alu instid0(VALU_DEP_2)
	v_cmp_ne_u32_e32 vcc_lo, 1, v3
	s_cbranch_vccz .LBB230_8
.LBB230_17:
	v_mov_b32_e32 v6, 0
	v_cmp_ne_u32_e32 vcc_lo, 1, v3
	s_cbranch_vccz .LBB230_11
.LBB230_18:
	v_mov_b32_e32 v3, 0
.LBB230_19:
	v_dual_mov_b32 v9, 0 :: v_dual_lshlrev_b32 v8, 2, v0
	s_lshl_b64 s[12:13], s[8:9], 2
	s_delay_alu instid0(SALU_CYCLE_1) | instskip(SKIP_1) | instid1(VALU_DEP_1)
	s_add_nc_u64 s[14:15], s[4:5], s[12:13]
	s_mov_b32 s12, -1
	v_add_nc_u64_e32 v[8:9], s[14:15], v[8:9]
	s_clause 0x2
	flat_store_b32 v0, v2, s[14:15] scale_offset
	flat_store_b32 v0, v4, s[14:15] offset:256 scale_offset
	flat_store_b32 v0, v6, s[14:15] offset:512 scale_offset
	s_branch .LBB230_52
.LBB230_20:
	s_load_b32 s0, s[0:1], 0x10
	v_dual_mov_b32 v4, 0 :: v_dual_bitop2_b32 v5, 64, v0 bitop3:0x54
	v_or_b32_e32 v7, 0x80, v0
	v_or_b32_e32 v8, 0xc0, v0
	s_add_co_i32 s2, s2, s8
	s_delay_alu instid0(VALU_DEP_3) | instid1(SALU_CYCLE_1)
	v_dual_mov_b32 v1, v4 :: v_dual_add_nc_u32 v6, s2, v0
	s_delay_alu instid0(VALU_DEP_3)
	v_dual_add_nc_u32 v9, s2, v5 :: v_dual_add_nc_u32 v10, s2, v7
	v_dual_mov_b32 v2, v4 :: v_dual_mov_b32 v3, v4
	s_wait_kmcnt 0x0
	s_sub_co_i32 s0, s0, s8
	s_cmp_lg_u64 s[10:11], 0
	v_cmp_gt_u32_e64 s3, s0, v0
	v_add_nc_u32_e32 v13, s2, v8
	v_cmp_gt_u32_e64 s2, s0, v5
	v_cmp_gt_u32_e64 s1, s0, v7
	;; [unrolled: 1-line block ×3, first 2 shown]
	v_cndmask_b32_e64 v6, 0, v6, s3
	s_cselect_b32 s13, -1, 0
	v_dual_cndmask_b32 v12, 0, v9, s2 :: v_dual_cndmask_b32 v11, 0, v10, s1
	v_cndmask_b32_e64 v10, 0, v13, s0
	s_and_saveexec_b32 s14, s3
	s_cbranch_execnz .LBB230_24
; %bb.21:
	s_or_b32 exec_lo, exec_lo, s14
	s_and_saveexec_b32 s14, s2
	s_cbranch_execnz .LBB230_30
.LBB230_22:
	s_or_b32 exec_lo, exec_lo, s14
	s_and_saveexec_b32 s14, s1
	s_cbranch_execnz .LBB230_35
.LBB230_23:
	s_or_b32 exec_lo, exec_lo, s14
	s_and_saveexec_b32 s14, s0
	s_cbranch_execnz .LBB230_40
	s_branch .LBB230_45
.LBB230_24:
	s_and_not1_b32 vcc_lo, exec_lo, s13
	s_cbranch_vccnz .LBB230_28
; %bb.25:
	v_mov_b64_e32 v[4:5], 0
	v_mov_b64_e32 v[2:3], s[10:11]
	s_mov_b32 s15, 0
.LBB230_26:                             ; =>This Inner Loop Header: Depth=1
	s_delay_alu instid0(VALU_DEP_1) | instskip(NEXT) | instid1(VALU_DEP_1)
	v_sub_nc_u64_e32 v[8:9], v[2:3], v[4:5]
	v_lshrrev_b64 v[14:15], 1, v[8:9]
	v_lshrrev_b64 v[8:9], 6, v[8:9]
	s_delay_alu instid0(VALU_DEP_2) | instskip(NEXT) | instid1(VALU_DEP_1)
	v_add_nc_u64_e32 v[14:15], v[14:15], v[4:5]
	v_add_nc_u64_e32 v[8:9], v[14:15], v[8:9]
	s_delay_alu instid0(VALU_DEP_1)
	v_lshl_add_u64 v[14:15], v[8:9], 2, s[6:7]
	global_load_b32 v1, v[14:15], off
	s_wait_xcnt 0x0
	v_add_nc_u64_e32 v[14:15], 1, v[8:9]
	s_wait_loadcnt 0x0
	v_cmp_lt_u32_e32 vcc_lo, v1, v6
	v_dual_cndmask_b32 v3, v9, v3 :: v_dual_cndmask_b32 v2, v8, v2
	s_delay_alu instid0(VALU_DEP_3) | instskip(NEXT) | instid1(VALU_DEP_1)
	v_dual_cndmask_b32 v5, v5, v15 :: v_dual_cndmask_b32 v4, v4, v14
	v_cmp_ge_u64_e32 vcc_lo, v[4:5], v[2:3]
	s_or_b32 s15, vcc_lo, s15
	s_delay_alu instid0(SALU_CYCLE_1)
	s_and_not1_b32 exec_lo, exec_lo, s15
	s_cbranch_execnz .LBB230_26
; %bb.27:
	s_or_b32 exec_lo, exec_lo, s15
	s_branch .LBB230_29
.LBB230_28:
	v_mov_b32_e32 v4, 0
.LBB230_29:
	v_mov_b32_e32 v1, 0
	s_delay_alu instid0(VALU_DEP_1)
	v_dual_mov_b32 v2, v1 :: v_dual_mov_b32 v3, v1
	s_or_b32 exec_lo, exec_lo, s14
	s_and_saveexec_b32 s14, s2
	s_cbranch_execz .LBB230_22
.LBB230_30:
	s_and_not1_b32 vcc_lo, exec_lo, s13
	s_cbranch_vccnz .LBB230_34
; %bb.31:
	v_mov_b64_e32 v[6:7], 0
	v_mov_b64_e32 v[8:9], s[10:11]
	s_mov_b32 s15, 0
.LBB230_32:                             ; =>This Inner Loop Header: Depth=1
	s_delay_alu instid0(VALU_DEP_1) | instskip(NEXT) | instid1(VALU_DEP_1)
	v_sub_nc_u64_e32 v[14:15], v[8:9], v[6:7]
	v_lshrrev_b64 v[16:17], 1, v[14:15]
	v_lshrrev_b64 v[14:15], 6, v[14:15]
	s_delay_alu instid0(VALU_DEP_2) | instskip(NEXT) | instid1(VALU_DEP_1)
	v_add_nc_u64_e32 v[16:17], v[16:17], v[6:7]
	v_add_nc_u64_e32 v[14:15], v[16:17], v[14:15]
	s_delay_alu instid0(VALU_DEP_1)
	v_lshl_add_u64 v[16:17], v[14:15], 2, s[6:7]
	global_load_b32 v1, v[16:17], off
	s_wait_xcnt 0x0
	v_add_nc_u64_e32 v[16:17], 1, v[14:15]
	s_wait_loadcnt 0x0
	v_cmp_lt_u32_e32 vcc_lo, v1, v12
	v_dual_cndmask_b32 v9, v15, v9 :: v_dual_cndmask_b32 v8, v14, v8
	s_delay_alu instid0(VALU_DEP_3) | instskip(NEXT) | instid1(VALU_DEP_1)
	v_dual_cndmask_b32 v7, v7, v17 :: v_dual_cndmask_b32 v6, v6, v16
	v_cmp_ge_u64_e32 vcc_lo, v[6:7], v[8:9]
	s_or_b32 s15, vcc_lo, s15
	s_delay_alu instid0(SALU_CYCLE_1)
	s_and_not1_b32 exec_lo, exec_lo, s15
	s_cbranch_execnz .LBB230_32
; %bb.33:
	s_or_b32 exec_lo, exec_lo, s15
	v_mov_b32_e32 v1, v6
	s_or_b32 exec_lo, exec_lo, s14
	s_and_saveexec_b32 s14, s1
	s_cbranch_execz .LBB230_23
	s_branch .LBB230_35
.LBB230_34:
	v_mov_b32_e32 v1, 0
	s_or_b32 exec_lo, exec_lo, s14
	s_and_saveexec_b32 s14, s1
	s_cbranch_execz .LBB230_23
.LBB230_35:
	s_and_not1_b32 vcc_lo, exec_lo, s13
	s_cbranch_vccnz .LBB230_39
; %bb.36:
	v_mov_b64_e32 v[6:7], 0
	v_mov_b64_e32 v[8:9], s[10:11]
	s_mov_b32 s15, 0
.LBB230_37:                             ; =>This Inner Loop Header: Depth=1
	s_delay_alu instid0(VALU_DEP_1) | instskip(NEXT) | instid1(VALU_DEP_1)
	v_sub_nc_u64_e32 v[12:13], v[8:9], v[6:7]
	v_lshrrev_b64 v[14:15], 1, v[12:13]
	v_lshrrev_b64 v[12:13], 6, v[12:13]
	s_delay_alu instid0(VALU_DEP_2) | instskip(NEXT) | instid1(VALU_DEP_1)
	v_add_nc_u64_e32 v[14:15], v[14:15], v[6:7]
	v_add_nc_u64_e32 v[12:13], v[14:15], v[12:13]
	s_delay_alu instid0(VALU_DEP_1)
	v_lshl_add_u64 v[14:15], v[12:13], 2, s[6:7]
	global_load_b32 v2, v[14:15], off
	s_wait_xcnt 0x0
	v_add_nc_u64_e32 v[14:15], 1, v[12:13]
	s_wait_loadcnt 0x0
	v_cmp_lt_u32_e32 vcc_lo, v2, v11
	v_dual_cndmask_b32 v9, v13, v9 :: v_dual_cndmask_b32 v8, v12, v8
	s_delay_alu instid0(VALU_DEP_3) | instskip(NEXT) | instid1(VALU_DEP_1)
	v_dual_cndmask_b32 v7, v7, v15 :: v_dual_cndmask_b32 v6, v6, v14
	v_cmp_ge_u64_e32 vcc_lo, v[6:7], v[8:9]
	s_or_b32 s15, vcc_lo, s15
	s_delay_alu instid0(SALU_CYCLE_1)
	s_and_not1_b32 exec_lo, exec_lo, s15
	s_cbranch_execnz .LBB230_37
; %bb.38:
	s_or_b32 exec_lo, exec_lo, s15
	v_mov_b32_e32 v2, v6
	s_or_b32 exec_lo, exec_lo, s14
	s_and_saveexec_b32 s14, s0
	s_cbranch_execnz .LBB230_40
	s_branch .LBB230_45
.LBB230_39:
	v_mov_b32_e32 v2, 0
	s_or_b32 exec_lo, exec_lo, s14
	s_and_saveexec_b32 s14, s0
	s_cbranch_execz .LBB230_45
.LBB230_40:
	s_and_not1_b32 vcc_lo, exec_lo, s13
	s_cbranch_vccnz .LBB230_44
; %bb.41:
	v_mov_b64_e32 v[6:7], 0
	v_mov_b64_e32 v[8:9], s[10:11]
	s_mov_b32 s10, 0
.LBB230_42:                             ; =>This Inner Loop Header: Depth=1
	s_delay_alu instid0(VALU_DEP_1) | instskip(NEXT) | instid1(VALU_DEP_1)
	v_sub_nc_u64_e32 v[12:13], v[8:9], v[6:7]
	v_lshrrev_b64 v[14:15], 1, v[12:13]
	v_lshrrev_b64 v[12:13], 6, v[12:13]
	s_delay_alu instid0(VALU_DEP_2) | instskip(NEXT) | instid1(VALU_DEP_1)
	v_add_nc_u64_e32 v[14:15], v[14:15], v[6:7]
	v_add_nc_u64_e32 v[12:13], v[14:15], v[12:13]
	s_delay_alu instid0(VALU_DEP_1)
	v_lshl_add_u64 v[14:15], v[12:13], 2, s[6:7]
	global_load_b32 v3, v[14:15], off
	s_wait_xcnt 0x0
	v_add_nc_u64_e32 v[14:15], 1, v[12:13]
	s_wait_loadcnt 0x0
	v_cmp_lt_u32_e32 vcc_lo, v3, v10
	v_dual_cndmask_b32 v9, v13, v9 :: v_dual_cndmask_b32 v8, v12, v8
	s_delay_alu instid0(VALU_DEP_3) | instskip(NEXT) | instid1(VALU_DEP_1)
	v_dual_cndmask_b32 v7, v7, v15 :: v_dual_cndmask_b32 v6, v6, v14
	v_cmp_ge_u64_e32 vcc_lo, v[6:7], v[8:9]
	s_or_b32 s10, vcc_lo, s10
	s_delay_alu instid0(SALU_CYCLE_1)
	s_and_not1_b32 exec_lo, exec_lo, s10
	s_cbranch_execnz .LBB230_42
; %bb.43:
	s_or_b32 exec_lo, exec_lo, s10
	v_mov_b32_e32 v3, v6
	s_branch .LBB230_45
.LBB230_44:
	v_mov_b32_e32 v3, 0
.LBB230_45:
	s_or_b32 exec_lo, exec_lo, s14
	v_dual_mov_b32 v7, 0 :: v_dual_lshlrev_b32 v6, 2, v0
	s_lshl_b64 s[6:7], s[8:9], 2
	s_delay_alu instid0(SALU_CYCLE_1)
	s_add_nc_u64 s[4:5], s[4:5], s[6:7]
	s_delay_alu instid0(VALU_DEP_1) | instid1(SALU_CYCLE_1)
	v_add_nc_u64_e32 v[8:9], s[4:5], v[6:7]
	s_and_saveexec_b32 s4, s3
	s_delay_alu instid0(SALU_CYCLE_1)
	s_xor_b32 s3, exec_lo, s4
	s_cbranch_execz .LBB230_47
; %bb.46:
	flat_store_b32 v[8:9], v4
.LBB230_47:
	s_wait_xcnt 0x0
	s_or_b32 exec_lo, exec_lo, s3
	s_and_saveexec_b32 s3, s2
	s_cbranch_execnz .LBB230_55
; %bb.48:
	s_or_b32 exec_lo, exec_lo, s3
	s_and_saveexec_b32 s2, s1
	s_cbranch_execnz .LBB230_56
.LBB230_49:
	s_or_b32 exec_lo, exec_lo, s2
	s_and_saveexec_b32 s1, s0
.LBB230_50:
	s_or_b32 s12, s12, exec_lo
.LBB230_51:
	s_or_b32 exec_lo, exec_lo, s1
.LBB230_52:
	s_wait_xcnt 0x0
	s_and_saveexec_b32 s0, s12
	s_cbranch_execnz .LBB230_54
; %bb.53:
	s_endpgm
.LBB230_54:
	flat_store_b32 v[8:9], v3 offset:768
	s_endpgm
.LBB230_55:
	flat_store_b32 v[8:9], v1 offset:256
	s_wait_xcnt 0x0
	s_or_b32 exec_lo, exec_lo, s3
	s_and_saveexec_b32 s2, s1
	s_cbranch_execz .LBB230_49
.LBB230_56:
	flat_store_b32 v[8:9], v2 offset:512
	s_wait_xcnt 0x0
	s_or_b32 exec_lo, exec_lo, s2
	s_and_saveexec_b32 s1, s0
	s_cbranch_execnz .LBB230_50
	s_branch .LBB230_51
	.section	.rodata,"a",@progbits
	.p2align	6, 0x0
	.amdhsa_kernel _ZN7rocprim17ROCPRIM_400000_NS6detail17trampoline_kernelINS0_14default_configENS1_27lower_bound_config_selectorIjjEEZNS1_14transform_implILb0ES3_S5_N6thrust23THRUST_200600_302600_NS17counting_iteratorIjNS8_11use_defaultESA_SA_EENS8_6detail15normal_iteratorINS8_10device_ptrIjEEEEZNS1_13binary_searchIS3_S5_SG_SB_SG_NS1_21lower_bound_search_opENSC_16wrapped_functionINS0_4lessIvEEbEEEE10hipError_tPvRmT1_T2_T3_mmT4_T5_P12ihipStream_tbEUlRKjE_EESN_SR_SS_mST_SW_bEUlT_E_NS1_11comp_targetILNS1_3genE0ELNS1_11target_archE4294967295ELNS1_3gpuE0ELNS1_3repE0EEENS1_30default_config_static_selectorELNS0_4arch9wavefront6targetE0EEEvSQ_
		.amdhsa_group_segment_fixed_size 0
		.amdhsa_private_segment_fixed_size 0
		.amdhsa_kernarg_size 312
		.amdhsa_user_sgpr_count 2
		.amdhsa_user_sgpr_dispatch_ptr 0
		.amdhsa_user_sgpr_queue_ptr 0
		.amdhsa_user_sgpr_kernarg_segment_ptr 1
		.amdhsa_user_sgpr_dispatch_id 0
		.amdhsa_user_sgpr_kernarg_preload_length 0
		.amdhsa_user_sgpr_kernarg_preload_offset 0
		.amdhsa_user_sgpr_private_segment_size 0
		.amdhsa_wavefront_size32 1
		.amdhsa_uses_dynamic_stack 0
		.amdhsa_enable_private_segment 0
		.amdhsa_system_sgpr_workgroup_id_x 1
		.amdhsa_system_sgpr_workgroup_id_y 0
		.amdhsa_system_sgpr_workgroup_id_z 0
		.amdhsa_system_sgpr_workgroup_info 0
		.amdhsa_system_vgpr_workitem_id 0
		.amdhsa_next_free_vgpr 18
		.amdhsa_next_free_sgpr 16
		.amdhsa_named_barrier_count 0
		.amdhsa_reserve_vcc 1
		.amdhsa_float_round_mode_32 0
		.amdhsa_float_round_mode_16_64 0
		.amdhsa_float_denorm_mode_32 3
		.amdhsa_float_denorm_mode_16_64 3
		.amdhsa_fp16_overflow 0
		.amdhsa_memory_ordered 1
		.amdhsa_forward_progress 1
		.amdhsa_inst_pref_size 16
		.amdhsa_round_robin_scheduling 0
		.amdhsa_exception_fp_ieee_invalid_op 0
		.amdhsa_exception_fp_denorm_src 0
		.amdhsa_exception_fp_ieee_div_zero 0
		.amdhsa_exception_fp_ieee_overflow 0
		.amdhsa_exception_fp_ieee_underflow 0
		.amdhsa_exception_fp_ieee_inexact 0
		.amdhsa_exception_int_div_zero 0
	.end_amdhsa_kernel
	.section	.text._ZN7rocprim17ROCPRIM_400000_NS6detail17trampoline_kernelINS0_14default_configENS1_27lower_bound_config_selectorIjjEEZNS1_14transform_implILb0ES3_S5_N6thrust23THRUST_200600_302600_NS17counting_iteratorIjNS8_11use_defaultESA_SA_EENS8_6detail15normal_iteratorINS8_10device_ptrIjEEEEZNS1_13binary_searchIS3_S5_SG_SB_SG_NS1_21lower_bound_search_opENSC_16wrapped_functionINS0_4lessIvEEbEEEE10hipError_tPvRmT1_T2_T3_mmT4_T5_P12ihipStream_tbEUlRKjE_EESN_SR_SS_mST_SW_bEUlT_E_NS1_11comp_targetILNS1_3genE0ELNS1_11target_archE4294967295ELNS1_3gpuE0ELNS1_3repE0EEENS1_30default_config_static_selectorELNS0_4arch9wavefront6targetE0EEEvSQ_,"axG",@progbits,_ZN7rocprim17ROCPRIM_400000_NS6detail17trampoline_kernelINS0_14default_configENS1_27lower_bound_config_selectorIjjEEZNS1_14transform_implILb0ES3_S5_N6thrust23THRUST_200600_302600_NS17counting_iteratorIjNS8_11use_defaultESA_SA_EENS8_6detail15normal_iteratorINS8_10device_ptrIjEEEEZNS1_13binary_searchIS3_S5_SG_SB_SG_NS1_21lower_bound_search_opENSC_16wrapped_functionINS0_4lessIvEEbEEEE10hipError_tPvRmT1_T2_T3_mmT4_T5_P12ihipStream_tbEUlRKjE_EESN_SR_SS_mST_SW_bEUlT_E_NS1_11comp_targetILNS1_3genE0ELNS1_11target_archE4294967295ELNS1_3gpuE0ELNS1_3repE0EEENS1_30default_config_static_selectorELNS0_4arch9wavefront6targetE0EEEvSQ_,comdat
.Lfunc_end230:
	.size	_ZN7rocprim17ROCPRIM_400000_NS6detail17trampoline_kernelINS0_14default_configENS1_27lower_bound_config_selectorIjjEEZNS1_14transform_implILb0ES3_S5_N6thrust23THRUST_200600_302600_NS17counting_iteratorIjNS8_11use_defaultESA_SA_EENS8_6detail15normal_iteratorINS8_10device_ptrIjEEEEZNS1_13binary_searchIS3_S5_SG_SB_SG_NS1_21lower_bound_search_opENSC_16wrapped_functionINS0_4lessIvEEbEEEE10hipError_tPvRmT1_T2_T3_mmT4_T5_P12ihipStream_tbEUlRKjE_EESN_SR_SS_mST_SW_bEUlT_E_NS1_11comp_targetILNS1_3genE0ELNS1_11target_archE4294967295ELNS1_3gpuE0ELNS1_3repE0EEENS1_30default_config_static_selectorELNS0_4arch9wavefront6targetE0EEEvSQ_, .Lfunc_end230-_ZN7rocprim17ROCPRIM_400000_NS6detail17trampoline_kernelINS0_14default_configENS1_27lower_bound_config_selectorIjjEEZNS1_14transform_implILb0ES3_S5_N6thrust23THRUST_200600_302600_NS17counting_iteratorIjNS8_11use_defaultESA_SA_EENS8_6detail15normal_iteratorINS8_10device_ptrIjEEEEZNS1_13binary_searchIS3_S5_SG_SB_SG_NS1_21lower_bound_search_opENSC_16wrapped_functionINS0_4lessIvEEbEEEE10hipError_tPvRmT1_T2_T3_mmT4_T5_P12ihipStream_tbEUlRKjE_EESN_SR_SS_mST_SW_bEUlT_E_NS1_11comp_targetILNS1_3genE0ELNS1_11target_archE4294967295ELNS1_3gpuE0ELNS1_3repE0EEENS1_30default_config_static_selectorELNS0_4arch9wavefront6targetE0EEEvSQ_
                                        ; -- End function
	.set _ZN7rocprim17ROCPRIM_400000_NS6detail17trampoline_kernelINS0_14default_configENS1_27lower_bound_config_selectorIjjEEZNS1_14transform_implILb0ES3_S5_N6thrust23THRUST_200600_302600_NS17counting_iteratorIjNS8_11use_defaultESA_SA_EENS8_6detail15normal_iteratorINS8_10device_ptrIjEEEEZNS1_13binary_searchIS3_S5_SG_SB_SG_NS1_21lower_bound_search_opENSC_16wrapped_functionINS0_4lessIvEEbEEEE10hipError_tPvRmT1_T2_T3_mmT4_T5_P12ihipStream_tbEUlRKjE_EESN_SR_SS_mST_SW_bEUlT_E_NS1_11comp_targetILNS1_3genE0ELNS1_11target_archE4294967295ELNS1_3gpuE0ELNS1_3repE0EEENS1_30default_config_static_selectorELNS0_4arch9wavefront6targetE0EEEvSQ_.num_vgpr, 18
	.set _ZN7rocprim17ROCPRIM_400000_NS6detail17trampoline_kernelINS0_14default_configENS1_27lower_bound_config_selectorIjjEEZNS1_14transform_implILb0ES3_S5_N6thrust23THRUST_200600_302600_NS17counting_iteratorIjNS8_11use_defaultESA_SA_EENS8_6detail15normal_iteratorINS8_10device_ptrIjEEEEZNS1_13binary_searchIS3_S5_SG_SB_SG_NS1_21lower_bound_search_opENSC_16wrapped_functionINS0_4lessIvEEbEEEE10hipError_tPvRmT1_T2_T3_mmT4_T5_P12ihipStream_tbEUlRKjE_EESN_SR_SS_mST_SW_bEUlT_E_NS1_11comp_targetILNS1_3genE0ELNS1_11target_archE4294967295ELNS1_3gpuE0ELNS1_3repE0EEENS1_30default_config_static_selectorELNS0_4arch9wavefront6targetE0EEEvSQ_.num_agpr, 0
	.set _ZN7rocprim17ROCPRIM_400000_NS6detail17trampoline_kernelINS0_14default_configENS1_27lower_bound_config_selectorIjjEEZNS1_14transform_implILb0ES3_S5_N6thrust23THRUST_200600_302600_NS17counting_iteratorIjNS8_11use_defaultESA_SA_EENS8_6detail15normal_iteratorINS8_10device_ptrIjEEEEZNS1_13binary_searchIS3_S5_SG_SB_SG_NS1_21lower_bound_search_opENSC_16wrapped_functionINS0_4lessIvEEbEEEE10hipError_tPvRmT1_T2_T3_mmT4_T5_P12ihipStream_tbEUlRKjE_EESN_SR_SS_mST_SW_bEUlT_E_NS1_11comp_targetILNS1_3genE0ELNS1_11target_archE4294967295ELNS1_3gpuE0ELNS1_3repE0EEENS1_30default_config_static_selectorELNS0_4arch9wavefront6targetE0EEEvSQ_.numbered_sgpr, 16
	.set _ZN7rocprim17ROCPRIM_400000_NS6detail17trampoline_kernelINS0_14default_configENS1_27lower_bound_config_selectorIjjEEZNS1_14transform_implILb0ES3_S5_N6thrust23THRUST_200600_302600_NS17counting_iteratorIjNS8_11use_defaultESA_SA_EENS8_6detail15normal_iteratorINS8_10device_ptrIjEEEEZNS1_13binary_searchIS3_S5_SG_SB_SG_NS1_21lower_bound_search_opENSC_16wrapped_functionINS0_4lessIvEEbEEEE10hipError_tPvRmT1_T2_T3_mmT4_T5_P12ihipStream_tbEUlRKjE_EESN_SR_SS_mST_SW_bEUlT_E_NS1_11comp_targetILNS1_3genE0ELNS1_11target_archE4294967295ELNS1_3gpuE0ELNS1_3repE0EEENS1_30default_config_static_selectorELNS0_4arch9wavefront6targetE0EEEvSQ_.num_named_barrier, 0
	.set _ZN7rocprim17ROCPRIM_400000_NS6detail17trampoline_kernelINS0_14default_configENS1_27lower_bound_config_selectorIjjEEZNS1_14transform_implILb0ES3_S5_N6thrust23THRUST_200600_302600_NS17counting_iteratorIjNS8_11use_defaultESA_SA_EENS8_6detail15normal_iteratorINS8_10device_ptrIjEEEEZNS1_13binary_searchIS3_S5_SG_SB_SG_NS1_21lower_bound_search_opENSC_16wrapped_functionINS0_4lessIvEEbEEEE10hipError_tPvRmT1_T2_T3_mmT4_T5_P12ihipStream_tbEUlRKjE_EESN_SR_SS_mST_SW_bEUlT_E_NS1_11comp_targetILNS1_3genE0ELNS1_11target_archE4294967295ELNS1_3gpuE0ELNS1_3repE0EEENS1_30default_config_static_selectorELNS0_4arch9wavefront6targetE0EEEvSQ_.private_seg_size, 0
	.set _ZN7rocprim17ROCPRIM_400000_NS6detail17trampoline_kernelINS0_14default_configENS1_27lower_bound_config_selectorIjjEEZNS1_14transform_implILb0ES3_S5_N6thrust23THRUST_200600_302600_NS17counting_iteratorIjNS8_11use_defaultESA_SA_EENS8_6detail15normal_iteratorINS8_10device_ptrIjEEEEZNS1_13binary_searchIS3_S5_SG_SB_SG_NS1_21lower_bound_search_opENSC_16wrapped_functionINS0_4lessIvEEbEEEE10hipError_tPvRmT1_T2_T3_mmT4_T5_P12ihipStream_tbEUlRKjE_EESN_SR_SS_mST_SW_bEUlT_E_NS1_11comp_targetILNS1_3genE0ELNS1_11target_archE4294967295ELNS1_3gpuE0ELNS1_3repE0EEENS1_30default_config_static_selectorELNS0_4arch9wavefront6targetE0EEEvSQ_.uses_vcc, 1
	.set _ZN7rocprim17ROCPRIM_400000_NS6detail17trampoline_kernelINS0_14default_configENS1_27lower_bound_config_selectorIjjEEZNS1_14transform_implILb0ES3_S5_N6thrust23THRUST_200600_302600_NS17counting_iteratorIjNS8_11use_defaultESA_SA_EENS8_6detail15normal_iteratorINS8_10device_ptrIjEEEEZNS1_13binary_searchIS3_S5_SG_SB_SG_NS1_21lower_bound_search_opENSC_16wrapped_functionINS0_4lessIvEEbEEEE10hipError_tPvRmT1_T2_T3_mmT4_T5_P12ihipStream_tbEUlRKjE_EESN_SR_SS_mST_SW_bEUlT_E_NS1_11comp_targetILNS1_3genE0ELNS1_11target_archE4294967295ELNS1_3gpuE0ELNS1_3repE0EEENS1_30default_config_static_selectorELNS0_4arch9wavefront6targetE0EEEvSQ_.uses_flat_scratch, 1
	.set _ZN7rocprim17ROCPRIM_400000_NS6detail17trampoline_kernelINS0_14default_configENS1_27lower_bound_config_selectorIjjEEZNS1_14transform_implILb0ES3_S5_N6thrust23THRUST_200600_302600_NS17counting_iteratorIjNS8_11use_defaultESA_SA_EENS8_6detail15normal_iteratorINS8_10device_ptrIjEEEEZNS1_13binary_searchIS3_S5_SG_SB_SG_NS1_21lower_bound_search_opENSC_16wrapped_functionINS0_4lessIvEEbEEEE10hipError_tPvRmT1_T2_T3_mmT4_T5_P12ihipStream_tbEUlRKjE_EESN_SR_SS_mST_SW_bEUlT_E_NS1_11comp_targetILNS1_3genE0ELNS1_11target_archE4294967295ELNS1_3gpuE0ELNS1_3repE0EEENS1_30default_config_static_selectorELNS0_4arch9wavefront6targetE0EEEvSQ_.has_dyn_sized_stack, 0
	.set _ZN7rocprim17ROCPRIM_400000_NS6detail17trampoline_kernelINS0_14default_configENS1_27lower_bound_config_selectorIjjEEZNS1_14transform_implILb0ES3_S5_N6thrust23THRUST_200600_302600_NS17counting_iteratorIjNS8_11use_defaultESA_SA_EENS8_6detail15normal_iteratorINS8_10device_ptrIjEEEEZNS1_13binary_searchIS3_S5_SG_SB_SG_NS1_21lower_bound_search_opENSC_16wrapped_functionINS0_4lessIvEEbEEEE10hipError_tPvRmT1_T2_T3_mmT4_T5_P12ihipStream_tbEUlRKjE_EESN_SR_SS_mST_SW_bEUlT_E_NS1_11comp_targetILNS1_3genE0ELNS1_11target_archE4294967295ELNS1_3gpuE0ELNS1_3repE0EEENS1_30default_config_static_selectorELNS0_4arch9wavefront6targetE0EEEvSQ_.has_recursion, 0
	.set _ZN7rocprim17ROCPRIM_400000_NS6detail17trampoline_kernelINS0_14default_configENS1_27lower_bound_config_selectorIjjEEZNS1_14transform_implILb0ES3_S5_N6thrust23THRUST_200600_302600_NS17counting_iteratorIjNS8_11use_defaultESA_SA_EENS8_6detail15normal_iteratorINS8_10device_ptrIjEEEEZNS1_13binary_searchIS3_S5_SG_SB_SG_NS1_21lower_bound_search_opENSC_16wrapped_functionINS0_4lessIvEEbEEEE10hipError_tPvRmT1_T2_T3_mmT4_T5_P12ihipStream_tbEUlRKjE_EESN_SR_SS_mST_SW_bEUlT_E_NS1_11comp_targetILNS1_3genE0ELNS1_11target_archE4294967295ELNS1_3gpuE0ELNS1_3repE0EEENS1_30default_config_static_selectorELNS0_4arch9wavefront6targetE0EEEvSQ_.has_indirect_call, 0
	.section	.AMDGPU.csdata,"",@progbits
; Kernel info:
; codeLenInByte = 1956
; TotalNumSgprs: 18
; NumVgprs: 18
; ScratchSize: 0
; MemoryBound: 0
; FloatMode: 240
; IeeeMode: 1
; LDSByteSize: 0 bytes/workgroup (compile time only)
; SGPRBlocks: 0
; VGPRBlocks: 1
; NumSGPRsForWavesPerEU: 18
; NumVGPRsForWavesPerEU: 18
; NamedBarCnt: 0
; Occupancy: 16
; WaveLimiterHint : 1
; COMPUTE_PGM_RSRC2:SCRATCH_EN: 0
; COMPUTE_PGM_RSRC2:USER_SGPR: 2
; COMPUTE_PGM_RSRC2:TRAP_HANDLER: 0
; COMPUTE_PGM_RSRC2:TGID_X_EN: 1
; COMPUTE_PGM_RSRC2:TGID_Y_EN: 0
; COMPUTE_PGM_RSRC2:TGID_Z_EN: 0
; COMPUTE_PGM_RSRC2:TIDIG_COMP_CNT: 0
	.section	.text._ZN7rocprim17ROCPRIM_400000_NS6detail17trampoline_kernelINS0_14default_configENS1_27lower_bound_config_selectorIjjEEZNS1_14transform_implILb0ES3_S5_N6thrust23THRUST_200600_302600_NS17counting_iteratorIjNS8_11use_defaultESA_SA_EENS8_6detail15normal_iteratorINS8_10device_ptrIjEEEEZNS1_13binary_searchIS3_S5_SG_SB_SG_NS1_21lower_bound_search_opENSC_16wrapped_functionINS0_4lessIvEEbEEEE10hipError_tPvRmT1_T2_T3_mmT4_T5_P12ihipStream_tbEUlRKjE_EESN_SR_SS_mST_SW_bEUlT_E_NS1_11comp_targetILNS1_3genE5ELNS1_11target_archE942ELNS1_3gpuE9ELNS1_3repE0EEENS1_30default_config_static_selectorELNS0_4arch9wavefront6targetE0EEEvSQ_,"axG",@progbits,_ZN7rocprim17ROCPRIM_400000_NS6detail17trampoline_kernelINS0_14default_configENS1_27lower_bound_config_selectorIjjEEZNS1_14transform_implILb0ES3_S5_N6thrust23THRUST_200600_302600_NS17counting_iteratorIjNS8_11use_defaultESA_SA_EENS8_6detail15normal_iteratorINS8_10device_ptrIjEEEEZNS1_13binary_searchIS3_S5_SG_SB_SG_NS1_21lower_bound_search_opENSC_16wrapped_functionINS0_4lessIvEEbEEEE10hipError_tPvRmT1_T2_T3_mmT4_T5_P12ihipStream_tbEUlRKjE_EESN_SR_SS_mST_SW_bEUlT_E_NS1_11comp_targetILNS1_3genE5ELNS1_11target_archE942ELNS1_3gpuE9ELNS1_3repE0EEENS1_30default_config_static_selectorELNS0_4arch9wavefront6targetE0EEEvSQ_,comdat
	.protected	_ZN7rocprim17ROCPRIM_400000_NS6detail17trampoline_kernelINS0_14default_configENS1_27lower_bound_config_selectorIjjEEZNS1_14transform_implILb0ES3_S5_N6thrust23THRUST_200600_302600_NS17counting_iteratorIjNS8_11use_defaultESA_SA_EENS8_6detail15normal_iteratorINS8_10device_ptrIjEEEEZNS1_13binary_searchIS3_S5_SG_SB_SG_NS1_21lower_bound_search_opENSC_16wrapped_functionINS0_4lessIvEEbEEEE10hipError_tPvRmT1_T2_T3_mmT4_T5_P12ihipStream_tbEUlRKjE_EESN_SR_SS_mST_SW_bEUlT_E_NS1_11comp_targetILNS1_3genE5ELNS1_11target_archE942ELNS1_3gpuE9ELNS1_3repE0EEENS1_30default_config_static_selectorELNS0_4arch9wavefront6targetE0EEEvSQ_ ; -- Begin function _ZN7rocprim17ROCPRIM_400000_NS6detail17trampoline_kernelINS0_14default_configENS1_27lower_bound_config_selectorIjjEEZNS1_14transform_implILb0ES3_S5_N6thrust23THRUST_200600_302600_NS17counting_iteratorIjNS8_11use_defaultESA_SA_EENS8_6detail15normal_iteratorINS8_10device_ptrIjEEEEZNS1_13binary_searchIS3_S5_SG_SB_SG_NS1_21lower_bound_search_opENSC_16wrapped_functionINS0_4lessIvEEbEEEE10hipError_tPvRmT1_T2_T3_mmT4_T5_P12ihipStream_tbEUlRKjE_EESN_SR_SS_mST_SW_bEUlT_E_NS1_11comp_targetILNS1_3genE5ELNS1_11target_archE942ELNS1_3gpuE9ELNS1_3repE0EEENS1_30default_config_static_selectorELNS0_4arch9wavefront6targetE0EEEvSQ_
	.globl	_ZN7rocprim17ROCPRIM_400000_NS6detail17trampoline_kernelINS0_14default_configENS1_27lower_bound_config_selectorIjjEEZNS1_14transform_implILb0ES3_S5_N6thrust23THRUST_200600_302600_NS17counting_iteratorIjNS8_11use_defaultESA_SA_EENS8_6detail15normal_iteratorINS8_10device_ptrIjEEEEZNS1_13binary_searchIS3_S5_SG_SB_SG_NS1_21lower_bound_search_opENSC_16wrapped_functionINS0_4lessIvEEbEEEE10hipError_tPvRmT1_T2_T3_mmT4_T5_P12ihipStream_tbEUlRKjE_EESN_SR_SS_mST_SW_bEUlT_E_NS1_11comp_targetILNS1_3genE5ELNS1_11target_archE942ELNS1_3gpuE9ELNS1_3repE0EEENS1_30default_config_static_selectorELNS0_4arch9wavefront6targetE0EEEvSQ_
	.p2align	8
	.type	_ZN7rocprim17ROCPRIM_400000_NS6detail17trampoline_kernelINS0_14default_configENS1_27lower_bound_config_selectorIjjEEZNS1_14transform_implILb0ES3_S5_N6thrust23THRUST_200600_302600_NS17counting_iteratorIjNS8_11use_defaultESA_SA_EENS8_6detail15normal_iteratorINS8_10device_ptrIjEEEEZNS1_13binary_searchIS3_S5_SG_SB_SG_NS1_21lower_bound_search_opENSC_16wrapped_functionINS0_4lessIvEEbEEEE10hipError_tPvRmT1_T2_T3_mmT4_T5_P12ihipStream_tbEUlRKjE_EESN_SR_SS_mST_SW_bEUlT_E_NS1_11comp_targetILNS1_3genE5ELNS1_11target_archE942ELNS1_3gpuE9ELNS1_3repE0EEENS1_30default_config_static_selectorELNS0_4arch9wavefront6targetE0EEEvSQ_,@function
_ZN7rocprim17ROCPRIM_400000_NS6detail17trampoline_kernelINS0_14default_configENS1_27lower_bound_config_selectorIjjEEZNS1_14transform_implILb0ES3_S5_N6thrust23THRUST_200600_302600_NS17counting_iteratorIjNS8_11use_defaultESA_SA_EENS8_6detail15normal_iteratorINS8_10device_ptrIjEEEEZNS1_13binary_searchIS3_S5_SG_SB_SG_NS1_21lower_bound_search_opENSC_16wrapped_functionINS0_4lessIvEEbEEEE10hipError_tPvRmT1_T2_T3_mmT4_T5_P12ihipStream_tbEUlRKjE_EESN_SR_SS_mST_SW_bEUlT_E_NS1_11comp_targetILNS1_3genE5ELNS1_11target_archE942ELNS1_3gpuE9ELNS1_3repE0EEENS1_30default_config_static_selectorELNS0_4arch9wavefront6targetE0EEEvSQ_: ; @_ZN7rocprim17ROCPRIM_400000_NS6detail17trampoline_kernelINS0_14default_configENS1_27lower_bound_config_selectorIjjEEZNS1_14transform_implILb0ES3_S5_N6thrust23THRUST_200600_302600_NS17counting_iteratorIjNS8_11use_defaultESA_SA_EENS8_6detail15normal_iteratorINS8_10device_ptrIjEEEEZNS1_13binary_searchIS3_S5_SG_SB_SG_NS1_21lower_bound_search_opENSC_16wrapped_functionINS0_4lessIvEEbEEEE10hipError_tPvRmT1_T2_T3_mmT4_T5_P12ihipStream_tbEUlRKjE_EESN_SR_SS_mST_SW_bEUlT_E_NS1_11comp_targetILNS1_3genE5ELNS1_11target_archE942ELNS1_3gpuE9ELNS1_3repE0EEENS1_30default_config_static_selectorELNS0_4arch9wavefront6targetE0EEEvSQ_
; %bb.0:
	.section	.rodata,"a",@progbits
	.p2align	6, 0x0
	.amdhsa_kernel _ZN7rocprim17ROCPRIM_400000_NS6detail17trampoline_kernelINS0_14default_configENS1_27lower_bound_config_selectorIjjEEZNS1_14transform_implILb0ES3_S5_N6thrust23THRUST_200600_302600_NS17counting_iteratorIjNS8_11use_defaultESA_SA_EENS8_6detail15normal_iteratorINS8_10device_ptrIjEEEEZNS1_13binary_searchIS3_S5_SG_SB_SG_NS1_21lower_bound_search_opENSC_16wrapped_functionINS0_4lessIvEEbEEEE10hipError_tPvRmT1_T2_T3_mmT4_T5_P12ihipStream_tbEUlRKjE_EESN_SR_SS_mST_SW_bEUlT_E_NS1_11comp_targetILNS1_3genE5ELNS1_11target_archE942ELNS1_3gpuE9ELNS1_3repE0EEENS1_30default_config_static_selectorELNS0_4arch9wavefront6targetE0EEEvSQ_
		.amdhsa_group_segment_fixed_size 0
		.amdhsa_private_segment_fixed_size 0
		.amdhsa_kernarg_size 56
		.amdhsa_user_sgpr_count 2
		.amdhsa_user_sgpr_dispatch_ptr 0
		.amdhsa_user_sgpr_queue_ptr 0
		.amdhsa_user_sgpr_kernarg_segment_ptr 1
		.amdhsa_user_sgpr_dispatch_id 0
		.amdhsa_user_sgpr_kernarg_preload_length 0
		.amdhsa_user_sgpr_kernarg_preload_offset 0
		.amdhsa_user_sgpr_private_segment_size 0
		.amdhsa_wavefront_size32 1
		.amdhsa_uses_dynamic_stack 0
		.amdhsa_enable_private_segment 0
		.amdhsa_system_sgpr_workgroup_id_x 1
		.amdhsa_system_sgpr_workgroup_id_y 0
		.amdhsa_system_sgpr_workgroup_id_z 0
		.amdhsa_system_sgpr_workgroup_info 0
		.amdhsa_system_vgpr_workitem_id 0
		.amdhsa_next_free_vgpr 1
		.amdhsa_next_free_sgpr 1
		.amdhsa_named_barrier_count 0
		.amdhsa_reserve_vcc 0
		.amdhsa_float_round_mode_32 0
		.amdhsa_float_round_mode_16_64 0
		.amdhsa_float_denorm_mode_32 3
		.amdhsa_float_denorm_mode_16_64 3
		.amdhsa_fp16_overflow 0
		.amdhsa_memory_ordered 1
		.amdhsa_forward_progress 1
		.amdhsa_inst_pref_size 0
		.amdhsa_round_robin_scheduling 0
		.amdhsa_exception_fp_ieee_invalid_op 0
		.amdhsa_exception_fp_denorm_src 0
		.amdhsa_exception_fp_ieee_div_zero 0
		.amdhsa_exception_fp_ieee_overflow 0
		.amdhsa_exception_fp_ieee_underflow 0
		.amdhsa_exception_fp_ieee_inexact 0
		.amdhsa_exception_int_div_zero 0
	.end_amdhsa_kernel
	.section	.text._ZN7rocprim17ROCPRIM_400000_NS6detail17trampoline_kernelINS0_14default_configENS1_27lower_bound_config_selectorIjjEEZNS1_14transform_implILb0ES3_S5_N6thrust23THRUST_200600_302600_NS17counting_iteratorIjNS8_11use_defaultESA_SA_EENS8_6detail15normal_iteratorINS8_10device_ptrIjEEEEZNS1_13binary_searchIS3_S5_SG_SB_SG_NS1_21lower_bound_search_opENSC_16wrapped_functionINS0_4lessIvEEbEEEE10hipError_tPvRmT1_T2_T3_mmT4_T5_P12ihipStream_tbEUlRKjE_EESN_SR_SS_mST_SW_bEUlT_E_NS1_11comp_targetILNS1_3genE5ELNS1_11target_archE942ELNS1_3gpuE9ELNS1_3repE0EEENS1_30default_config_static_selectorELNS0_4arch9wavefront6targetE0EEEvSQ_,"axG",@progbits,_ZN7rocprim17ROCPRIM_400000_NS6detail17trampoline_kernelINS0_14default_configENS1_27lower_bound_config_selectorIjjEEZNS1_14transform_implILb0ES3_S5_N6thrust23THRUST_200600_302600_NS17counting_iteratorIjNS8_11use_defaultESA_SA_EENS8_6detail15normal_iteratorINS8_10device_ptrIjEEEEZNS1_13binary_searchIS3_S5_SG_SB_SG_NS1_21lower_bound_search_opENSC_16wrapped_functionINS0_4lessIvEEbEEEE10hipError_tPvRmT1_T2_T3_mmT4_T5_P12ihipStream_tbEUlRKjE_EESN_SR_SS_mST_SW_bEUlT_E_NS1_11comp_targetILNS1_3genE5ELNS1_11target_archE942ELNS1_3gpuE9ELNS1_3repE0EEENS1_30default_config_static_selectorELNS0_4arch9wavefront6targetE0EEEvSQ_,comdat
.Lfunc_end231:
	.size	_ZN7rocprim17ROCPRIM_400000_NS6detail17trampoline_kernelINS0_14default_configENS1_27lower_bound_config_selectorIjjEEZNS1_14transform_implILb0ES3_S5_N6thrust23THRUST_200600_302600_NS17counting_iteratorIjNS8_11use_defaultESA_SA_EENS8_6detail15normal_iteratorINS8_10device_ptrIjEEEEZNS1_13binary_searchIS3_S5_SG_SB_SG_NS1_21lower_bound_search_opENSC_16wrapped_functionINS0_4lessIvEEbEEEE10hipError_tPvRmT1_T2_T3_mmT4_T5_P12ihipStream_tbEUlRKjE_EESN_SR_SS_mST_SW_bEUlT_E_NS1_11comp_targetILNS1_3genE5ELNS1_11target_archE942ELNS1_3gpuE9ELNS1_3repE0EEENS1_30default_config_static_selectorELNS0_4arch9wavefront6targetE0EEEvSQ_, .Lfunc_end231-_ZN7rocprim17ROCPRIM_400000_NS6detail17trampoline_kernelINS0_14default_configENS1_27lower_bound_config_selectorIjjEEZNS1_14transform_implILb0ES3_S5_N6thrust23THRUST_200600_302600_NS17counting_iteratorIjNS8_11use_defaultESA_SA_EENS8_6detail15normal_iteratorINS8_10device_ptrIjEEEEZNS1_13binary_searchIS3_S5_SG_SB_SG_NS1_21lower_bound_search_opENSC_16wrapped_functionINS0_4lessIvEEbEEEE10hipError_tPvRmT1_T2_T3_mmT4_T5_P12ihipStream_tbEUlRKjE_EESN_SR_SS_mST_SW_bEUlT_E_NS1_11comp_targetILNS1_3genE5ELNS1_11target_archE942ELNS1_3gpuE9ELNS1_3repE0EEENS1_30default_config_static_selectorELNS0_4arch9wavefront6targetE0EEEvSQ_
                                        ; -- End function
	.set _ZN7rocprim17ROCPRIM_400000_NS6detail17trampoline_kernelINS0_14default_configENS1_27lower_bound_config_selectorIjjEEZNS1_14transform_implILb0ES3_S5_N6thrust23THRUST_200600_302600_NS17counting_iteratorIjNS8_11use_defaultESA_SA_EENS8_6detail15normal_iteratorINS8_10device_ptrIjEEEEZNS1_13binary_searchIS3_S5_SG_SB_SG_NS1_21lower_bound_search_opENSC_16wrapped_functionINS0_4lessIvEEbEEEE10hipError_tPvRmT1_T2_T3_mmT4_T5_P12ihipStream_tbEUlRKjE_EESN_SR_SS_mST_SW_bEUlT_E_NS1_11comp_targetILNS1_3genE5ELNS1_11target_archE942ELNS1_3gpuE9ELNS1_3repE0EEENS1_30default_config_static_selectorELNS0_4arch9wavefront6targetE0EEEvSQ_.num_vgpr, 0
	.set _ZN7rocprim17ROCPRIM_400000_NS6detail17trampoline_kernelINS0_14default_configENS1_27lower_bound_config_selectorIjjEEZNS1_14transform_implILb0ES3_S5_N6thrust23THRUST_200600_302600_NS17counting_iteratorIjNS8_11use_defaultESA_SA_EENS8_6detail15normal_iteratorINS8_10device_ptrIjEEEEZNS1_13binary_searchIS3_S5_SG_SB_SG_NS1_21lower_bound_search_opENSC_16wrapped_functionINS0_4lessIvEEbEEEE10hipError_tPvRmT1_T2_T3_mmT4_T5_P12ihipStream_tbEUlRKjE_EESN_SR_SS_mST_SW_bEUlT_E_NS1_11comp_targetILNS1_3genE5ELNS1_11target_archE942ELNS1_3gpuE9ELNS1_3repE0EEENS1_30default_config_static_selectorELNS0_4arch9wavefront6targetE0EEEvSQ_.num_agpr, 0
	.set _ZN7rocprim17ROCPRIM_400000_NS6detail17trampoline_kernelINS0_14default_configENS1_27lower_bound_config_selectorIjjEEZNS1_14transform_implILb0ES3_S5_N6thrust23THRUST_200600_302600_NS17counting_iteratorIjNS8_11use_defaultESA_SA_EENS8_6detail15normal_iteratorINS8_10device_ptrIjEEEEZNS1_13binary_searchIS3_S5_SG_SB_SG_NS1_21lower_bound_search_opENSC_16wrapped_functionINS0_4lessIvEEbEEEE10hipError_tPvRmT1_T2_T3_mmT4_T5_P12ihipStream_tbEUlRKjE_EESN_SR_SS_mST_SW_bEUlT_E_NS1_11comp_targetILNS1_3genE5ELNS1_11target_archE942ELNS1_3gpuE9ELNS1_3repE0EEENS1_30default_config_static_selectorELNS0_4arch9wavefront6targetE0EEEvSQ_.numbered_sgpr, 0
	.set _ZN7rocprim17ROCPRIM_400000_NS6detail17trampoline_kernelINS0_14default_configENS1_27lower_bound_config_selectorIjjEEZNS1_14transform_implILb0ES3_S5_N6thrust23THRUST_200600_302600_NS17counting_iteratorIjNS8_11use_defaultESA_SA_EENS8_6detail15normal_iteratorINS8_10device_ptrIjEEEEZNS1_13binary_searchIS3_S5_SG_SB_SG_NS1_21lower_bound_search_opENSC_16wrapped_functionINS0_4lessIvEEbEEEE10hipError_tPvRmT1_T2_T3_mmT4_T5_P12ihipStream_tbEUlRKjE_EESN_SR_SS_mST_SW_bEUlT_E_NS1_11comp_targetILNS1_3genE5ELNS1_11target_archE942ELNS1_3gpuE9ELNS1_3repE0EEENS1_30default_config_static_selectorELNS0_4arch9wavefront6targetE0EEEvSQ_.num_named_barrier, 0
	.set _ZN7rocprim17ROCPRIM_400000_NS6detail17trampoline_kernelINS0_14default_configENS1_27lower_bound_config_selectorIjjEEZNS1_14transform_implILb0ES3_S5_N6thrust23THRUST_200600_302600_NS17counting_iteratorIjNS8_11use_defaultESA_SA_EENS8_6detail15normal_iteratorINS8_10device_ptrIjEEEEZNS1_13binary_searchIS3_S5_SG_SB_SG_NS1_21lower_bound_search_opENSC_16wrapped_functionINS0_4lessIvEEbEEEE10hipError_tPvRmT1_T2_T3_mmT4_T5_P12ihipStream_tbEUlRKjE_EESN_SR_SS_mST_SW_bEUlT_E_NS1_11comp_targetILNS1_3genE5ELNS1_11target_archE942ELNS1_3gpuE9ELNS1_3repE0EEENS1_30default_config_static_selectorELNS0_4arch9wavefront6targetE0EEEvSQ_.private_seg_size, 0
	.set _ZN7rocprim17ROCPRIM_400000_NS6detail17trampoline_kernelINS0_14default_configENS1_27lower_bound_config_selectorIjjEEZNS1_14transform_implILb0ES3_S5_N6thrust23THRUST_200600_302600_NS17counting_iteratorIjNS8_11use_defaultESA_SA_EENS8_6detail15normal_iteratorINS8_10device_ptrIjEEEEZNS1_13binary_searchIS3_S5_SG_SB_SG_NS1_21lower_bound_search_opENSC_16wrapped_functionINS0_4lessIvEEbEEEE10hipError_tPvRmT1_T2_T3_mmT4_T5_P12ihipStream_tbEUlRKjE_EESN_SR_SS_mST_SW_bEUlT_E_NS1_11comp_targetILNS1_3genE5ELNS1_11target_archE942ELNS1_3gpuE9ELNS1_3repE0EEENS1_30default_config_static_selectorELNS0_4arch9wavefront6targetE0EEEvSQ_.uses_vcc, 0
	.set _ZN7rocprim17ROCPRIM_400000_NS6detail17trampoline_kernelINS0_14default_configENS1_27lower_bound_config_selectorIjjEEZNS1_14transform_implILb0ES3_S5_N6thrust23THRUST_200600_302600_NS17counting_iteratorIjNS8_11use_defaultESA_SA_EENS8_6detail15normal_iteratorINS8_10device_ptrIjEEEEZNS1_13binary_searchIS3_S5_SG_SB_SG_NS1_21lower_bound_search_opENSC_16wrapped_functionINS0_4lessIvEEbEEEE10hipError_tPvRmT1_T2_T3_mmT4_T5_P12ihipStream_tbEUlRKjE_EESN_SR_SS_mST_SW_bEUlT_E_NS1_11comp_targetILNS1_3genE5ELNS1_11target_archE942ELNS1_3gpuE9ELNS1_3repE0EEENS1_30default_config_static_selectorELNS0_4arch9wavefront6targetE0EEEvSQ_.uses_flat_scratch, 0
	.set _ZN7rocprim17ROCPRIM_400000_NS6detail17trampoline_kernelINS0_14default_configENS1_27lower_bound_config_selectorIjjEEZNS1_14transform_implILb0ES3_S5_N6thrust23THRUST_200600_302600_NS17counting_iteratorIjNS8_11use_defaultESA_SA_EENS8_6detail15normal_iteratorINS8_10device_ptrIjEEEEZNS1_13binary_searchIS3_S5_SG_SB_SG_NS1_21lower_bound_search_opENSC_16wrapped_functionINS0_4lessIvEEbEEEE10hipError_tPvRmT1_T2_T3_mmT4_T5_P12ihipStream_tbEUlRKjE_EESN_SR_SS_mST_SW_bEUlT_E_NS1_11comp_targetILNS1_3genE5ELNS1_11target_archE942ELNS1_3gpuE9ELNS1_3repE0EEENS1_30default_config_static_selectorELNS0_4arch9wavefront6targetE0EEEvSQ_.has_dyn_sized_stack, 0
	.set _ZN7rocprim17ROCPRIM_400000_NS6detail17trampoline_kernelINS0_14default_configENS1_27lower_bound_config_selectorIjjEEZNS1_14transform_implILb0ES3_S5_N6thrust23THRUST_200600_302600_NS17counting_iteratorIjNS8_11use_defaultESA_SA_EENS8_6detail15normal_iteratorINS8_10device_ptrIjEEEEZNS1_13binary_searchIS3_S5_SG_SB_SG_NS1_21lower_bound_search_opENSC_16wrapped_functionINS0_4lessIvEEbEEEE10hipError_tPvRmT1_T2_T3_mmT4_T5_P12ihipStream_tbEUlRKjE_EESN_SR_SS_mST_SW_bEUlT_E_NS1_11comp_targetILNS1_3genE5ELNS1_11target_archE942ELNS1_3gpuE9ELNS1_3repE0EEENS1_30default_config_static_selectorELNS0_4arch9wavefront6targetE0EEEvSQ_.has_recursion, 0
	.set _ZN7rocprim17ROCPRIM_400000_NS6detail17trampoline_kernelINS0_14default_configENS1_27lower_bound_config_selectorIjjEEZNS1_14transform_implILb0ES3_S5_N6thrust23THRUST_200600_302600_NS17counting_iteratorIjNS8_11use_defaultESA_SA_EENS8_6detail15normal_iteratorINS8_10device_ptrIjEEEEZNS1_13binary_searchIS3_S5_SG_SB_SG_NS1_21lower_bound_search_opENSC_16wrapped_functionINS0_4lessIvEEbEEEE10hipError_tPvRmT1_T2_T3_mmT4_T5_P12ihipStream_tbEUlRKjE_EESN_SR_SS_mST_SW_bEUlT_E_NS1_11comp_targetILNS1_3genE5ELNS1_11target_archE942ELNS1_3gpuE9ELNS1_3repE0EEENS1_30default_config_static_selectorELNS0_4arch9wavefront6targetE0EEEvSQ_.has_indirect_call, 0
	.section	.AMDGPU.csdata,"",@progbits
; Kernel info:
; codeLenInByte = 0
; TotalNumSgprs: 0
; NumVgprs: 0
; ScratchSize: 0
; MemoryBound: 0
; FloatMode: 240
; IeeeMode: 1
; LDSByteSize: 0 bytes/workgroup (compile time only)
; SGPRBlocks: 0
; VGPRBlocks: 0
; NumSGPRsForWavesPerEU: 1
; NumVGPRsForWavesPerEU: 1
; NamedBarCnt: 0
; Occupancy: 16
; WaveLimiterHint : 0
; COMPUTE_PGM_RSRC2:SCRATCH_EN: 0
; COMPUTE_PGM_RSRC2:USER_SGPR: 2
; COMPUTE_PGM_RSRC2:TRAP_HANDLER: 0
; COMPUTE_PGM_RSRC2:TGID_X_EN: 1
; COMPUTE_PGM_RSRC2:TGID_Y_EN: 0
; COMPUTE_PGM_RSRC2:TGID_Z_EN: 0
; COMPUTE_PGM_RSRC2:TIDIG_COMP_CNT: 0
	.section	.text._ZN7rocprim17ROCPRIM_400000_NS6detail17trampoline_kernelINS0_14default_configENS1_27lower_bound_config_selectorIjjEEZNS1_14transform_implILb0ES3_S5_N6thrust23THRUST_200600_302600_NS17counting_iteratorIjNS8_11use_defaultESA_SA_EENS8_6detail15normal_iteratorINS8_10device_ptrIjEEEEZNS1_13binary_searchIS3_S5_SG_SB_SG_NS1_21lower_bound_search_opENSC_16wrapped_functionINS0_4lessIvEEbEEEE10hipError_tPvRmT1_T2_T3_mmT4_T5_P12ihipStream_tbEUlRKjE_EESN_SR_SS_mST_SW_bEUlT_E_NS1_11comp_targetILNS1_3genE4ELNS1_11target_archE910ELNS1_3gpuE8ELNS1_3repE0EEENS1_30default_config_static_selectorELNS0_4arch9wavefront6targetE0EEEvSQ_,"axG",@progbits,_ZN7rocprim17ROCPRIM_400000_NS6detail17trampoline_kernelINS0_14default_configENS1_27lower_bound_config_selectorIjjEEZNS1_14transform_implILb0ES3_S5_N6thrust23THRUST_200600_302600_NS17counting_iteratorIjNS8_11use_defaultESA_SA_EENS8_6detail15normal_iteratorINS8_10device_ptrIjEEEEZNS1_13binary_searchIS3_S5_SG_SB_SG_NS1_21lower_bound_search_opENSC_16wrapped_functionINS0_4lessIvEEbEEEE10hipError_tPvRmT1_T2_T3_mmT4_T5_P12ihipStream_tbEUlRKjE_EESN_SR_SS_mST_SW_bEUlT_E_NS1_11comp_targetILNS1_3genE4ELNS1_11target_archE910ELNS1_3gpuE8ELNS1_3repE0EEENS1_30default_config_static_selectorELNS0_4arch9wavefront6targetE0EEEvSQ_,comdat
	.protected	_ZN7rocprim17ROCPRIM_400000_NS6detail17trampoline_kernelINS0_14default_configENS1_27lower_bound_config_selectorIjjEEZNS1_14transform_implILb0ES3_S5_N6thrust23THRUST_200600_302600_NS17counting_iteratorIjNS8_11use_defaultESA_SA_EENS8_6detail15normal_iteratorINS8_10device_ptrIjEEEEZNS1_13binary_searchIS3_S5_SG_SB_SG_NS1_21lower_bound_search_opENSC_16wrapped_functionINS0_4lessIvEEbEEEE10hipError_tPvRmT1_T2_T3_mmT4_T5_P12ihipStream_tbEUlRKjE_EESN_SR_SS_mST_SW_bEUlT_E_NS1_11comp_targetILNS1_3genE4ELNS1_11target_archE910ELNS1_3gpuE8ELNS1_3repE0EEENS1_30default_config_static_selectorELNS0_4arch9wavefront6targetE0EEEvSQ_ ; -- Begin function _ZN7rocprim17ROCPRIM_400000_NS6detail17trampoline_kernelINS0_14default_configENS1_27lower_bound_config_selectorIjjEEZNS1_14transform_implILb0ES3_S5_N6thrust23THRUST_200600_302600_NS17counting_iteratorIjNS8_11use_defaultESA_SA_EENS8_6detail15normal_iteratorINS8_10device_ptrIjEEEEZNS1_13binary_searchIS3_S5_SG_SB_SG_NS1_21lower_bound_search_opENSC_16wrapped_functionINS0_4lessIvEEbEEEE10hipError_tPvRmT1_T2_T3_mmT4_T5_P12ihipStream_tbEUlRKjE_EESN_SR_SS_mST_SW_bEUlT_E_NS1_11comp_targetILNS1_3genE4ELNS1_11target_archE910ELNS1_3gpuE8ELNS1_3repE0EEENS1_30default_config_static_selectorELNS0_4arch9wavefront6targetE0EEEvSQ_
	.globl	_ZN7rocprim17ROCPRIM_400000_NS6detail17trampoline_kernelINS0_14default_configENS1_27lower_bound_config_selectorIjjEEZNS1_14transform_implILb0ES3_S5_N6thrust23THRUST_200600_302600_NS17counting_iteratorIjNS8_11use_defaultESA_SA_EENS8_6detail15normal_iteratorINS8_10device_ptrIjEEEEZNS1_13binary_searchIS3_S5_SG_SB_SG_NS1_21lower_bound_search_opENSC_16wrapped_functionINS0_4lessIvEEbEEEE10hipError_tPvRmT1_T2_T3_mmT4_T5_P12ihipStream_tbEUlRKjE_EESN_SR_SS_mST_SW_bEUlT_E_NS1_11comp_targetILNS1_3genE4ELNS1_11target_archE910ELNS1_3gpuE8ELNS1_3repE0EEENS1_30default_config_static_selectorELNS0_4arch9wavefront6targetE0EEEvSQ_
	.p2align	8
	.type	_ZN7rocprim17ROCPRIM_400000_NS6detail17trampoline_kernelINS0_14default_configENS1_27lower_bound_config_selectorIjjEEZNS1_14transform_implILb0ES3_S5_N6thrust23THRUST_200600_302600_NS17counting_iteratorIjNS8_11use_defaultESA_SA_EENS8_6detail15normal_iteratorINS8_10device_ptrIjEEEEZNS1_13binary_searchIS3_S5_SG_SB_SG_NS1_21lower_bound_search_opENSC_16wrapped_functionINS0_4lessIvEEbEEEE10hipError_tPvRmT1_T2_T3_mmT4_T5_P12ihipStream_tbEUlRKjE_EESN_SR_SS_mST_SW_bEUlT_E_NS1_11comp_targetILNS1_3genE4ELNS1_11target_archE910ELNS1_3gpuE8ELNS1_3repE0EEENS1_30default_config_static_selectorELNS0_4arch9wavefront6targetE0EEEvSQ_,@function
_ZN7rocprim17ROCPRIM_400000_NS6detail17trampoline_kernelINS0_14default_configENS1_27lower_bound_config_selectorIjjEEZNS1_14transform_implILb0ES3_S5_N6thrust23THRUST_200600_302600_NS17counting_iteratorIjNS8_11use_defaultESA_SA_EENS8_6detail15normal_iteratorINS8_10device_ptrIjEEEEZNS1_13binary_searchIS3_S5_SG_SB_SG_NS1_21lower_bound_search_opENSC_16wrapped_functionINS0_4lessIvEEbEEEE10hipError_tPvRmT1_T2_T3_mmT4_T5_P12ihipStream_tbEUlRKjE_EESN_SR_SS_mST_SW_bEUlT_E_NS1_11comp_targetILNS1_3genE4ELNS1_11target_archE910ELNS1_3gpuE8ELNS1_3repE0EEENS1_30default_config_static_selectorELNS0_4arch9wavefront6targetE0EEEvSQ_: ; @_ZN7rocprim17ROCPRIM_400000_NS6detail17trampoline_kernelINS0_14default_configENS1_27lower_bound_config_selectorIjjEEZNS1_14transform_implILb0ES3_S5_N6thrust23THRUST_200600_302600_NS17counting_iteratorIjNS8_11use_defaultESA_SA_EENS8_6detail15normal_iteratorINS8_10device_ptrIjEEEEZNS1_13binary_searchIS3_S5_SG_SB_SG_NS1_21lower_bound_search_opENSC_16wrapped_functionINS0_4lessIvEEbEEEE10hipError_tPvRmT1_T2_T3_mmT4_T5_P12ihipStream_tbEUlRKjE_EESN_SR_SS_mST_SW_bEUlT_E_NS1_11comp_targetILNS1_3genE4ELNS1_11target_archE910ELNS1_3gpuE8ELNS1_3repE0EEENS1_30default_config_static_selectorELNS0_4arch9wavefront6targetE0EEEvSQ_
; %bb.0:
	.section	.rodata,"a",@progbits
	.p2align	6, 0x0
	.amdhsa_kernel _ZN7rocprim17ROCPRIM_400000_NS6detail17trampoline_kernelINS0_14default_configENS1_27lower_bound_config_selectorIjjEEZNS1_14transform_implILb0ES3_S5_N6thrust23THRUST_200600_302600_NS17counting_iteratorIjNS8_11use_defaultESA_SA_EENS8_6detail15normal_iteratorINS8_10device_ptrIjEEEEZNS1_13binary_searchIS3_S5_SG_SB_SG_NS1_21lower_bound_search_opENSC_16wrapped_functionINS0_4lessIvEEbEEEE10hipError_tPvRmT1_T2_T3_mmT4_T5_P12ihipStream_tbEUlRKjE_EESN_SR_SS_mST_SW_bEUlT_E_NS1_11comp_targetILNS1_3genE4ELNS1_11target_archE910ELNS1_3gpuE8ELNS1_3repE0EEENS1_30default_config_static_selectorELNS0_4arch9wavefront6targetE0EEEvSQ_
		.amdhsa_group_segment_fixed_size 0
		.amdhsa_private_segment_fixed_size 0
		.amdhsa_kernarg_size 56
		.amdhsa_user_sgpr_count 2
		.amdhsa_user_sgpr_dispatch_ptr 0
		.amdhsa_user_sgpr_queue_ptr 0
		.amdhsa_user_sgpr_kernarg_segment_ptr 1
		.amdhsa_user_sgpr_dispatch_id 0
		.amdhsa_user_sgpr_kernarg_preload_length 0
		.amdhsa_user_sgpr_kernarg_preload_offset 0
		.amdhsa_user_sgpr_private_segment_size 0
		.amdhsa_wavefront_size32 1
		.amdhsa_uses_dynamic_stack 0
		.amdhsa_enable_private_segment 0
		.amdhsa_system_sgpr_workgroup_id_x 1
		.amdhsa_system_sgpr_workgroup_id_y 0
		.amdhsa_system_sgpr_workgroup_id_z 0
		.amdhsa_system_sgpr_workgroup_info 0
		.amdhsa_system_vgpr_workitem_id 0
		.amdhsa_next_free_vgpr 1
		.amdhsa_next_free_sgpr 1
		.amdhsa_named_barrier_count 0
		.amdhsa_reserve_vcc 0
		.amdhsa_float_round_mode_32 0
		.amdhsa_float_round_mode_16_64 0
		.amdhsa_float_denorm_mode_32 3
		.amdhsa_float_denorm_mode_16_64 3
		.amdhsa_fp16_overflow 0
		.amdhsa_memory_ordered 1
		.amdhsa_forward_progress 1
		.amdhsa_inst_pref_size 0
		.amdhsa_round_robin_scheduling 0
		.amdhsa_exception_fp_ieee_invalid_op 0
		.amdhsa_exception_fp_denorm_src 0
		.amdhsa_exception_fp_ieee_div_zero 0
		.amdhsa_exception_fp_ieee_overflow 0
		.amdhsa_exception_fp_ieee_underflow 0
		.amdhsa_exception_fp_ieee_inexact 0
		.amdhsa_exception_int_div_zero 0
	.end_amdhsa_kernel
	.section	.text._ZN7rocprim17ROCPRIM_400000_NS6detail17trampoline_kernelINS0_14default_configENS1_27lower_bound_config_selectorIjjEEZNS1_14transform_implILb0ES3_S5_N6thrust23THRUST_200600_302600_NS17counting_iteratorIjNS8_11use_defaultESA_SA_EENS8_6detail15normal_iteratorINS8_10device_ptrIjEEEEZNS1_13binary_searchIS3_S5_SG_SB_SG_NS1_21lower_bound_search_opENSC_16wrapped_functionINS0_4lessIvEEbEEEE10hipError_tPvRmT1_T2_T3_mmT4_T5_P12ihipStream_tbEUlRKjE_EESN_SR_SS_mST_SW_bEUlT_E_NS1_11comp_targetILNS1_3genE4ELNS1_11target_archE910ELNS1_3gpuE8ELNS1_3repE0EEENS1_30default_config_static_selectorELNS0_4arch9wavefront6targetE0EEEvSQ_,"axG",@progbits,_ZN7rocprim17ROCPRIM_400000_NS6detail17trampoline_kernelINS0_14default_configENS1_27lower_bound_config_selectorIjjEEZNS1_14transform_implILb0ES3_S5_N6thrust23THRUST_200600_302600_NS17counting_iteratorIjNS8_11use_defaultESA_SA_EENS8_6detail15normal_iteratorINS8_10device_ptrIjEEEEZNS1_13binary_searchIS3_S5_SG_SB_SG_NS1_21lower_bound_search_opENSC_16wrapped_functionINS0_4lessIvEEbEEEE10hipError_tPvRmT1_T2_T3_mmT4_T5_P12ihipStream_tbEUlRKjE_EESN_SR_SS_mST_SW_bEUlT_E_NS1_11comp_targetILNS1_3genE4ELNS1_11target_archE910ELNS1_3gpuE8ELNS1_3repE0EEENS1_30default_config_static_selectorELNS0_4arch9wavefront6targetE0EEEvSQ_,comdat
.Lfunc_end232:
	.size	_ZN7rocprim17ROCPRIM_400000_NS6detail17trampoline_kernelINS0_14default_configENS1_27lower_bound_config_selectorIjjEEZNS1_14transform_implILb0ES3_S5_N6thrust23THRUST_200600_302600_NS17counting_iteratorIjNS8_11use_defaultESA_SA_EENS8_6detail15normal_iteratorINS8_10device_ptrIjEEEEZNS1_13binary_searchIS3_S5_SG_SB_SG_NS1_21lower_bound_search_opENSC_16wrapped_functionINS0_4lessIvEEbEEEE10hipError_tPvRmT1_T2_T3_mmT4_T5_P12ihipStream_tbEUlRKjE_EESN_SR_SS_mST_SW_bEUlT_E_NS1_11comp_targetILNS1_3genE4ELNS1_11target_archE910ELNS1_3gpuE8ELNS1_3repE0EEENS1_30default_config_static_selectorELNS0_4arch9wavefront6targetE0EEEvSQ_, .Lfunc_end232-_ZN7rocprim17ROCPRIM_400000_NS6detail17trampoline_kernelINS0_14default_configENS1_27lower_bound_config_selectorIjjEEZNS1_14transform_implILb0ES3_S5_N6thrust23THRUST_200600_302600_NS17counting_iteratorIjNS8_11use_defaultESA_SA_EENS8_6detail15normal_iteratorINS8_10device_ptrIjEEEEZNS1_13binary_searchIS3_S5_SG_SB_SG_NS1_21lower_bound_search_opENSC_16wrapped_functionINS0_4lessIvEEbEEEE10hipError_tPvRmT1_T2_T3_mmT4_T5_P12ihipStream_tbEUlRKjE_EESN_SR_SS_mST_SW_bEUlT_E_NS1_11comp_targetILNS1_3genE4ELNS1_11target_archE910ELNS1_3gpuE8ELNS1_3repE0EEENS1_30default_config_static_selectorELNS0_4arch9wavefront6targetE0EEEvSQ_
                                        ; -- End function
	.set _ZN7rocprim17ROCPRIM_400000_NS6detail17trampoline_kernelINS0_14default_configENS1_27lower_bound_config_selectorIjjEEZNS1_14transform_implILb0ES3_S5_N6thrust23THRUST_200600_302600_NS17counting_iteratorIjNS8_11use_defaultESA_SA_EENS8_6detail15normal_iteratorINS8_10device_ptrIjEEEEZNS1_13binary_searchIS3_S5_SG_SB_SG_NS1_21lower_bound_search_opENSC_16wrapped_functionINS0_4lessIvEEbEEEE10hipError_tPvRmT1_T2_T3_mmT4_T5_P12ihipStream_tbEUlRKjE_EESN_SR_SS_mST_SW_bEUlT_E_NS1_11comp_targetILNS1_3genE4ELNS1_11target_archE910ELNS1_3gpuE8ELNS1_3repE0EEENS1_30default_config_static_selectorELNS0_4arch9wavefront6targetE0EEEvSQ_.num_vgpr, 0
	.set _ZN7rocprim17ROCPRIM_400000_NS6detail17trampoline_kernelINS0_14default_configENS1_27lower_bound_config_selectorIjjEEZNS1_14transform_implILb0ES3_S5_N6thrust23THRUST_200600_302600_NS17counting_iteratorIjNS8_11use_defaultESA_SA_EENS8_6detail15normal_iteratorINS8_10device_ptrIjEEEEZNS1_13binary_searchIS3_S5_SG_SB_SG_NS1_21lower_bound_search_opENSC_16wrapped_functionINS0_4lessIvEEbEEEE10hipError_tPvRmT1_T2_T3_mmT4_T5_P12ihipStream_tbEUlRKjE_EESN_SR_SS_mST_SW_bEUlT_E_NS1_11comp_targetILNS1_3genE4ELNS1_11target_archE910ELNS1_3gpuE8ELNS1_3repE0EEENS1_30default_config_static_selectorELNS0_4arch9wavefront6targetE0EEEvSQ_.num_agpr, 0
	.set _ZN7rocprim17ROCPRIM_400000_NS6detail17trampoline_kernelINS0_14default_configENS1_27lower_bound_config_selectorIjjEEZNS1_14transform_implILb0ES3_S5_N6thrust23THRUST_200600_302600_NS17counting_iteratorIjNS8_11use_defaultESA_SA_EENS8_6detail15normal_iteratorINS8_10device_ptrIjEEEEZNS1_13binary_searchIS3_S5_SG_SB_SG_NS1_21lower_bound_search_opENSC_16wrapped_functionINS0_4lessIvEEbEEEE10hipError_tPvRmT1_T2_T3_mmT4_T5_P12ihipStream_tbEUlRKjE_EESN_SR_SS_mST_SW_bEUlT_E_NS1_11comp_targetILNS1_3genE4ELNS1_11target_archE910ELNS1_3gpuE8ELNS1_3repE0EEENS1_30default_config_static_selectorELNS0_4arch9wavefront6targetE0EEEvSQ_.numbered_sgpr, 0
	.set _ZN7rocprim17ROCPRIM_400000_NS6detail17trampoline_kernelINS0_14default_configENS1_27lower_bound_config_selectorIjjEEZNS1_14transform_implILb0ES3_S5_N6thrust23THRUST_200600_302600_NS17counting_iteratorIjNS8_11use_defaultESA_SA_EENS8_6detail15normal_iteratorINS8_10device_ptrIjEEEEZNS1_13binary_searchIS3_S5_SG_SB_SG_NS1_21lower_bound_search_opENSC_16wrapped_functionINS0_4lessIvEEbEEEE10hipError_tPvRmT1_T2_T3_mmT4_T5_P12ihipStream_tbEUlRKjE_EESN_SR_SS_mST_SW_bEUlT_E_NS1_11comp_targetILNS1_3genE4ELNS1_11target_archE910ELNS1_3gpuE8ELNS1_3repE0EEENS1_30default_config_static_selectorELNS0_4arch9wavefront6targetE0EEEvSQ_.num_named_barrier, 0
	.set _ZN7rocprim17ROCPRIM_400000_NS6detail17trampoline_kernelINS0_14default_configENS1_27lower_bound_config_selectorIjjEEZNS1_14transform_implILb0ES3_S5_N6thrust23THRUST_200600_302600_NS17counting_iteratorIjNS8_11use_defaultESA_SA_EENS8_6detail15normal_iteratorINS8_10device_ptrIjEEEEZNS1_13binary_searchIS3_S5_SG_SB_SG_NS1_21lower_bound_search_opENSC_16wrapped_functionINS0_4lessIvEEbEEEE10hipError_tPvRmT1_T2_T3_mmT4_T5_P12ihipStream_tbEUlRKjE_EESN_SR_SS_mST_SW_bEUlT_E_NS1_11comp_targetILNS1_3genE4ELNS1_11target_archE910ELNS1_3gpuE8ELNS1_3repE0EEENS1_30default_config_static_selectorELNS0_4arch9wavefront6targetE0EEEvSQ_.private_seg_size, 0
	.set _ZN7rocprim17ROCPRIM_400000_NS6detail17trampoline_kernelINS0_14default_configENS1_27lower_bound_config_selectorIjjEEZNS1_14transform_implILb0ES3_S5_N6thrust23THRUST_200600_302600_NS17counting_iteratorIjNS8_11use_defaultESA_SA_EENS8_6detail15normal_iteratorINS8_10device_ptrIjEEEEZNS1_13binary_searchIS3_S5_SG_SB_SG_NS1_21lower_bound_search_opENSC_16wrapped_functionINS0_4lessIvEEbEEEE10hipError_tPvRmT1_T2_T3_mmT4_T5_P12ihipStream_tbEUlRKjE_EESN_SR_SS_mST_SW_bEUlT_E_NS1_11comp_targetILNS1_3genE4ELNS1_11target_archE910ELNS1_3gpuE8ELNS1_3repE0EEENS1_30default_config_static_selectorELNS0_4arch9wavefront6targetE0EEEvSQ_.uses_vcc, 0
	.set _ZN7rocprim17ROCPRIM_400000_NS6detail17trampoline_kernelINS0_14default_configENS1_27lower_bound_config_selectorIjjEEZNS1_14transform_implILb0ES3_S5_N6thrust23THRUST_200600_302600_NS17counting_iteratorIjNS8_11use_defaultESA_SA_EENS8_6detail15normal_iteratorINS8_10device_ptrIjEEEEZNS1_13binary_searchIS3_S5_SG_SB_SG_NS1_21lower_bound_search_opENSC_16wrapped_functionINS0_4lessIvEEbEEEE10hipError_tPvRmT1_T2_T3_mmT4_T5_P12ihipStream_tbEUlRKjE_EESN_SR_SS_mST_SW_bEUlT_E_NS1_11comp_targetILNS1_3genE4ELNS1_11target_archE910ELNS1_3gpuE8ELNS1_3repE0EEENS1_30default_config_static_selectorELNS0_4arch9wavefront6targetE0EEEvSQ_.uses_flat_scratch, 0
	.set _ZN7rocprim17ROCPRIM_400000_NS6detail17trampoline_kernelINS0_14default_configENS1_27lower_bound_config_selectorIjjEEZNS1_14transform_implILb0ES3_S5_N6thrust23THRUST_200600_302600_NS17counting_iteratorIjNS8_11use_defaultESA_SA_EENS8_6detail15normal_iteratorINS8_10device_ptrIjEEEEZNS1_13binary_searchIS3_S5_SG_SB_SG_NS1_21lower_bound_search_opENSC_16wrapped_functionINS0_4lessIvEEbEEEE10hipError_tPvRmT1_T2_T3_mmT4_T5_P12ihipStream_tbEUlRKjE_EESN_SR_SS_mST_SW_bEUlT_E_NS1_11comp_targetILNS1_3genE4ELNS1_11target_archE910ELNS1_3gpuE8ELNS1_3repE0EEENS1_30default_config_static_selectorELNS0_4arch9wavefront6targetE0EEEvSQ_.has_dyn_sized_stack, 0
	.set _ZN7rocprim17ROCPRIM_400000_NS6detail17trampoline_kernelINS0_14default_configENS1_27lower_bound_config_selectorIjjEEZNS1_14transform_implILb0ES3_S5_N6thrust23THRUST_200600_302600_NS17counting_iteratorIjNS8_11use_defaultESA_SA_EENS8_6detail15normal_iteratorINS8_10device_ptrIjEEEEZNS1_13binary_searchIS3_S5_SG_SB_SG_NS1_21lower_bound_search_opENSC_16wrapped_functionINS0_4lessIvEEbEEEE10hipError_tPvRmT1_T2_T3_mmT4_T5_P12ihipStream_tbEUlRKjE_EESN_SR_SS_mST_SW_bEUlT_E_NS1_11comp_targetILNS1_3genE4ELNS1_11target_archE910ELNS1_3gpuE8ELNS1_3repE0EEENS1_30default_config_static_selectorELNS0_4arch9wavefront6targetE0EEEvSQ_.has_recursion, 0
	.set _ZN7rocprim17ROCPRIM_400000_NS6detail17trampoline_kernelINS0_14default_configENS1_27lower_bound_config_selectorIjjEEZNS1_14transform_implILb0ES3_S5_N6thrust23THRUST_200600_302600_NS17counting_iteratorIjNS8_11use_defaultESA_SA_EENS8_6detail15normal_iteratorINS8_10device_ptrIjEEEEZNS1_13binary_searchIS3_S5_SG_SB_SG_NS1_21lower_bound_search_opENSC_16wrapped_functionINS0_4lessIvEEbEEEE10hipError_tPvRmT1_T2_T3_mmT4_T5_P12ihipStream_tbEUlRKjE_EESN_SR_SS_mST_SW_bEUlT_E_NS1_11comp_targetILNS1_3genE4ELNS1_11target_archE910ELNS1_3gpuE8ELNS1_3repE0EEENS1_30default_config_static_selectorELNS0_4arch9wavefront6targetE0EEEvSQ_.has_indirect_call, 0
	.section	.AMDGPU.csdata,"",@progbits
; Kernel info:
; codeLenInByte = 0
; TotalNumSgprs: 0
; NumVgprs: 0
; ScratchSize: 0
; MemoryBound: 0
; FloatMode: 240
; IeeeMode: 1
; LDSByteSize: 0 bytes/workgroup (compile time only)
; SGPRBlocks: 0
; VGPRBlocks: 0
; NumSGPRsForWavesPerEU: 1
; NumVGPRsForWavesPerEU: 1
; NamedBarCnt: 0
; Occupancy: 16
; WaveLimiterHint : 0
; COMPUTE_PGM_RSRC2:SCRATCH_EN: 0
; COMPUTE_PGM_RSRC2:USER_SGPR: 2
; COMPUTE_PGM_RSRC2:TRAP_HANDLER: 0
; COMPUTE_PGM_RSRC2:TGID_X_EN: 1
; COMPUTE_PGM_RSRC2:TGID_Y_EN: 0
; COMPUTE_PGM_RSRC2:TGID_Z_EN: 0
; COMPUTE_PGM_RSRC2:TIDIG_COMP_CNT: 0
	.section	.text._ZN7rocprim17ROCPRIM_400000_NS6detail17trampoline_kernelINS0_14default_configENS1_27lower_bound_config_selectorIjjEEZNS1_14transform_implILb0ES3_S5_N6thrust23THRUST_200600_302600_NS17counting_iteratorIjNS8_11use_defaultESA_SA_EENS8_6detail15normal_iteratorINS8_10device_ptrIjEEEEZNS1_13binary_searchIS3_S5_SG_SB_SG_NS1_21lower_bound_search_opENSC_16wrapped_functionINS0_4lessIvEEbEEEE10hipError_tPvRmT1_T2_T3_mmT4_T5_P12ihipStream_tbEUlRKjE_EESN_SR_SS_mST_SW_bEUlT_E_NS1_11comp_targetILNS1_3genE3ELNS1_11target_archE908ELNS1_3gpuE7ELNS1_3repE0EEENS1_30default_config_static_selectorELNS0_4arch9wavefront6targetE0EEEvSQ_,"axG",@progbits,_ZN7rocprim17ROCPRIM_400000_NS6detail17trampoline_kernelINS0_14default_configENS1_27lower_bound_config_selectorIjjEEZNS1_14transform_implILb0ES3_S5_N6thrust23THRUST_200600_302600_NS17counting_iteratorIjNS8_11use_defaultESA_SA_EENS8_6detail15normal_iteratorINS8_10device_ptrIjEEEEZNS1_13binary_searchIS3_S5_SG_SB_SG_NS1_21lower_bound_search_opENSC_16wrapped_functionINS0_4lessIvEEbEEEE10hipError_tPvRmT1_T2_T3_mmT4_T5_P12ihipStream_tbEUlRKjE_EESN_SR_SS_mST_SW_bEUlT_E_NS1_11comp_targetILNS1_3genE3ELNS1_11target_archE908ELNS1_3gpuE7ELNS1_3repE0EEENS1_30default_config_static_selectorELNS0_4arch9wavefront6targetE0EEEvSQ_,comdat
	.protected	_ZN7rocprim17ROCPRIM_400000_NS6detail17trampoline_kernelINS0_14default_configENS1_27lower_bound_config_selectorIjjEEZNS1_14transform_implILb0ES3_S5_N6thrust23THRUST_200600_302600_NS17counting_iteratorIjNS8_11use_defaultESA_SA_EENS8_6detail15normal_iteratorINS8_10device_ptrIjEEEEZNS1_13binary_searchIS3_S5_SG_SB_SG_NS1_21lower_bound_search_opENSC_16wrapped_functionINS0_4lessIvEEbEEEE10hipError_tPvRmT1_T2_T3_mmT4_T5_P12ihipStream_tbEUlRKjE_EESN_SR_SS_mST_SW_bEUlT_E_NS1_11comp_targetILNS1_3genE3ELNS1_11target_archE908ELNS1_3gpuE7ELNS1_3repE0EEENS1_30default_config_static_selectorELNS0_4arch9wavefront6targetE0EEEvSQ_ ; -- Begin function _ZN7rocprim17ROCPRIM_400000_NS6detail17trampoline_kernelINS0_14default_configENS1_27lower_bound_config_selectorIjjEEZNS1_14transform_implILb0ES3_S5_N6thrust23THRUST_200600_302600_NS17counting_iteratorIjNS8_11use_defaultESA_SA_EENS8_6detail15normal_iteratorINS8_10device_ptrIjEEEEZNS1_13binary_searchIS3_S5_SG_SB_SG_NS1_21lower_bound_search_opENSC_16wrapped_functionINS0_4lessIvEEbEEEE10hipError_tPvRmT1_T2_T3_mmT4_T5_P12ihipStream_tbEUlRKjE_EESN_SR_SS_mST_SW_bEUlT_E_NS1_11comp_targetILNS1_3genE3ELNS1_11target_archE908ELNS1_3gpuE7ELNS1_3repE0EEENS1_30default_config_static_selectorELNS0_4arch9wavefront6targetE0EEEvSQ_
	.globl	_ZN7rocprim17ROCPRIM_400000_NS6detail17trampoline_kernelINS0_14default_configENS1_27lower_bound_config_selectorIjjEEZNS1_14transform_implILb0ES3_S5_N6thrust23THRUST_200600_302600_NS17counting_iteratorIjNS8_11use_defaultESA_SA_EENS8_6detail15normal_iteratorINS8_10device_ptrIjEEEEZNS1_13binary_searchIS3_S5_SG_SB_SG_NS1_21lower_bound_search_opENSC_16wrapped_functionINS0_4lessIvEEbEEEE10hipError_tPvRmT1_T2_T3_mmT4_T5_P12ihipStream_tbEUlRKjE_EESN_SR_SS_mST_SW_bEUlT_E_NS1_11comp_targetILNS1_3genE3ELNS1_11target_archE908ELNS1_3gpuE7ELNS1_3repE0EEENS1_30default_config_static_selectorELNS0_4arch9wavefront6targetE0EEEvSQ_
	.p2align	8
	.type	_ZN7rocprim17ROCPRIM_400000_NS6detail17trampoline_kernelINS0_14default_configENS1_27lower_bound_config_selectorIjjEEZNS1_14transform_implILb0ES3_S5_N6thrust23THRUST_200600_302600_NS17counting_iteratorIjNS8_11use_defaultESA_SA_EENS8_6detail15normal_iteratorINS8_10device_ptrIjEEEEZNS1_13binary_searchIS3_S5_SG_SB_SG_NS1_21lower_bound_search_opENSC_16wrapped_functionINS0_4lessIvEEbEEEE10hipError_tPvRmT1_T2_T3_mmT4_T5_P12ihipStream_tbEUlRKjE_EESN_SR_SS_mST_SW_bEUlT_E_NS1_11comp_targetILNS1_3genE3ELNS1_11target_archE908ELNS1_3gpuE7ELNS1_3repE0EEENS1_30default_config_static_selectorELNS0_4arch9wavefront6targetE0EEEvSQ_,@function
_ZN7rocprim17ROCPRIM_400000_NS6detail17trampoline_kernelINS0_14default_configENS1_27lower_bound_config_selectorIjjEEZNS1_14transform_implILb0ES3_S5_N6thrust23THRUST_200600_302600_NS17counting_iteratorIjNS8_11use_defaultESA_SA_EENS8_6detail15normal_iteratorINS8_10device_ptrIjEEEEZNS1_13binary_searchIS3_S5_SG_SB_SG_NS1_21lower_bound_search_opENSC_16wrapped_functionINS0_4lessIvEEbEEEE10hipError_tPvRmT1_T2_T3_mmT4_T5_P12ihipStream_tbEUlRKjE_EESN_SR_SS_mST_SW_bEUlT_E_NS1_11comp_targetILNS1_3genE3ELNS1_11target_archE908ELNS1_3gpuE7ELNS1_3repE0EEENS1_30default_config_static_selectorELNS0_4arch9wavefront6targetE0EEEvSQ_: ; @_ZN7rocprim17ROCPRIM_400000_NS6detail17trampoline_kernelINS0_14default_configENS1_27lower_bound_config_selectorIjjEEZNS1_14transform_implILb0ES3_S5_N6thrust23THRUST_200600_302600_NS17counting_iteratorIjNS8_11use_defaultESA_SA_EENS8_6detail15normal_iteratorINS8_10device_ptrIjEEEEZNS1_13binary_searchIS3_S5_SG_SB_SG_NS1_21lower_bound_search_opENSC_16wrapped_functionINS0_4lessIvEEbEEEE10hipError_tPvRmT1_T2_T3_mmT4_T5_P12ihipStream_tbEUlRKjE_EESN_SR_SS_mST_SW_bEUlT_E_NS1_11comp_targetILNS1_3genE3ELNS1_11target_archE908ELNS1_3gpuE7ELNS1_3repE0EEENS1_30default_config_static_selectorELNS0_4arch9wavefront6targetE0EEEvSQ_
; %bb.0:
	.section	.rodata,"a",@progbits
	.p2align	6, 0x0
	.amdhsa_kernel _ZN7rocprim17ROCPRIM_400000_NS6detail17trampoline_kernelINS0_14default_configENS1_27lower_bound_config_selectorIjjEEZNS1_14transform_implILb0ES3_S5_N6thrust23THRUST_200600_302600_NS17counting_iteratorIjNS8_11use_defaultESA_SA_EENS8_6detail15normal_iteratorINS8_10device_ptrIjEEEEZNS1_13binary_searchIS3_S5_SG_SB_SG_NS1_21lower_bound_search_opENSC_16wrapped_functionINS0_4lessIvEEbEEEE10hipError_tPvRmT1_T2_T3_mmT4_T5_P12ihipStream_tbEUlRKjE_EESN_SR_SS_mST_SW_bEUlT_E_NS1_11comp_targetILNS1_3genE3ELNS1_11target_archE908ELNS1_3gpuE7ELNS1_3repE0EEENS1_30default_config_static_selectorELNS0_4arch9wavefront6targetE0EEEvSQ_
		.amdhsa_group_segment_fixed_size 0
		.amdhsa_private_segment_fixed_size 0
		.amdhsa_kernarg_size 56
		.amdhsa_user_sgpr_count 2
		.amdhsa_user_sgpr_dispatch_ptr 0
		.amdhsa_user_sgpr_queue_ptr 0
		.amdhsa_user_sgpr_kernarg_segment_ptr 1
		.amdhsa_user_sgpr_dispatch_id 0
		.amdhsa_user_sgpr_kernarg_preload_length 0
		.amdhsa_user_sgpr_kernarg_preload_offset 0
		.amdhsa_user_sgpr_private_segment_size 0
		.amdhsa_wavefront_size32 1
		.amdhsa_uses_dynamic_stack 0
		.amdhsa_enable_private_segment 0
		.amdhsa_system_sgpr_workgroup_id_x 1
		.amdhsa_system_sgpr_workgroup_id_y 0
		.amdhsa_system_sgpr_workgroup_id_z 0
		.amdhsa_system_sgpr_workgroup_info 0
		.amdhsa_system_vgpr_workitem_id 0
		.amdhsa_next_free_vgpr 1
		.amdhsa_next_free_sgpr 1
		.amdhsa_named_barrier_count 0
		.amdhsa_reserve_vcc 0
		.amdhsa_float_round_mode_32 0
		.amdhsa_float_round_mode_16_64 0
		.amdhsa_float_denorm_mode_32 3
		.amdhsa_float_denorm_mode_16_64 3
		.amdhsa_fp16_overflow 0
		.amdhsa_memory_ordered 1
		.amdhsa_forward_progress 1
		.amdhsa_inst_pref_size 0
		.amdhsa_round_robin_scheduling 0
		.amdhsa_exception_fp_ieee_invalid_op 0
		.amdhsa_exception_fp_denorm_src 0
		.amdhsa_exception_fp_ieee_div_zero 0
		.amdhsa_exception_fp_ieee_overflow 0
		.amdhsa_exception_fp_ieee_underflow 0
		.amdhsa_exception_fp_ieee_inexact 0
		.amdhsa_exception_int_div_zero 0
	.end_amdhsa_kernel
	.section	.text._ZN7rocprim17ROCPRIM_400000_NS6detail17trampoline_kernelINS0_14default_configENS1_27lower_bound_config_selectorIjjEEZNS1_14transform_implILb0ES3_S5_N6thrust23THRUST_200600_302600_NS17counting_iteratorIjNS8_11use_defaultESA_SA_EENS8_6detail15normal_iteratorINS8_10device_ptrIjEEEEZNS1_13binary_searchIS3_S5_SG_SB_SG_NS1_21lower_bound_search_opENSC_16wrapped_functionINS0_4lessIvEEbEEEE10hipError_tPvRmT1_T2_T3_mmT4_T5_P12ihipStream_tbEUlRKjE_EESN_SR_SS_mST_SW_bEUlT_E_NS1_11comp_targetILNS1_3genE3ELNS1_11target_archE908ELNS1_3gpuE7ELNS1_3repE0EEENS1_30default_config_static_selectorELNS0_4arch9wavefront6targetE0EEEvSQ_,"axG",@progbits,_ZN7rocprim17ROCPRIM_400000_NS6detail17trampoline_kernelINS0_14default_configENS1_27lower_bound_config_selectorIjjEEZNS1_14transform_implILb0ES3_S5_N6thrust23THRUST_200600_302600_NS17counting_iteratorIjNS8_11use_defaultESA_SA_EENS8_6detail15normal_iteratorINS8_10device_ptrIjEEEEZNS1_13binary_searchIS3_S5_SG_SB_SG_NS1_21lower_bound_search_opENSC_16wrapped_functionINS0_4lessIvEEbEEEE10hipError_tPvRmT1_T2_T3_mmT4_T5_P12ihipStream_tbEUlRKjE_EESN_SR_SS_mST_SW_bEUlT_E_NS1_11comp_targetILNS1_3genE3ELNS1_11target_archE908ELNS1_3gpuE7ELNS1_3repE0EEENS1_30default_config_static_selectorELNS0_4arch9wavefront6targetE0EEEvSQ_,comdat
.Lfunc_end233:
	.size	_ZN7rocprim17ROCPRIM_400000_NS6detail17trampoline_kernelINS0_14default_configENS1_27lower_bound_config_selectorIjjEEZNS1_14transform_implILb0ES3_S5_N6thrust23THRUST_200600_302600_NS17counting_iteratorIjNS8_11use_defaultESA_SA_EENS8_6detail15normal_iteratorINS8_10device_ptrIjEEEEZNS1_13binary_searchIS3_S5_SG_SB_SG_NS1_21lower_bound_search_opENSC_16wrapped_functionINS0_4lessIvEEbEEEE10hipError_tPvRmT1_T2_T3_mmT4_T5_P12ihipStream_tbEUlRKjE_EESN_SR_SS_mST_SW_bEUlT_E_NS1_11comp_targetILNS1_3genE3ELNS1_11target_archE908ELNS1_3gpuE7ELNS1_3repE0EEENS1_30default_config_static_selectorELNS0_4arch9wavefront6targetE0EEEvSQ_, .Lfunc_end233-_ZN7rocprim17ROCPRIM_400000_NS6detail17trampoline_kernelINS0_14default_configENS1_27lower_bound_config_selectorIjjEEZNS1_14transform_implILb0ES3_S5_N6thrust23THRUST_200600_302600_NS17counting_iteratorIjNS8_11use_defaultESA_SA_EENS8_6detail15normal_iteratorINS8_10device_ptrIjEEEEZNS1_13binary_searchIS3_S5_SG_SB_SG_NS1_21lower_bound_search_opENSC_16wrapped_functionINS0_4lessIvEEbEEEE10hipError_tPvRmT1_T2_T3_mmT4_T5_P12ihipStream_tbEUlRKjE_EESN_SR_SS_mST_SW_bEUlT_E_NS1_11comp_targetILNS1_3genE3ELNS1_11target_archE908ELNS1_3gpuE7ELNS1_3repE0EEENS1_30default_config_static_selectorELNS0_4arch9wavefront6targetE0EEEvSQ_
                                        ; -- End function
	.set _ZN7rocprim17ROCPRIM_400000_NS6detail17trampoline_kernelINS0_14default_configENS1_27lower_bound_config_selectorIjjEEZNS1_14transform_implILb0ES3_S5_N6thrust23THRUST_200600_302600_NS17counting_iteratorIjNS8_11use_defaultESA_SA_EENS8_6detail15normal_iteratorINS8_10device_ptrIjEEEEZNS1_13binary_searchIS3_S5_SG_SB_SG_NS1_21lower_bound_search_opENSC_16wrapped_functionINS0_4lessIvEEbEEEE10hipError_tPvRmT1_T2_T3_mmT4_T5_P12ihipStream_tbEUlRKjE_EESN_SR_SS_mST_SW_bEUlT_E_NS1_11comp_targetILNS1_3genE3ELNS1_11target_archE908ELNS1_3gpuE7ELNS1_3repE0EEENS1_30default_config_static_selectorELNS0_4arch9wavefront6targetE0EEEvSQ_.num_vgpr, 0
	.set _ZN7rocprim17ROCPRIM_400000_NS6detail17trampoline_kernelINS0_14default_configENS1_27lower_bound_config_selectorIjjEEZNS1_14transform_implILb0ES3_S5_N6thrust23THRUST_200600_302600_NS17counting_iteratorIjNS8_11use_defaultESA_SA_EENS8_6detail15normal_iteratorINS8_10device_ptrIjEEEEZNS1_13binary_searchIS3_S5_SG_SB_SG_NS1_21lower_bound_search_opENSC_16wrapped_functionINS0_4lessIvEEbEEEE10hipError_tPvRmT1_T2_T3_mmT4_T5_P12ihipStream_tbEUlRKjE_EESN_SR_SS_mST_SW_bEUlT_E_NS1_11comp_targetILNS1_3genE3ELNS1_11target_archE908ELNS1_3gpuE7ELNS1_3repE0EEENS1_30default_config_static_selectorELNS0_4arch9wavefront6targetE0EEEvSQ_.num_agpr, 0
	.set _ZN7rocprim17ROCPRIM_400000_NS6detail17trampoline_kernelINS0_14default_configENS1_27lower_bound_config_selectorIjjEEZNS1_14transform_implILb0ES3_S5_N6thrust23THRUST_200600_302600_NS17counting_iteratorIjNS8_11use_defaultESA_SA_EENS8_6detail15normal_iteratorINS8_10device_ptrIjEEEEZNS1_13binary_searchIS3_S5_SG_SB_SG_NS1_21lower_bound_search_opENSC_16wrapped_functionINS0_4lessIvEEbEEEE10hipError_tPvRmT1_T2_T3_mmT4_T5_P12ihipStream_tbEUlRKjE_EESN_SR_SS_mST_SW_bEUlT_E_NS1_11comp_targetILNS1_3genE3ELNS1_11target_archE908ELNS1_3gpuE7ELNS1_3repE0EEENS1_30default_config_static_selectorELNS0_4arch9wavefront6targetE0EEEvSQ_.numbered_sgpr, 0
	.set _ZN7rocprim17ROCPRIM_400000_NS6detail17trampoline_kernelINS0_14default_configENS1_27lower_bound_config_selectorIjjEEZNS1_14transform_implILb0ES3_S5_N6thrust23THRUST_200600_302600_NS17counting_iteratorIjNS8_11use_defaultESA_SA_EENS8_6detail15normal_iteratorINS8_10device_ptrIjEEEEZNS1_13binary_searchIS3_S5_SG_SB_SG_NS1_21lower_bound_search_opENSC_16wrapped_functionINS0_4lessIvEEbEEEE10hipError_tPvRmT1_T2_T3_mmT4_T5_P12ihipStream_tbEUlRKjE_EESN_SR_SS_mST_SW_bEUlT_E_NS1_11comp_targetILNS1_3genE3ELNS1_11target_archE908ELNS1_3gpuE7ELNS1_3repE0EEENS1_30default_config_static_selectorELNS0_4arch9wavefront6targetE0EEEvSQ_.num_named_barrier, 0
	.set _ZN7rocprim17ROCPRIM_400000_NS6detail17trampoline_kernelINS0_14default_configENS1_27lower_bound_config_selectorIjjEEZNS1_14transform_implILb0ES3_S5_N6thrust23THRUST_200600_302600_NS17counting_iteratorIjNS8_11use_defaultESA_SA_EENS8_6detail15normal_iteratorINS8_10device_ptrIjEEEEZNS1_13binary_searchIS3_S5_SG_SB_SG_NS1_21lower_bound_search_opENSC_16wrapped_functionINS0_4lessIvEEbEEEE10hipError_tPvRmT1_T2_T3_mmT4_T5_P12ihipStream_tbEUlRKjE_EESN_SR_SS_mST_SW_bEUlT_E_NS1_11comp_targetILNS1_3genE3ELNS1_11target_archE908ELNS1_3gpuE7ELNS1_3repE0EEENS1_30default_config_static_selectorELNS0_4arch9wavefront6targetE0EEEvSQ_.private_seg_size, 0
	.set _ZN7rocprim17ROCPRIM_400000_NS6detail17trampoline_kernelINS0_14default_configENS1_27lower_bound_config_selectorIjjEEZNS1_14transform_implILb0ES3_S5_N6thrust23THRUST_200600_302600_NS17counting_iteratorIjNS8_11use_defaultESA_SA_EENS8_6detail15normal_iteratorINS8_10device_ptrIjEEEEZNS1_13binary_searchIS3_S5_SG_SB_SG_NS1_21lower_bound_search_opENSC_16wrapped_functionINS0_4lessIvEEbEEEE10hipError_tPvRmT1_T2_T3_mmT4_T5_P12ihipStream_tbEUlRKjE_EESN_SR_SS_mST_SW_bEUlT_E_NS1_11comp_targetILNS1_3genE3ELNS1_11target_archE908ELNS1_3gpuE7ELNS1_3repE0EEENS1_30default_config_static_selectorELNS0_4arch9wavefront6targetE0EEEvSQ_.uses_vcc, 0
	.set _ZN7rocprim17ROCPRIM_400000_NS6detail17trampoline_kernelINS0_14default_configENS1_27lower_bound_config_selectorIjjEEZNS1_14transform_implILb0ES3_S5_N6thrust23THRUST_200600_302600_NS17counting_iteratorIjNS8_11use_defaultESA_SA_EENS8_6detail15normal_iteratorINS8_10device_ptrIjEEEEZNS1_13binary_searchIS3_S5_SG_SB_SG_NS1_21lower_bound_search_opENSC_16wrapped_functionINS0_4lessIvEEbEEEE10hipError_tPvRmT1_T2_T3_mmT4_T5_P12ihipStream_tbEUlRKjE_EESN_SR_SS_mST_SW_bEUlT_E_NS1_11comp_targetILNS1_3genE3ELNS1_11target_archE908ELNS1_3gpuE7ELNS1_3repE0EEENS1_30default_config_static_selectorELNS0_4arch9wavefront6targetE0EEEvSQ_.uses_flat_scratch, 0
	.set _ZN7rocprim17ROCPRIM_400000_NS6detail17trampoline_kernelINS0_14default_configENS1_27lower_bound_config_selectorIjjEEZNS1_14transform_implILb0ES3_S5_N6thrust23THRUST_200600_302600_NS17counting_iteratorIjNS8_11use_defaultESA_SA_EENS8_6detail15normal_iteratorINS8_10device_ptrIjEEEEZNS1_13binary_searchIS3_S5_SG_SB_SG_NS1_21lower_bound_search_opENSC_16wrapped_functionINS0_4lessIvEEbEEEE10hipError_tPvRmT1_T2_T3_mmT4_T5_P12ihipStream_tbEUlRKjE_EESN_SR_SS_mST_SW_bEUlT_E_NS1_11comp_targetILNS1_3genE3ELNS1_11target_archE908ELNS1_3gpuE7ELNS1_3repE0EEENS1_30default_config_static_selectorELNS0_4arch9wavefront6targetE0EEEvSQ_.has_dyn_sized_stack, 0
	.set _ZN7rocprim17ROCPRIM_400000_NS6detail17trampoline_kernelINS0_14default_configENS1_27lower_bound_config_selectorIjjEEZNS1_14transform_implILb0ES3_S5_N6thrust23THRUST_200600_302600_NS17counting_iteratorIjNS8_11use_defaultESA_SA_EENS8_6detail15normal_iteratorINS8_10device_ptrIjEEEEZNS1_13binary_searchIS3_S5_SG_SB_SG_NS1_21lower_bound_search_opENSC_16wrapped_functionINS0_4lessIvEEbEEEE10hipError_tPvRmT1_T2_T3_mmT4_T5_P12ihipStream_tbEUlRKjE_EESN_SR_SS_mST_SW_bEUlT_E_NS1_11comp_targetILNS1_3genE3ELNS1_11target_archE908ELNS1_3gpuE7ELNS1_3repE0EEENS1_30default_config_static_selectorELNS0_4arch9wavefront6targetE0EEEvSQ_.has_recursion, 0
	.set _ZN7rocprim17ROCPRIM_400000_NS6detail17trampoline_kernelINS0_14default_configENS1_27lower_bound_config_selectorIjjEEZNS1_14transform_implILb0ES3_S5_N6thrust23THRUST_200600_302600_NS17counting_iteratorIjNS8_11use_defaultESA_SA_EENS8_6detail15normal_iteratorINS8_10device_ptrIjEEEEZNS1_13binary_searchIS3_S5_SG_SB_SG_NS1_21lower_bound_search_opENSC_16wrapped_functionINS0_4lessIvEEbEEEE10hipError_tPvRmT1_T2_T3_mmT4_T5_P12ihipStream_tbEUlRKjE_EESN_SR_SS_mST_SW_bEUlT_E_NS1_11comp_targetILNS1_3genE3ELNS1_11target_archE908ELNS1_3gpuE7ELNS1_3repE0EEENS1_30default_config_static_selectorELNS0_4arch9wavefront6targetE0EEEvSQ_.has_indirect_call, 0
	.section	.AMDGPU.csdata,"",@progbits
; Kernel info:
; codeLenInByte = 0
; TotalNumSgprs: 0
; NumVgprs: 0
; ScratchSize: 0
; MemoryBound: 0
; FloatMode: 240
; IeeeMode: 1
; LDSByteSize: 0 bytes/workgroup (compile time only)
; SGPRBlocks: 0
; VGPRBlocks: 0
; NumSGPRsForWavesPerEU: 1
; NumVGPRsForWavesPerEU: 1
; NamedBarCnt: 0
; Occupancy: 16
; WaveLimiterHint : 0
; COMPUTE_PGM_RSRC2:SCRATCH_EN: 0
; COMPUTE_PGM_RSRC2:USER_SGPR: 2
; COMPUTE_PGM_RSRC2:TRAP_HANDLER: 0
; COMPUTE_PGM_RSRC2:TGID_X_EN: 1
; COMPUTE_PGM_RSRC2:TGID_Y_EN: 0
; COMPUTE_PGM_RSRC2:TGID_Z_EN: 0
; COMPUTE_PGM_RSRC2:TIDIG_COMP_CNT: 0
	.section	.text._ZN7rocprim17ROCPRIM_400000_NS6detail17trampoline_kernelINS0_14default_configENS1_27lower_bound_config_selectorIjjEEZNS1_14transform_implILb0ES3_S5_N6thrust23THRUST_200600_302600_NS17counting_iteratorIjNS8_11use_defaultESA_SA_EENS8_6detail15normal_iteratorINS8_10device_ptrIjEEEEZNS1_13binary_searchIS3_S5_SG_SB_SG_NS1_21lower_bound_search_opENSC_16wrapped_functionINS0_4lessIvEEbEEEE10hipError_tPvRmT1_T2_T3_mmT4_T5_P12ihipStream_tbEUlRKjE_EESN_SR_SS_mST_SW_bEUlT_E_NS1_11comp_targetILNS1_3genE2ELNS1_11target_archE906ELNS1_3gpuE6ELNS1_3repE0EEENS1_30default_config_static_selectorELNS0_4arch9wavefront6targetE0EEEvSQ_,"axG",@progbits,_ZN7rocprim17ROCPRIM_400000_NS6detail17trampoline_kernelINS0_14default_configENS1_27lower_bound_config_selectorIjjEEZNS1_14transform_implILb0ES3_S5_N6thrust23THRUST_200600_302600_NS17counting_iteratorIjNS8_11use_defaultESA_SA_EENS8_6detail15normal_iteratorINS8_10device_ptrIjEEEEZNS1_13binary_searchIS3_S5_SG_SB_SG_NS1_21lower_bound_search_opENSC_16wrapped_functionINS0_4lessIvEEbEEEE10hipError_tPvRmT1_T2_T3_mmT4_T5_P12ihipStream_tbEUlRKjE_EESN_SR_SS_mST_SW_bEUlT_E_NS1_11comp_targetILNS1_3genE2ELNS1_11target_archE906ELNS1_3gpuE6ELNS1_3repE0EEENS1_30default_config_static_selectorELNS0_4arch9wavefront6targetE0EEEvSQ_,comdat
	.protected	_ZN7rocprim17ROCPRIM_400000_NS6detail17trampoline_kernelINS0_14default_configENS1_27lower_bound_config_selectorIjjEEZNS1_14transform_implILb0ES3_S5_N6thrust23THRUST_200600_302600_NS17counting_iteratorIjNS8_11use_defaultESA_SA_EENS8_6detail15normal_iteratorINS8_10device_ptrIjEEEEZNS1_13binary_searchIS3_S5_SG_SB_SG_NS1_21lower_bound_search_opENSC_16wrapped_functionINS0_4lessIvEEbEEEE10hipError_tPvRmT1_T2_T3_mmT4_T5_P12ihipStream_tbEUlRKjE_EESN_SR_SS_mST_SW_bEUlT_E_NS1_11comp_targetILNS1_3genE2ELNS1_11target_archE906ELNS1_3gpuE6ELNS1_3repE0EEENS1_30default_config_static_selectorELNS0_4arch9wavefront6targetE0EEEvSQ_ ; -- Begin function _ZN7rocprim17ROCPRIM_400000_NS6detail17trampoline_kernelINS0_14default_configENS1_27lower_bound_config_selectorIjjEEZNS1_14transform_implILb0ES3_S5_N6thrust23THRUST_200600_302600_NS17counting_iteratorIjNS8_11use_defaultESA_SA_EENS8_6detail15normal_iteratorINS8_10device_ptrIjEEEEZNS1_13binary_searchIS3_S5_SG_SB_SG_NS1_21lower_bound_search_opENSC_16wrapped_functionINS0_4lessIvEEbEEEE10hipError_tPvRmT1_T2_T3_mmT4_T5_P12ihipStream_tbEUlRKjE_EESN_SR_SS_mST_SW_bEUlT_E_NS1_11comp_targetILNS1_3genE2ELNS1_11target_archE906ELNS1_3gpuE6ELNS1_3repE0EEENS1_30default_config_static_selectorELNS0_4arch9wavefront6targetE0EEEvSQ_
	.globl	_ZN7rocprim17ROCPRIM_400000_NS6detail17trampoline_kernelINS0_14default_configENS1_27lower_bound_config_selectorIjjEEZNS1_14transform_implILb0ES3_S5_N6thrust23THRUST_200600_302600_NS17counting_iteratorIjNS8_11use_defaultESA_SA_EENS8_6detail15normal_iteratorINS8_10device_ptrIjEEEEZNS1_13binary_searchIS3_S5_SG_SB_SG_NS1_21lower_bound_search_opENSC_16wrapped_functionINS0_4lessIvEEbEEEE10hipError_tPvRmT1_T2_T3_mmT4_T5_P12ihipStream_tbEUlRKjE_EESN_SR_SS_mST_SW_bEUlT_E_NS1_11comp_targetILNS1_3genE2ELNS1_11target_archE906ELNS1_3gpuE6ELNS1_3repE0EEENS1_30default_config_static_selectorELNS0_4arch9wavefront6targetE0EEEvSQ_
	.p2align	8
	.type	_ZN7rocprim17ROCPRIM_400000_NS6detail17trampoline_kernelINS0_14default_configENS1_27lower_bound_config_selectorIjjEEZNS1_14transform_implILb0ES3_S5_N6thrust23THRUST_200600_302600_NS17counting_iteratorIjNS8_11use_defaultESA_SA_EENS8_6detail15normal_iteratorINS8_10device_ptrIjEEEEZNS1_13binary_searchIS3_S5_SG_SB_SG_NS1_21lower_bound_search_opENSC_16wrapped_functionINS0_4lessIvEEbEEEE10hipError_tPvRmT1_T2_T3_mmT4_T5_P12ihipStream_tbEUlRKjE_EESN_SR_SS_mST_SW_bEUlT_E_NS1_11comp_targetILNS1_3genE2ELNS1_11target_archE906ELNS1_3gpuE6ELNS1_3repE0EEENS1_30default_config_static_selectorELNS0_4arch9wavefront6targetE0EEEvSQ_,@function
_ZN7rocprim17ROCPRIM_400000_NS6detail17trampoline_kernelINS0_14default_configENS1_27lower_bound_config_selectorIjjEEZNS1_14transform_implILb0ES3_S5_N6thrust23THRUST_200600_302600_NS17counting_iteratorIjNS8_11use_defaultESA_SA_EENS8_6detail15normal_iteratorINS8_10device_ptrIjEEEEZNS1_13binary_searchIS3_S5_SG_SB_SG_NS1_21lower_bound_search_opENSC_16wrapped_functionINS0_4lessIvEEbEEEE10hipError_tPvRmT1_T2_T3_mmT4_T5_P12ihipStream_tbEUlRKjE_EESN_SR_SS_mST_SW_bEUlT_E_NS1_11comp_targetILNS1_3genE2ELNS1_11target_archE906ELNS1_3gpuE6ELNS1_3repE0EEENS1_30default_config_static_selectorELNS0_4arch9wavefront6targetE0EEEvSQ_: ; @_ZN7rocprim17ROCPRIM_400000_NS6detail17trampoline_kernelINS0_14default_configENS1_27lower_bound_config_selectorIjjEEZNS1_14transform_implILb0ES3_S5_N6thrust23THRUST_200600_302600_NS17counting_iteratorIjNS8_11use_defaultESA_SA_EENS8_6detail15normal_iteratorINS8_10device_ptrIjEEEEZNS1_13binary_searchIS3_S5_SG_SB_SG_NS1_21lower_bound_search_opENSC_16wrapped_functionINS0_4lessIvEEbEEEE10hipError_tPvRmT1_T2_T3_mmT4_T5_P12ihipStream_tbEUlRKjE_EESN_SR_SS_mST_SW_bEUlT_E_NS1_11comp_targetILNS1_3genE2ELNS1_11target_archE906ELNS1_3gpuE6ELNS1_3repE0EEENS1_30default_config_static_selectorELNS0_4arch9wavefront6targetE0EEEvSQ_
; %bb.0:
	.section	.rodata,"a",@progbits
	.p2align	6, 0x0
	.amdhsa_kernel _ZN7rocprim17ROCPRIM_400000_NS6detail17trampoline_kernelINS0_14default_configENS1_27lower_bound_config_selectorIjjEEZNS1_14transform_implILb0ES3_S5_N6thrust23THRUST_200600_302600_NS17counting_iteratorIjNS8_11use_defaultESA_SA_EENS8_6detail15normal_iteratorINS8_10device_ptrIjEEEEZNS1_13binary_searchIS3_S5_SG_SB_SG_NS1_21lower_bound_search_opENSC_16wrapped_functionINS0_4lessIvEEbEEEE10hipError_tPvRmT1_T2_T3_mmT4_T5_P12ihipStream_tbEUlRKjE_EESN_SR_SS_mST_SW_bEUlT_E_NS1_11comp_targetILNS1_3genE2ELNS1_11target_archE906ELNS1_3gpuE6ELNS1_3repE0EEENS1_30default_config_static_selectorELNS0_4arch9wavefront6targetE0EEEvSQ_
		.amdhsa_group_segment_fixed_size 0
		.amdhsa_private_segment_fixed_size 0
		.amdhsa_kernarg_size 56
		.amdhsa_user_sgpr_count 2
		.amdhsa_user_sgpr_dispatch_ptr 0
		.amdhsa_user_sgpr_queue_ptr 0
		.amdhsa_user_sgpr_kernarg_segment_ptr 1
		.amdhsa_user_sgpr_dispatch_id 0
		.amdhsa_user_sgpr_kernarg_preload_length 0
		.amdhsa_user_sgpr_kernarg_preload_offset 0
		.amdhsa_user_sgpr_private_segment_size 0
		.amdhsa_wavefront_size32 1
		.amdhsa_uses_dynamic_stack 0
		.amdhsa_enable_private_segment 0
		.amdhsa_system_sgpr_workgroup_id_x 1
		.amdhsa_system_sgpr_workgroup_id_y 0
		.amdhsa_system_sgpr_workgroup_id_z 0
		.amdhsa_system_sgpr_workgroup_info 0
		.amdhsa_system_vgpr_workitem_id 0
		.amdhsa_next_free_vgpr 1
		.amdhsa_next_free_sgpr 1
		.amdhsa_named_barrier_count 0
		.amdhsa_reserve_vcc 0
		.amdhsa_float_round_mode_32 0
		.amdhsa_float_round_mode_16_64 0
		.amdhsa_float_denorm_mode_32 3
		.amdhsa_float_denorm_mode_16_64 3
		.amdhsa_fp16_overflow 0
		.amdhsa_memory_ordered 1
		.amdhsa_forward_progress 1
		.amdhsa_inst_pref_size 0
		.amdhsa_round_robin_scheduling 0
		.amdhsa_exception_fp_ieee_invalid_op 0
		.amdhsa_exception_fp_denorm_src 0
		.amdhsa_exception_fp_ieee_div_zero 0
		.amdhsa_exception_fp_ieee_overflow 0
		.amdhsa_exception_fp_ieee_underflow 0
		.amdhsa_exception_fp_ieee_inexact 0
		.amdhsa_exception_int_div_zero 0
	.end_amdhsa_kernel
	.section	.text._ZN7rocprim17ROCPRIM_400000_NS6detail17trampoline_kernelINS0_14default_configENS1_27lower_bound_config_selectorIjjEEZNS1_14transform_implILb0ES3_S5_N6thrust23THRUST_200600_302600_NS17counting_iteratorIjNS8_11use_defaultESA_SA_EENS8_6detail15normal_iteratorINS8_10device_ptrIjEEEEZNS1_13binary_searchIS3_S5_SG_SB_SG_NS1_21lower_bound_search_opENSC_16wrapped_functionINS0_4lessIvEEbEEEE10hipError_tPvRmT1_T2_T3_mmT4_T5_P12ihipStream_tbEUlRKjE_EESN_SR_SS_mST_SW_bEUlT_E_NS1_11comp_targetILNS1_3genE2ELNS1_11target_archE906ELNS1_3gpuE6ELNS1_3repE0EEENS1_30default_config_static_selectorELNS0_4arch9wavefront6targetE0EEEvSQ_,"axG",@progbits,_ZN7rocprim17ROCPRIM_400000_NS6detail17trampoline_kernelINS0_14default_configENS1_27lower_bound_config_selectorIjjEEZNS1_14transform_implILb0ES3_S5_N6thrust23THRUST_200600_302600_NS17counting_iteratorIjNS8_11use_defaultESA_SA_EENS8_6detail15normal_iteratorINS8_10device_ptrIjEEEEZNS1_13binary_searchIS3_S5_SG_SB_SG_NS1_21lower_bound_search_opENSC_16wrapped_functionINS0_4lessIvEEbEEEE10hipError_tPvRmT1_T2_T3_mmT4_T5_P12ihipStream_tbEUlRKjE_EESN_SR_SS_mST_SW_bEUlT_E_NS1_11comp_targetILNS1_3genE2ELNS1_11target_archE906ELNS1_3gpuE6ELNS1_3repE0EEENS1_30default_config_static_selectorELNS0_4arch9wavefront6targetE0EEEvSQ_,comdat
.Lfunc_end234:
	.size	_ZN7rocprim17ROCPRIM_400000_NS6detail17trampoline_kernelINS0_14default_configENS1_27lower_bound_config_selectorIjjEEZNS1_14transform_implILb0ES3_S5_N6thrust23THRUST_200600_302600_NS17counting_iteratorIjNS8_11use_defaultESA_SA_EENS8_6detail15normal_iteratorINS8_10device_ptrIjEEEEZNS1_13binary_searchIS3_S5_SG_SB_SG_NS1_21lower_bound_search_opENSC_16wrapped_functionINS0_4lessIvEEbEEEE10hipError_tPvRmT1_T2_T3_mmT4_T5_P12ihipStream_tbEUlRKjE_EESN_SR_SS_mST_SW_bEUlT_E_NS1_11comp_targetILNS1_3genE2ELNS1_11target_archE906ELNS1_3gpuE6ELNS1_3repE0EEENS1_30default_config_static_selectorELNS0_4arch9wavefront6targetE0EEEvSQ_, .Lfunc_end234-_ZN7rocprim17ROCPRIM_400000_NS6detail17trampoline_kernelINS0_14default_configENS1_27lower_bound_config_selectorIjjEEZNS1_14transform_implILb0ES3_S5_N6thrust23THRUST_200600_302600_NS17counting_iteratorIjNS8_11use_defaultESA_SA_EENS8_6detail15normal_iteratorINS8_10device_ptrIjEEEEZNS1_13binary_searchIS3_S5_SG_SB_SG_NS1_21lower_bound_search_opENSC_16wrapped_functionINS0_4lessIvEEbEEEE10hipError_tPvRmT1_T2_T3_mmT4_T5_P12ihipStream_tbEUlRKjE_EESN_SR_SS_mST_SW_bEUlT_E_NS1_11comp_targetILNS1_3genE2ELNS1_11target_archE906ELNS1_3gpuE6ELNS1_3repE0EEENS1_30default_config_static_selectorELNS0_4arch9wavefront6targetE0EEEvSQ_
                                        ; -- End function
	.set _ZN7rocprim17ROCPRIM_400000_NS6detail17trampoline_kernelINS0_14default_configENS1_27lower_bound_config_selectorIjjEEZNS1_14transform_implILb0ES3_S5_N6thrust23THRUST_200600_302600_NS17counting_iteratorIjNS8_11use_defaultESA_SA_EENS8_6detail15normal_iteratorINS8_10device_ptrIjEEEEZNS1_13binary_searchIS3_S5_SG_SB_SG_NS1_21lower_bound_search_opENSC_16wrapped_functionINS0_4lessIvEEbEEEE10hipError_tPvRmT1_T2_T3_mmT4_T5_P12ihipStream_tbEUlRKjE_EESN_SR_SS_mST_SW_bEUlT_E_NS1_11comp_targetILNS1_3genE2ELNS1_11target_archE906ELNS1_3gpuE6ELNS1_3repE0EEENS1_30default_config_static_selectorELNS0_4arch9wavefront6targetE0EEEvSQ_.num_vgpr, 0
	.set _ZN7rocprim17ROCPRIM_400000_NS6detail17trampoline_kernelINS0_14default_configENS1_27lower_bound_config_selectorIjjEEZNS1_14transform_implILb0ES3_S5_N6thrust23THRUST_200600_302600_NS17counting_iteratorIjNS8_11use_defaultESA_SA_EENS8_6detail15normal_iteratorINS8_10device_ptrIjEEEEZNS1_13binary_searchIS3_S5_SG_SB_SG_NS1_21lower_bound_search_opENSC_16wrapped_functionINS0_4lessIvEEbEEEE10hipError_tPvRmT1_T2_T3_mmT4_T5_P12ihipStream_tbEUlRKjE_EESN_SR_SS_mST_SW_bEUlT_E_NS1_11comp_targetILNS1_3genE2ELNS1_11target_archE906ELNS1_3gpuE6ELNS1_3repE0EEENS1_30default_config_static_selectorELNS0_4arch9wavefront6targetE0EEEvSQ_.num_agpr, 0
	.set _ZN7rocprim17ROCPRIM_400000_NS6detail17trampoline_kernelINS0_14default_configENS1_27lower_bound_config_selectorIjjEEZNS1_14transform_implILb0ES3_S5_N6thrust23THRUST_200600_302600_NS17counting_iteratorIjNS8_11use_defaultESA_SA_EENS8_6detail15normal_iteratorINS8_10device_ptrIjEEEEZNS1_13binary_searchIS3_S5_SG_SB_SG_NS1_21lower_bound_search_opENSC_16wrapped_functionINS0_4lessIvEEbEEEE10hipError_tPvRmT1_T2_T3_mmT4_T5_P12ihipStream_tbEUlRKjE_EESN_SR_SS_mST_SW_bEUlT_E_NS1_11comp_targetILNS1_3genE2ELNS1_11target_archE906ELNS1_3gpuE6ELNS1_3repE0EEENS1_30default_config_static_selectorELNS0_4arch9wavefront6targetE0EEEvSQ_.numbered_sgpr, 0
	.set _ZN7rocprim17ROCPRIM_400000_NS6detail17trampoline_kernelINS0_14default_configENS1_27lower_bound_config_selectorIjjEEZNS1_14transform_implILb0ES3_S5_N6thrust23THRUST_200600_302600_NS17counting_iteratorIjNS8_11use_defaultESA_SA_EENS8_6detail15normal_iteratorINS8_10device_ptrIjEEEEZNS1_13binary_searchIS3_S5_SG_SB_SG_NS1_21lower_bound_search_opENSC_16wrapped_functionINS0_4lessIvEEbEEEE10hipError_tPvRmT1_T2_T3_mmT4_T5_P12ihipStream_tbEUlRKjE_EESN_SR_SS_mST_SW_bEUlT_E_NS1_11comp_targetILNS1_3genE2ELNS1_11target_archE906ELNS1_3gpuE6ELNS1_3repE0EEENS1_30default_config_static_selectorELNS0_4arch9wavefront6targetE0EEEvSQ_.num_named_barrier, 0
	.set _ZN7rocprim17ROCPRIM_400000_NS6detail17trampoline_kernelINS0_14default_configENS1_27lower_bound_config_selectorIjjEEZNS1_14transform_implILb0ES3_S5_N6thrust23THRUST_200600_302600_NS17counting_iteratorIjNS8_11use_defaultESA_SA_EENS8_6detail15normal_iteratorINS8_10device_ptrIjEEEEZNS1_13binary_searchIS3_S5_SG_SB_SG_NS1_21lower_bound_search_opENSC_16wrapped_functionINS0_4lessIvEEbEEEE10hipError_tPvRmT1_T2_T3_mmT4_T5_P12ihipStream_tbEUlRKjE_EESN_SR_SS_mST_SW_bEUlT_E_NS1_11comp_targetILNS1_3genE2ELNS1_11target_archE906ELNS1_3gpuE6ELNS1_3repE0EEENS1_30default_config_static_selectorELNS0_4arch9wavefront6targetE0EEEvSQ_.private_seg_size, 0
	.set _ZN7rocprim17ROCPRIM_400000_NS6detail17trampoline_kernelINS0_14default_configENS1_27lower_bound_config_selectorIjjEEZNS1_14transform_implILb0ES3_S5_N6thrust23THRUST_200600_302600_NS17counting_iteratorIjNS8_11use_defaultESA_SA_EENS8_6detail15normal_iteratorINS8_10device_ptrIjEEEEZNS1_13binary_searchIS3_S5_SG_SB_SG_NS1_21lower_bound_search_opENSC_16wrapped_functionINS0_4lessIvEEbEEEE10hipError_tPvRmT1_T2_T3_mmT4_T5_P12ihipStream_tbEUlRKjE_EESN_SR_SS_mST_SW_bEUlT_E_NS1_11comp_targetILNS1_3genE2ELNS1_11target_archE906ELNS1_3gpuE6ELNS1_3repE0EEENS1_30default_config_static_selectorELNS0_4arch9wavefront6targetE0EEEvSQ_.uses_vcc, 0
	.set _ZN7rocprim17ROCPRIM_400000_NS6detail17trampoline_kernelINS0_14default_configENS1_27lower_bound_config_selectorIjjEEZNS1_14transform_implILb0ES3_S5_N6thrust23THRUST_200600_302600_NS17counting_iteratorIjNS8_11use_defaultESA_SA_EENS8_6detail15normal_iteratorINS8_10device_ptrIjEEEEZNS1_13binary_searchIS3_S5_SG_SB_SG_NS1_21lower_bound_search_opENSC_16wrapped_functionINS0_4lessIvEEbEEEE10hipError_tPvRmT1_T2_T3_mmT4_T5_P12ihipStream_tbEUlRKjE_EESN_SR_SS_mST_SW_bEUlT_E_NS1_11comp_targetILNS1_3genE2ELNS1_11target_archE906ELNS1_3gpuE6ELNS1_3repE0EEENS1_30default_config_static_selectorELNS0_4arch9wavefront6targetE0EEEvSQ_.uses_flat_scratch, 0
	.set _ZN7rocprim17ROCPRIM_400000_NS6detail17trampoline_kernelINS0_14default_configENS1_27lower_bound_config_selectorIjjEEZNS1_14transform_implILb0ES3_S5_N6thrust23THRUST_200600_302600_NS17counting_iteratorIjNS8_11use_defaultESA_SA_EENS8_6detail15normal_iteratorINS8_10device_ptrIjEEEEZNS1_13binary_searchIS3_S5_SG_SB_SG_NS1_21lower_bound_search_opENSC_16wrapped_functionINS0_4lessIvEEbEEEE10hipError_tPvRmT1_T2_T3_mmT4_T5_P12ihipStream_tbEUlRKjE_EESN_SR_SS_mST_SW_bEUlT_E_NS1_11comp_targetILNS1_3genE2ELNS1_11target_archE906ELNS1_3gpuE6ELNS1_3repE0EEENS1_30default_config_static_selectorELNS0_4arch9wavefront6targetE0EEEvSQ_.has_dyn_sized_stack, 0
	.set _ZN7rocprim17ROCPRIM_400000_NS6detail17trampoline_kernelINS0_14default_configENS1_27lower_bound_config_selectorIjjEEZNS1_14transform_implILb0ES3_S5_N6thrust23THRUST_200600_302600_NS17counting_iteratorIjNS8_11use_defaultESA_SA_EENS8_6detail15normal_iteratorINS8_10device_ptrIjEEEEZNS1_13binary_searchIS3_S5_SG_SB_SG_NS1_21lower_bound_search_opENSC_16wrapped_functionINS0_4lessIvEEbEEEE10hipError_tPvRmT1_T2_T3_mmT4_T5_P12ihipStream_tbEUlRKjE_EESN_SR_SS_mST_SW_bEUlT_E_NS1_11comp_targetILNS1_3genE2ELNS1_11target_archE906ELNS1_3gpuE6ELNS1_3repE0EEENS1_30default_config_static_selectorELNS0_4arch9wavefront6targetE0EEEvSQ_.has_recursion, 0
	.set _ZN7rocprim17ROCPRIM_400000_NS6detail17trampoline_kernelINS0_14default_configENS1_27lower_bound_config_selectorIjjEEZNS1_14transform_implILb0ES3_S5_N6thrust23THRUST_200600_302600_NS17counting_iteratorIjNS8_11use_defaultESA_SA_EENS8_6detail15normal_iteratorINS8_10device_ptrIjEEEEZNS1_13binary_searchIS3_S5_SG_SB_SG_NS1_21lower_bound_search_opENSC_16wrapped_functionINS0_4lessIvEEbEEEE10hipError_tPvRmT1_T2_T3_mmT4_T5_P12ihipStream_tbEUlRKjE_EESN_SR_SS_mST_SW_bEUlT_E_NS1_11comp_targetILNS1_3genE2ELNS1_11target_archE906ELNS1_3gpuE6ELNS1_3repE0EEENS1_30default_config_static_selectorELNS0_4arch9wavefront6targetE0EEEvSQ_.has_indirect_call, 0
	.section	.AMDGPU.csdata,"",@progbits
; Kernel info:
; codeLenInByte = 0
; TotalNumSgprs: 0
; NumVgprs: 0
; ScratchSize: 0
; MemoryBound: 0
; FloatMode: 240
; IeeeMode: 1
; LDSByteSize: 0 bytes/workgroup (compile time only)
; SGPRBlocks: 0
; VGPRBlocks: 0
; NumSGPRsForWavesPerEU: 1
; NumVGPRsForWavesPerEU: 1
; NamedBarCnt: 0
; Occupancy: 16
; WaveLimiterHint : 0
; COMPUTE_PGM_RSRC2:SCRATCH_EN: 0
; COMPUTE_PGM_RSRC2:USER_SGPR: 2
; COMPUTE_PGM_RSRC2:TRAP_HANDLER: 0
; COMPUTE_PGM_RSRC2:TGID_X_EN: 1
; COMPUTE_PGM_RSRC2:TGID_Y_EN: 0
; COMPUTE_PGM_RSRC2:TGID_Z_EN: 0
; COMPUTE_PGM_RSRC2:TIDIG_COMP_CNT: 0
	.section	.text._ZN7rocprim17ROCPRIM_400000_NS6detail17trampoline_kernelINS0_14default_configENS1_27lower_bound_config_selectorIjjEEZNS1_14transform_implILb0ES3_S5_N6thrust23THRUST_200600_302600_NS17counting_iteratorIjNS8_11use_defaultESA_SA_EENS8_6detail15normal_iteratorINS8_10device_ptrIjEEEEZNS1_13binary_searchIS3_S5_SG_SB_SG_NS1_21lower_bound_search_opENSC_16wrapped_functionINS0_4lessIvEEbEEEE10hipError_tPvRmT1_T2_T3_mmT4_T5_P12ihipStream_tbEUlRKjE_EESN_SR_SS_mST_SW_bEUlT_E_NS1_11comp_targetILNS1_3genE10ELNS1_11target_archE1201ELNS1_3gpuE5ELNS1_3repE0EEENS1_30default_config_static_selectorELNS0_4arch9wavefront6targetE0EEEvSQ_,"axG",@progbits,_ZN7rocprim17ROCPRIM_400000_NS6detail17trampoline_kernelINS0_14default_configENS1_27lower_bound_config_selectorIjjEEZNS1_14transform_implILb0ES3_S5_N6thrust23THRUST_200600_302600_NS17counting_iteratorIjNS8_11use_defaultESA_SA_EENS8_6detail15normal_iteratorINS8_10device_ptrIjEEEEZNS1_13binary_searchIS3_S5_SG_SB_SG_NS1_21lower_bound_search_opENSC_16wrapped_functionINS0_4lessIvEEbEEEE10hipError_tPvRmT1_T2_T3_mmT4_T5_P12ihipStream_tbEUlRKjE_EESN_SR_SS_mST_SW_bEUlT_E_NS1_11comp_targetILNS1_3genE10ELNS1_11target_archE1201ELNS1_3gpuE5ELNS1_3repE0EEENS1_30default_config_static_selectorELNS0_4arch9wavefront6targetE0EEEvSQ_,comdat
	.protected	_ZN7rocprim17ROCPRIM_400000_NS6detail17trampoline_kernelINS0_14default_configENS1_27lower_bound_config_selectorIjjEEZNS1_14transform_implILb0ES3_S5_N6thrust23THRUST_200600_302600_NS17counting_iteratorIjNS8_11use_defaultESA_SA_EENS8_6detail15normal_iteratorINS8_10device_ptrIjEEEEZNS1_13binary_searchIS3_S5_SG_SB_SG_NS1_21lower_bound_search_opENSC_16wrapped_functionINS0_4lessIvEEbEEEE10hipError_tPvRmT1_T2_T3_mmT4_T5_P12ihipStream_tbEUlRKjE_EESN_SR_SS_mST_SW_bEUlT_E_NS1_11comp_targetILNS1_3genE10ELNS1_11target_archE1201ELNS1_3gpuE5ELNS1_3repE0EEENS1_30default_config_static_selectorELNS0_4arch9wavefront6targetE0EEEvSQ_ ; -- Begin function _ZN7rocprim17ROCPRIM_400000_NS6detail17trampoline_kernelINS0_14default_configENS1_27lower_bound_config_selectorIjjEEZNS1_14transform_implILb0ES3_S5_N6thrust23THRUST_200600_302600_NS17counting_iteratorIjNS8_11use_defaultESA_SA_EENS8_6detail15normal_iteratorINS8_10device_ptrIjEEEEZNS1_13binary_searchIS3_S5_SG_SB_SG_NS1_21lower_bound_search_opENSC_16wrapped_functionINS0_4lessIvEEbEEEE10hipError_tPvRmT1_T2_T3_mmT4_T5_P12ihipStream_tbEUlRKjE_EESN_SR_SS_mST_SW_bEUlT_E_NS1_11comp_targetILNS1_3genE10ELNS1_11target_archE1201ELNS1_3gpuE5ELNS1_3repE0EEENS1_30default_config_static_selectorELNS0_4arch9wavefront6targetE0EEEvSQ_
	.globl	_ZN7rocprim17ROCPRIM_400000_NS6detail17trampoline_kernelINS0_14default_configENS1_27lower_bound_config_selectorIjjEEZNS1_14transform_implILb0ES3_S5_N6thrust23THRUST_200600_302600_NS17counting_iteratorIjNS8_11use_defaultESA_SA_EENS8_6detail15normal_iteratorINS8_10device_ptrIjEEEEZNS1_13binary_searchIS3_S5_SG_SB_SG_NS1_21lower_bound_search_opENSC_16wrapped_functionINS0_4lessIvEEbEEEE10hipError_tPvRmT1_T2_T3_mmT4_T5_P12ihipStream_tbEUlRKjE_EESN_SR_SS_mST_SW_bEUlT_E_NS1_11comp_targetILNS1_3genE10ELNS1_11target_archE1201ELNS1_3gpuE5ELNS1_3repE0EEENS1_30default_config_static_selectorELNS0_4arch9wavefront6targetE0EEEvSQ_
	.p2align	8
	.type	_ZN7rocprim17ROCPRIM_400000_NS6detail17trampoline_kernelINS0_14default_configENS1_27lower_bound_config_selectorIjjEEZNS1_14transform_implILb0ES3_S5_N6thrust23THRUST_200600_302600_NS17counting_iteratorIjNS8_11use_defaultESA_SA_EENS8_6detail15normal_iteratorINS8_10device_ptrIjEEEEZNS1_13binary_searchIS3_S5_SG_SB_SG_NS1_21lower_bound_search_opENSC_16wrapped_functionINS0_4lessIvEEbEEEE10hipError_tPvRmT1_T2_T3_mmT4_T5_P12ihipStream_tbEUlRKjE_EESN_SR_SS_mST_SW_bEUlT_E_NS1_11comp_targetILNS1_3genE10ELNS1_11target_archE1201ELNS1_3gpuE5ELNS1_3repE0EEENS1_30default_config_static_selectorELNS0_4arch9wavefront6targetE0EEEvSQ_,@function
_ZN7rocprim17ROCPRIM_400000_NS6detail17trampoline_kernelINS0_14default_configENS1_27lower_bound_config_selectorIjjEEZNS1_14transform_implILb0ES3_S5_N6thrust23THRUST_200600_302600_NS17counting_iteratorIjNS8_11use_defaultESA_SA_EENS8_6detail15normal_iteratorINS8_10device_ptrIjEEEEZNS1_13binary_searchIS3_S5_SG_SB_SG_NS1_21lower_bound_search_opENSC_16wrapped_functionINS0_4lessIvEEbEEEE10hipError_tPvRmT1_T2_T3_mmT4_T5_P12ihipStream_tbEUlRKjE_EESN_SR_SS_mST_SW_bEUlT_E_NS1_11comp_targetILNS1_3genE10ELNS1_11target_archE1201ELNS1_3gpuE5ELNS1_3repE0EEENS1_30default_config_static_selectorELNS0_4arch9wavefront6targetE0EEEvSQ_: ; @_ZN7rocprim17ROCPRIM_400000_NS6detail17trampoline_kernelINS0_14default_configENS1_27lower_bound_config_selectorIjjEEZNS1_14transform_implILb0ES3_S5_N6thrust23THRUST_200600_302600_NS17counting_iteratorIjNS8_11use_defaultESA_SA_EENS8_6detail15normal_iteratorINS8_10device_ptrIjEEEEZNS1_13binary_searchIS3_S5_SG_SB_SG_NS1_21lower_bound_search_opENSC_16wrapped_functionINS0_4lessIvEEbEEEE10hipError_tPvRmT1_T2_T3_mmT4_T5_P12ihipStream_tbEUlRKjE_EESN_SR_SS_mST_SW_bEUlT_E_NS1_11comp_targetILNS1_3genE10ELNS1_11target_archE1201ELNS1_3gpuE5ELNS1_3repE0EEENS1_30default_config_static_selectorELNS0_4arch9wavefront6targetE0EEEvSQ_
; %bb.0:
	.section	.rodata,"a",@progbits
	.p2align	6, 0x0
	.amdhsa_kernel _ZN7rocprim17ROCPRIM_400000_NS6detail17trampoline_kernelINS0_14default_configENS1_27lower_bound_config_selectorIjjEEZNS1_14transform_implILb0ES3_S5_N6thrust23THRUST_200600_302600_NS17counting_iteratorIjNS8_11use_defaultESA_SA_EENS8_6detail15normal_iteratorINS8_10device_ptrIjEEEEZNS1_13binary_searchIS3_S5_SG_SB_SG_NS1_21lower_bound_search_opENSC_16wrapped_functionINS0_4lessIvEEbEEEE10hipError_tPvRmT1_T2_T3_mmT4_T5_P12ihipStream_tbEUlRKjE_EESN_SR_SS_mST_SW_bEUlT_E_NS1_11comp_targetILNS1_3genE10ELNS1_11target_archE1201ELNS1_3gpuE5ELNS1_3repE0EEENS1_30default_config_static_selectorELNS0_4arch9wavefront6targetE0EEEvSQ_
		.amdhsa_group_segment_fixed_size 0
		.amdhsa_private_segment_fixed_size 0
		.amdhsa_kernarg_size 56
		.amdhsa_user_sgpr_count 2
		.amdhsa_user_sgpr_dispatch_ptr 0
		.amdhsa_user_sgpr_queue_ptr 0
		.amdhsa_user_sgpr_kernarg_segment_ptr 1
		.amdhsa_user_sgpr_dispatch_id 0
		.amdhsa_user_sgpr_kernarg_preload_length 0
		.amdhsa_user_sgpr_kernarg_preload_offset 0
		.amdhsa_user_sgpr_private_segment_size 0
		.amdhsa_wavefront_size32 1
		.amdhsa_uses_dynamic_stack 0
		.amdhsa_enable_private_segment 0
		.amdhsa_system_sgpr_workgroup_id_x 1
		.amdhsa_system_sgpr_workgroup_id_y 0
		.amdhsa_system_sgpr_workgroup_id_z 0
		.amdhsa_system_sgpr_workgroup_info 0
		.amdhsa_system_vgpr_workitem_id 0
		.amdhsa_next_free_vgpr 1
		.amdhsa_next_free_sgpr 1
		.amdhsa_named_barrier_count 0
		.amdhsa_reserve_vcc 0
		.amdhsa_float_round_mode_32 0
		.amdhsa_float_round_mode_16_64 0
		.amdhsa_float_denorm_mode_32 3
		.amdhsa_float_denorm_mode_16_64 3
		.amdhsa_fp16_overflow 0
		.amdhsa_memory_ordered 1
		.amdhsa_forward_progress 1
		.amdhsa_inst_pref_size 0
		.amdhsa_round_robin_scheduling 0
		.amdhsa_exception_fp_ieee_invalid_op 0
		.amdhsa_exception_fp_denorm_src 0
		.amdhsa_exception_fp_ieee_div_zero 0
		.amdhsa_exception_fp_ieee_overflow 0
		.amdhsa_exception_fp_ieee_underflow 0
		.amdhsa_exception_fp_ieee_inexact 0
		.amdhsa_exception_int_div_zero 0
	.end_amdhsa_kernel
	.section	.text._ZN7rocprim17ROCPRIM_400000_NS6detail17trampoline_kernelINS0_14default_configENS1_27lower_bound_config_selectorIjjEEZNS1_14transform_implILb0ES3_S5_N6thrust23THRUST_200600_302600_NS17counting_iteratorIjNS8_11use_defaultESA_SA_EENS8_6detail15normal_iteratorINS8_10device_ptrIjEEEEZNS1_13binary_searchIS3_S5_SG_SB_SG_NS1_21lower_bound_search_opENSC_16wrapped_functionINS0_4lessIvEEbEEEE10hipError_tPvRmT1_T2_T3_mmT4_T5_P12ihipStream_tbEUlRKjE_EESN_SR_SS_mST_SW_bEUlT_E_NS1_11comp_targetILNS1_3genE10ELNS1_11target_archE1201ELNS1_3gpuE5ELNS1_3repE0EEENS1_30default_config_static_selectorELNS0_4arch9wavefront6targetE0EEEvSQ_,"axG",@progbits,_ZN7rocprim17ROCPRIM_400000_NS6detail17trampoline_kernelINS0_14default_configENS1_27lower_bound_config_selectorIjjEEZNS1_14transform_implILb0ES3_S5_N6thrust23THRUST_200600_302600_NS17counting_iteratorIjNS8_11use_defaultESA_SA_EENS8_6detail15normal_iteratorINS8_10device_ptrIjEEEEZNS1_13binary_searchIS3_S5_SG_SB_SG_NS1_21lower_bound_search_opENSC_16wrapped_functionINS0_4lessIvEEbEEEE10hipError_tPvRmT1_T2_T3_mmT4_T5_P12ihipStream_tbEUlRKjE_EESN_SR_SS_mST_SW_bEUlT_E_NS1_11comp_targetILNS1_3genE10ELNS1_11target_archE1201ELNS1_3gpuE5ELNS1_3repE0EEENS1_30default_config_static_selectorELNS0_4arch9wavefront6targetE0EEEvSQ_,comdat
.Lfunc_end235:
	.size	_ZN7rocprim17ROCPRIM_400000_NS6detail17trampoline_kernelINS0_14default_configENS1_27lower_bound_config_selectorIjjEEZNS1_14transform_implILb0ES3_S5_N6thrust23THRUST_200600_302600_NS17counting_iteratorIjNS8_11use_defaultESA_SA_EENS8_6detail15normal_iteratorINS8_10device_ptrIjEEEEZNS1_13binary_searchIS3_S5_SG_SB_SG_NS1_21lower_bound_search_opENSC_16wrapped_functionINS0_4lessIvEEbEEEE10hipError_tPvRmT1_T2_T3_mmT4_T5_P12ihipStream_tbEUlRKjE_EESN_SR_SS_mST_SW_bEUlT_E_NS1_11comp_targetILNS1_3genE10ELNS1_11target_archE1201ELNS1_3gpuE5ELNS1_3repE0EEENS1_30default_config_static_selectorELNS0_4arch9wavefront6targetE0EEEvSQ_, .Lfunc_end235-_ZN7rocprim17ROCPRIM_400000_NS6detail17trampoline_kernelINS0_14default_configENS1_27lower_bound_config_selectorIjjEEZNS1_14transform_implILb0ES3_S5_N6thrust23THRUST_200600_302600_NS17counting_iteratorIjNS8_11use_defaultESA_SA_EENS8_6detail15normal_iteratorINS8_10device_ptrIjEEEEZNS1_13binary_searchIS3_S5_SG_SB_SG_NS1_21lower_bound_search_opENSC_16wrapped_functionINS0_4lessIvEEbEEEE10hipError_tPvRmT1_T2_T3_mmT4_T5_P12ihipStream_tbEUlRKjE_EESN_SR_SS_mST_SW_bEUlT_E_NS1_11comp_targetILNS1_3genE10ELNS1_11target_archE1201ELNS1_3gpuE5ELNS1_3repE0EEENS1_30default_config_static_selectorELNS0_4arch9wavefront6targetE0EEEvSQ_
                                        ; -- End function
	.set _ZN7rocprim17ROCPRIM_400000_NS6detail17trampoline_kernelINS0_14default_configENS1_27lower_bound_config_selectorIjjEEZNS1_14transform_implILb0ES3_S5_N6thrust23THRUST_200600_302600_NS17counting_iteratorIjNS8_11use_defaultESA_SA_EENS8_6detail15normal_iteratorINS8_10device_ptrIjEEEEZNS1_13binary_searchIS3_S5_SG_SB_SG_NS1_21lower_bound_search_opENSC_16wrapped_functionINS0_4lessIvEEbEEEE10hipError_tPvRmT1_T2_T3_mmT4_T5_P12ihipStream_tbEUlRKjE_EESN_SR_SS_mST_SW_bEUlT_E_NS1_11comp_targetILNS1_3genE10ELNS1_11target_archE1201ELNS1_3gpuE5ELNS1_3repE0EEENS1_30default_config_static_selectorELNS0_4arch9wavefront6targetE0EEEvSQ_.num_vgpr, 0
	.set _ZN7rocprim17ROCPRIM_400000_NS6detail17trampoline_kernelINS0_14default_configENS1_27lower_bound_config_selectorIjjEEZNS1_14transform_implILb0ES3_S5_N6thrust23THRUST_200600_302600_NS17counting_iteratorIjNS8_11use_defaultESA_SA_EENS8_6detail15normal_iteratorINS8_10device_ptrIjEEEEZNS1_13binary_searchIS3_S5_SG_SB_SG_NS1_21lower_bound_search_opENSC_16wrapped_functionINS0_4lessIvEEbEEEE10hipError_tPvRmT1_T2_T3_mmT4_T5_P12ihipStream_tbEUlRKjE_EESN_SR_SS_mST_SW_bEUlT_E_NS1_11comp_targetILNS1_3genE10ELNS1_11target_archE1201ELNS1_3gpuE5ELNS1_3repE0EEENS1_30default_config_static_selectorELNS0_4arch9wavefront6targetE0EEEvSQ_.num_agpr, 0
	.set _ZN7rocprim17ROCPRIM_400000_NS6detail17trampoline_kernelINS0_14default_configENS1_27lower_bound_config_selectorIjjEEZNS1_14transform_implILb0ES3_S5_N6thrust23THRUST_200600_302600_NS17counting_iteratorIjNS8_11use_defaultESA_SA_EENS8_6detail15normal_iteratorINS8_10device_ptrIjEEEEZNS1_13binary_searchIS3_S5_SG_SB_SG_NS1_21lower_bound_search_opENSC_16wrapped_functionINS0_4lessIvEEbEEEE10hipError_tPvRmT1_T2_T3_mmT4_T5_P12ihipStream_tbEUlRKjE_EESN_SR_SS_mST_SW_bEUlT_E_NS1_11comp_targetILNS1_3genE10ELNS1_11target_archE1201ELNS1_3gpuE5ELNS1_3repE0EEENS1_30default_config_static_selectorELNS0_4arch9wavefront6targetE0EEEvSQ_.numbered_sgpr, 0
	.set _ZN7rocprim17ROCPRIM_400000_NS6detail17trampoline_kernelINS0_14default_configENS1_27lower_bound_config_selectorIjjEEZNS1_14transform_implILb0ES3_S5_N6thrust23THRUST_200600_302600_NS17counting_iteratorIjNS8_11use_defaultESA_SA_EENS8_6detail15normal_iteratorINS8_10device_ptrIjEEEEZNS1_13binary_searchIS3_S5_SG_SB_SG_NS1_21lower_bound_search_opENSC_16wrapped_functionINS0_4lessIvEEbEEEE10hipError_tPvRmT1_T2_T3_mmT4_T5_P12ihipStream_tbEUlRKjE_EESN_SR_SS_mST_SW_bEUlT_E_NS1_11comp_targetILNS1_3genE10ELNS1_11target_archE1201ELNS1_3gpuE5ELNS1_3repE0EEENS1_30default_config_static_selectorELNS0_4arch9wavefront6targetE0EEEvSQ_.num_named_barrier, 0
	.set _ZN7rocprim17ROCPRIM_400000_NS6detail17trampoline_kernelINS0_14default_configENS1_27lower_bound_config_selectorIjjEEZNS1_14transform_implILb0ES3_S5_N6thrust23THRUST_200600_302600_NS17counting_iteratorIjNS8_11use_defaultESA_SA_EENS8_6detail15normal_iteratorINS8_10device_ptrIjEEEEZNS1_13binary_searchIS3_S5_SG_SB_SG_NS1_21lower_bound_search_opENSC_16wrapped_functionINS0_4lessIvEEbEEEE10hipError_tPvRmT1_T2_T3_mmT4_T5_P12ihipStream_tbEUlRKjE_EESN_SR_SS_mST_SW_bEUlT_E_NS1_11comp_targetILNS1_3genE10ELNS1_11target_archE1201ELNS1_3gpuE5ELNS1_3repE0EEENS1_30default_config_static_selectorELNS0_4arch9wavefront6targetE0EEEvSQ_.private_seg_size, 0
	.set _ZN7rocprim17ROCPRIM_400000_NS6detail17trampoline_kernelINS0_14default_configENS1_27lower_bound_config_selectorIjjEEZNS1_14transform_implILb0ES3_S5_N6thrust23THRUST_200600_302600_NS17counting_iteratorIjNS8_11use_defaultESA_SA_EENS8_6detail15normal_iteratorINS8_10device_ptrIjEEEEZNS1_13binary_searchIS3_S5_SG_SB_SG_NS1_21lower_bound_search_opENSC_16wrapped_functionINS0_4lessIvEEbEEEE10hipError_tPvRmT1_T2_T3_mmT4_T5_P12ihipStream_tbEUlRKjE_EESN_SR_SS_mST_SW_bEUlT_E_NS1_11comp_targetILNS1_3genE10ELNS1_11target_archE1201ELNS1_3gpuE5ELNS1_3repE0EEENS1_30default_config_static_selectorELNS0_4arch9wavefront6targetE0EEEvSQ_.uses_vcc, 0
	.set _ZN7rocprim17ROCPRIM_400000_NS6detail17trampoline_kernelINS0_14default_configENS1_27lower_bound_config_selectorIjjEEZNS1_14transform_implILb0ES3_S5_N6thrust23THRUST_200600_302600_NS17counting_iteratorIjNS8_11use_defaultESA_SA_EENS8_6detail15normal_iteratorINS8_10device_ptrIjEEEEZNS1_13binary_searchIS3_S5_SG_SB_SG_NS1_21lower_bound_search_opENSC_16wrapped_functionINS0_4lessIvEEbEEEE10hipError_tPvRmT1_T2_T3_mmT4_T5_P12ihipStream_tbEUlRKjE_EESN_SR_SS_mST_SW_bEUlT_E_NS1_11comp_targetILNS1_3genE10ELNS1_11target_archE1201ELNS1_3gpuE5ELNS1_3repE0EEENS1_30default_config_static_selectorELNS0_4arch9wavefront6targetE0EEEvSQ_.uses_flat_scratch, 0
	.set _ZN7rocprim17ROCPRIM_400000_NS6detail17trampoline_kernelINS0_14default_configENS1_27lower_bound_config_selectorIjjEEZNS1_14transform_implILb0ES3_S5_N6thrust23THRUST_200600_302600_NS17counting_iteratorIjNS8_11use_defaultESA_SA_EENS8_6detail15normal_iteratorINS8_10device_ptrIjEEEEZNS1_13binary_searchIS3_S5_SG_SB_SG_NS1_21lower_bound_search_opENSC_16wrapped_functionINS0_4lessIvEEbEEEE10hipError_tPvRmT1_T2_T3_mmT4_T5_P12ihipStream_tbEUlRKjE_EESN_SR_SS_mST_SW_bEUlT_E_NS1_11comp_targetILNS1_3genE10ELNS1_11target_archE1201ELNS1_3gpuE5ELNS1_3repE0EEENS1_30default_config_static_selectorELNS0_4arch9wavefront6targetE0EEEvSQ_.has_dyn_sized_stack, 0
	.set _ZN7rocprim17ROCPRIM_400000_NS6detail17trampoline_kernelINS0_14default_configENS1_27lower_bound_config_selectorIjjEEZNS1_14transform_implILb0ES3_S5_N6thrust23THRUST_200600_302600_NS17counting_iteratorIjNS8_11use_defaultESA_SA_EENS8_6detail15normal_iteratorINS8_10device_ptrIjEEEEZNS1_13binary_searchIS3_S5_SG_SB_SG_NS1_21lower_bound_search_opENSC_16wrapped_functionINS0_4lessIvEEbEEEE10hipError_tPvRmT1_T2_T3_mmT4_T5_P12ihipStream_tbEUlRKjE_EESN_SR_SS_mST_SW_bEUlT_E_NS1_11comp_targetILNS1_3genE10ELNS1_11target_archE1201ELNS1_3gpuE5ELNS1_3repE0EEENS1_30default_config_static_selectorELNS0_4arch9wavefront6targetE0EEEvSQ_.has_recursion, 0
	.set _ZN7rocprim17ROCPRIM_400000_NS6detail17trampoline_kernelINS0_14default_configENS1_27lower_bound_config_selectorIjjEEZNS1_14transform_implILb0ES3_S5_N6thrust23THRUST_200600_302600_NS17counting_iteratorIjNS8_11use_defaultESA_SA_EENS8_6detail15normal_iteratorINS8_10device_ptrIjEEEEZNS1_13binary_searchIS3_S5_SG_SB_SG_NS1_21lower_bound_search_opENSC_16wrapped_functionINS0_4lessIvEEbEEEE10hipError_tPvRmT1_T2_T3_mmT4_T5_P12ihipStream_tbEUlRKjE_EESN_SR_SS_mST_SW_bEUlT_E_NS1_11comp_targetILNS1_3genE10ELNS1_11target_archE1201ELNS1_3gpuE5ELNS1_3repE0EEENS1_30default_config_static_selectorELNS0_4arch9wavefront6targetE0EEEvSQ_.has_indirect_call, 0
	.section	.AMDGPU.csdata,"",@progbits
; Kernel info:
; codeLenInByte = 0
; TotalNumSgprs: 0
; NumVgprs: 0
; ScratchSize: 0
; MemoryBound: 0
; FloatMode: 240
; IeeeMode: 1
; LDSByteSize: 0 bytes/workgroup (compile time only)
; SGPRBlocks: 0
; VGPRBlocks: 0
; NumSGPRsForWavesPerEU: 1
; NumVGPRsForWavesPerEU: 1
; NamedBarCnt: 0
; Occupancy: 16
; WaveLimiterHint : 0
; COMPUTE_PGM_RSRC2:SCRATCH_EN: 0
; COMPUTE_PGM_RSRC2:USER_SGPR: 2
; COMPUTE_PGM_RSRC2:TRAP_HANDLER: 0
; COMPUTE_PGM_RSRC2:TGID_X_EN: 1
; COMPUTE_PGM_RSRC2:TGID_Y_EN: 0
; COMPUTE_PGM_RSRC2:TGID_Z_EN: 0
; COMPUTE_PGM_RSRC2:TIDIG_COMP_CNT: 0
	.section	.text._ZN7rocprim17ROCPRIM_400000_NS6detail17trampoline_kernelINS0_14default_configENS1_27lower_bound_config_selectorIjjEEZNS1_14transform_implILb0ES3_S5_N6thrust23THRUST_200600_302600_NS17counting_iteratorIjNS8_11use_defaultESA_SA_EENS8_6detail15normal_iteratorINS8_10device_ptrIjEEEEZNS1_13binary_searchIS3_S5_SG_SB_SG_NS1_21lower_bound_search_opENSC_16wrapped_functionINS0_4lessIvEEbEEEE10hipError_tPvRmT1_T2_T3_mmT4_T5_P12ihipStream_tbEUlRKjE_EESN_SR_SS_mST_SW_bEUlT_E_NS1_11comp_targetILNS1_3genE10ELNS1_11target_archE1200ELNS1_3gpuE4ELNS1_3repE0EEENS1_30default_config_static_selectorELNS0_4arch9wavefront6targetE0EEEvSQ_,"axG",@progbits,_ZN7rocprim17ROCPRIM_400000_NS6detail17trampoline_kernelINS0_14default_configENS1_27lower_bound_config_selectorIjjEEZNS1_14transform_implILb0ES3_S5_N6thrust23THRUST_200600_302600_NS17counting_iteratorIjNS8_11use_defaultESA_SA_EENS8_6detail15normal_iteratorINS8_10device_ptrIjEEEEZNS1_13binary_searchIS3_S5_SG_SB_SG_NS1_21lower_bound_search_opENSC_16wrapped_functionINS0_4lessIvEEbEEEE10hipError_tPvRmT1_T2_T3_mmT4_T5_P12ihipStream_tbEUlRKjE_EESN_SR_SS_mST_SW_bEUlT_E_NS1_11comp_targetILNS1_3genE10ELNS1_11target_archE1200ELNS1_3gpuE4ELNS1_3repE0EEENS1_30default_config_static_selectorELNS0_4arch9wavefront6targetE0EEEvSQ_,comdat
	.protected	_ZN7rocprim17ROCPRIM_400000_NS6detail17trampoline_kernelINS0_14default_configENS1_27lower_bound_config_selectorIjjEEZNS1_14transform_implILb0ES3_S5_N6thrust23THRUST_200600_302600_NS17counting_iteratorIjNS8_11use_defaultESA_SA_EENS8_6detail15normal_iteratorINS8_10device_ptrIjEEEEZNS1_13binary_searchIS3_S5_SG_SB_SG_NS1_21lower_bound_search_opENSC_16wrapped_functionINS0_4lessIvEEbEEEE10hipError_tPvRmT1_T2_T3_mmT4_T5_P12ihipStream_tbEUlRKjE_EESN_SR_SS_mST_SW_bEUlT_E_NS1_11comp_targetILNS1_3genE10ELNS1_11target_archE1200ELNS1_3gpuE4ELNS1_3repE0EEENS1_30default_config_static_selectorELNS0_4arch9wavefront6targetE0EEEvSQ_ ; -- Begin function _ZN7rocprim17ROCPRIM_400000_NS6detail17trampoline_kernelINS0_14default_configENS1_27lower_bound_config_selectorIjjEEZNS1_14transform_implILb0ES3_S5_N6thrust23THRUST_200600_302600_NS17counting_iteratorIjNS8_11use_defaultESA_SA_EENS8_6detail15normal_iteratorINS8_10device_ptrIjEEEEZNS1_13binary_searchIS3_S5_SG_SB_SG_NS1_21lower_bound_search_opENSC_16wrapped_functionINS0_4lessIvEEbEEEE10hipError_tPvRmT1_T2_T3_mmT4_T5_P12ihipStream_tbEUlRKjE_EESN_SR_SS_mST_SW_bEUlT_E_NS1_11comp_targetILNS1_3genE10ELNS1_11target_archE1200ELNS1_3gpuE4ELNS1_3repE0EEENS1_30default_config_static_selectorELNS0_4arch9wavefront6targetE0EEEvSQ_
	.globl	_ZN7rocprim17ROCPRIM_400000_NS6detail17trampoline_kernelINS0_14default_configENS1_27lower_bound_config_selectorIjjEEZNS1_14transform_implILb0ES3_S5_N6thrust23THRUST_200600_302600_NS17counting_iteratorIjNS8_11use_defaultESA_SA_EENS8_6detail15normal_iteratorINS8_10device_ptrIjEEEEZNS1_13binary_searchIS3_S5_SG_SB_SG_NS1_21lower_bound_search_opENSC_16wrapped_functionINS0_4lessIvEEbEEEE10hipError_tPvRmT1_T2_T3_mmT4_T5_P12ihipStream_tbEUlRKjE_EESN_SR_SS_mST_SW_bEUlT_E_NS1_11comp_targetILNS1_3genE10ELNS1_11target_archE1200ELNS1_3gpuE4ELNS1_3repE0EEENS1_30default_config_static_selectorELNS0_4arch9wavefront6targetE0EEEvSQ_
	.p2align	8
	.type	_ZN7rocprim17ROCPRIM_400000_NS6detail17trampoline_kernelINS0_14default_configENS1_27lower_bound_config_selectorIjjEEZNS1_14transform_implILb0ES3_S5_N6thrust23THRUST_200600_302600_NS17counting_iteratorIjNS8_11use_defaultESA_SA_EENS8_6detail15normal_iteratorINS8_10device_ptrIjEEEEZNS1_13binary_searchIS3_S5_SG_SB_SG_NS1_21lower_bound_search_opENSC_16wrapped_functionINS0_4lessIvEEbEEEE10hipError_tPvRmT1_T2_T3_mmT4_T5_P12ihipStream_tbEUlRKjE_EESN_SR_SS_mST_SW_bEUlT_E_NS1_11comp_targetILNS1_3genE10ELNS1_11target_archE1200ELNS1_3gpuE4ELNS1_3repE0EEENS1_30default_config_static_selectorELNS0_4arch9wavefront6targetE0EEEvSQ_,@function
_ZN7rocprim17ROCPRIM_400000_NS6detail17trampoline_kernelINS0_14default_configENS1_27lower_bound_config_selectorIjjEEZNS1_14transform_implILb0ES3_S5_N6thrust23THRUST_200600_302600_NS17counting_iteratorIjNS8_11use_defaultESA_SA_EENS8_6detail15normal_iteratorINS8_10device_ptrIjEEEEZNS1_13binary_searchIS3_S5_SG_SB_SG_NS1_21lower_bound_search_opENSC_16wrapped_functionINS0_4lessIvEEbEEEE10hipError_tPvRmT1_T2_T3_mmT4_T5_P12ihipStream_tbEUlRKjE_EESN_SR_SS_mST_SW_bEUlT_E_NS1_11comp_targetILNS1_3genE10ELNS1_11target_archE1200ELNS1_3gpuE4ELNS1_3repE0EEENS1_30default_config_static_selectorELNS0_4arch9wavefront6targetE0EEEvSQ_: ; @_ZN7rocprim17ROCPRIM_400000_NS6detail17trampoline_kernelINS0_14default_configENS1_27lower_bound_config_selectorIjjEEZNS1_14transform_implILb0ES3_S5_N6thrust23THRUST_200600_302600_NS17counting_iteratorIjNS8_11use_defaultESA_SA_EENS8_6detail15normal_iteratorINS8_10device_ptrIjEEEEZNS1_13binary_searchIS3_S5_SG_SB_SG_NS1_21lower_bound_search_opENSC_16wrapped_functionINS0_4lessIvEEbEEEE10hipError_tPvRmT1_T2_T3_mmT4_T5_P12ihipStream_tbEUlRKjE_EESN_SR_SS_mST_SW_bEUlT_E_NS1_11comp_targetILNS1_3genE10ELNS1_11target_archE1200ELNS1_3gpuE4ELNS1_3repE0EEENS1_30default_config_static_selectorELNS0_4arch9wavefront6targetE0EEEvSQ_
; %bb.0:
	.section	.rodata,"a",@progbits
	.p2align	6, 0x0
	.amdhsa_kernel _ZN7rocprim17ROCPRIM_400000_NS6detail17trampoline_kernelINS0_14default_configENS1_27lower_bound_config_selectorIjjEEZNS1_14transform_implILb0ES3_S5_N6thrust23THRUST_200600_302600_NS17counting_iteratorIjNS8_11use_defaultESA_SA_EENS8_6detail15normal_iteratorINS8_10device_ptrIjEEEEZNS1_13binary_searchIS3_S5_SG_SB_SG_NS1_21lower_bound_search_opENSC_16wrapped_functionINS0_4lessIvEEbEEEE10hipError_tPvRmT1_T2_T3_mmT4_T5_P12ihipStream_tbEUlRKjE_EESN_SR_SS_mST_SW_bEUlT_E_NS1_11comp_targetILNS1_3genE10ELNS1_11target_archE1200ELNS1_3gpuE4ELNS1_3repE0EEENS1_30default_config_static_selectorELNS0_4arch9wavefront6targetE0EEEvSQ_
		.amdhsa_group_segment_fixed_size 0
		.amdhsa_private_segment_fixed_size 0
		.amdhsa_kernarg_size 56
		.amdhsa_user_sgpr_count 2
		.amdhsa_user_sgpr_dispatch_ptr 0
		.amdhsa_user_sgpr_queue_ptr 0
		.amdhsa_user_sgpr_kernarg_segment_ptr 1
		.amdhsa_user_sgpr_dispatch_id 0
		.amdhsa_user_sgpr_kernarg_preload_length 0
		.amdhsa_user_sgpr_kernarg_preload_offset 0
		.amdhsa_user_sgpr_private_segment_size 0
		.amdhsa_wavefront_size32 1
		.amdhsa_uses_dynamic_stack 0
		.amdhsa_enable_private_segment 0
		.amdhsa_system_sgpr_workgroup_id_x 1
		.amdhsa_system_sgpr_workgroup_id_y 0
		.amdhsa_system_sgpr_workgroup_id_z 0
		.amdhsa_system_sgpr_workgroup_info 0
		.amdhsa_system_vgpr_workitem_id 0
		.amdhsa_next_free_vgpr 1
		.amdhsa_next_free_sgpr 1
		.amdhsa_named_barrier_count 0
		.amdhsa_reserve_vcc 0
		.amdhsa_float_round_mode_32 0
		.amdhsa_float_round_mode_16_64 0
		.amdhsa_float_denorm_mode_32 3
		.amdhsa_float_denorm_mode_16_64 3
		.amdhsa_fp16_overflow 0
		.amdhsa_memory_ordered 1
		.amdhsa_forward_progress 1
		.amdhsa_inst_pref_size 0
		.amdhsa_round_robin_scheduling 0
		.amdhsa_exception_fp_ieee_invalid_op 0
		.amdhsa_exception_fp_denorm_src 0
		.amdhsa_exception_fp_ieee_div_zero 0
		.amdhsa_exception_fp_ieee_overflow 0
		.amdhsa_exception_fp_ieee_underflow 0
		.amdhsa_exception_fp_ieee_inexact 0
		.amdhsa_exception_int_div_zero 0
	.end_amdhsa_kernel
	.section	.text._ZN7rocprim17ROCPRIM_400000_NS6detail17trampoline_kernelINS0_14default_configENS1_27lower_bound_config_selectorIjjEEZNS1_14transform_implILb0ES3_S5_N6thrust23THRUST_200600_302600_NS17counting_iteratorIjNS8_11use_defaultESA_SA_EENS8_6detail15normal_iteratorINS8_10device_ptrIjEEEEZNS1_13binary_searchIS3_S5_SG_SB_SG_NS1_21lower_bound_search_opENSC_16wrapped_functionINS0_4lessIvEEbEEEE10hipError_tPvRmT1_T2_T3_mmT4_T5_P12ihipStream_tbEUlRKjE_EESN_SR_SS_mST_SW_bEUlT_E_NS1_11comp_targetILNS1_3genE10ELNS1_11target_archE1200ELNS1_3gpuE4ELNS1_3repE0EEENS1_30default_config_static_selectorELNS0_4arch9wavefront6targetE0EEEvSQ_,"axG",@progbits,_ZN7rocprim17ROCPRIM_400000_NS6detail17trampoline_kernelINS0_14default_configENS1_27lower_bound_config_selectorIjjEEZNS1_14transform_implILb0ES3_S5_N6thrust23THRUST_200600_302600_NS17counting_iteratorIjNS8_11use_defaultESA_SA_EENS8_6detail15normal_iteratorINS8_10device_ptrIjEEEEZNS1_13binary_searchIS3_S5_SG_SB_SG_NS1_21lower_bound_search_opENSC_16wrapped_functionINS0_4lessIvEEbEEEE10hipError_tPvRmT1_T2_T3_mmT4_T5_P12ihipStream_tbEUlRKjE_EESN_SR_SS_mST_SW_bEUlT_E_NS1_11comp_targetILNS1_3genE10ELNS1_11target_archE1200ELNS1_3gpuE4ELNS1_3repE0EEENS1_30default_config_static_selectorELNS0_4arch9wavefront6targetE0EEEvSQ_,comdat
.Lfunc_end236:
	.size	_ZN7rocprim17ROCPRIM_400000_NS6detail17trampoline_kernelINS0_14default_configENS1_27lower_bound_config_selectorIjjEEZNS1_14transform_implILb0ES3_S5_N6thrust23THRUST_200600_302600_NS17counting_iteratorIjNS8_11use_defaultESA_SA_EENS8_6detail15normal_iteratorINS8_10device_ptrIjEEEEZNS1_13binary_searchIS3_S5_SG_SB_SG_NS1_21lower_bound_search_opENSC_16wrapped_functionINS0_4lessIvEEbEEEE10hipError_tPvRmT1_T2_T3_mmT4_T5_P12ihipStream_tbEUlRKjE_EESN_SR_SS_mST_SW_bEUlT_E_NS1_11comp_targetILNS1_3genE10ELNS1_11target_archE1200ELNS1_3gpuE4ELNS1_3repE0EEENS1_30default_config_static_selectorELNS0_4arch9wavefront6targetE0EEEvSQ_, .Lfunc_end236-_ZN7rocprim17ROCPRIM_400000_NS6detail17trampoline_kernelINS0_14default_configENS1_27lower_bound_config_selectorIjjEEZNS1_14transform_implILb0ES3_S5_N6thrust23THRUST_200600_302600_NS17counting_iteratorIjNS8_11use_defaultESA_SA_EENS8_6detail15normal_iteratorINS8_10device_ptrIjEEEEZNS1_13binary_searchIS3_S5_SG_SB_SG_NS1_21lower_bound_search_opENSC_16wrapped_functionINS0_4lessIvEEbEEEE10hipError_tPvRmT1_T2_T3_mmT4_T5_P12ihipStream_tbEUlRKjE_EESN_SR_SS_mST_SW_bEUlT_E_NS1_11comp_targetILNS1_3genE10ELNS1_11target_archE1200ELNS1_3gpuE4ELNS1_3repE0EEENS1_30default_config_static_selectorELNS0_4arch9wavefront6targetE0EEEvSQ_
                                        ; -- End function
	.set _ZN7rocprim17ROCPRIM_400000_NS6detail17trampoline_kernelINS0_14default_configENS1_27lower_bound_config_selectorIjjEEZNS1_14transform_implILb0ES3_S5_N6thrust23THRUST_200600_302600_NS17counting_iteratorIjNS8_11use_defaultESA_SA_EENS8_6detail15normal_iteratorINS8_10device_ptrIjEEEEZNS1_13binary_searchIS3_S5_SG_SB_SG_NS1_21lower_bound_search_opENSC_16wrapped_functionINS0_4lessIvEEbEEEE10hipError_tPvRmT1_T2_T3_mmT4_T5_P12ihipStream_tbEUlRKjE_EESN_SR_SS_mST_SW_bEUlT_E_NS1_11comp_targetILNS1_3genE10ELNS1_11target_archE1200ELNS1_3gpuE4ELNS1_3repE0EEENS1_30default_config_static_selectorELNS0_4arch9wavefront6targetE0EEEvSQ_.num_vgpr, 0
	.set _ZN7rocprim17ROCPRIM_400000_NS6detail17trampoline_kernelINS0_14default_configENS1_27lower_bound_config_selectorIjjEEZNS1_14transform_implILb0ES3_S5_N6thrust23THRUST_200600_302600_NS17counting_iteratorIjNS8_11use_defaultESA_SA_EENS8_6detail15normal_iteratorINS8_10device_ptrIjEEEEZNS1_13binary_searchIS3_S5_SG_SB_SG_NS1_21lower_bound_search_opENSC_16wrapped_functionINS0_4lessIvEEbEEEE10hipError_tPvRmT1_T2_T3_mmT4_T5_P12ihipStream_tbEUlRKjE_EESN_SR_SS_mST_SW_bEUlT_E_NS1_11comp_targetILNS1_3genE10ELNS1_11target_archE1200ELNS1_3gpuE4ELNS1_3repE0EEENS1_30default_config_static_selectorELNS0_4arch9wavefront6targetE0EEEvSQ_.num_agpr, 0
	.set _ZN7rocprim17ROCPRIM_400000_NS6detail17trampoline_kernelINS0_14default_configENS1_27lower_bound_config_selectorIjjEEZNS1_14transform_implILb0ES3_S5_N6thrust23THRUST_200600_302600_NS17counting_iteratorIjNS8_11use_defaultESA_SA_EENS8_6detail15normal_iteratorINS8_10device_ptrIjEEEEZNS1_13binary_searchIS3_S5_SG_SB_SG_NS1_21lower_bound_search_opENSC_16wrapped_functionINS0_4lessIvEEbEEEE10hipError_tPvRmT1_T2_T3_mmT4_T5_P12ihipStream_tbEUlRKjE_EESN_SR_SS_mST_SW_bEUlT_E_NS1_11comp_targetILNS1_3genE10ELNS1_11target_archE1200ELNS1_3gpuE4ELNS1_3repE0EEENS1_30default_config_static_selectorELNS0_4arch9wavefront6targetE0EEEvSQ_.numbered_sgpr, 0
	.set _ZN7rocprim17ROCPRIM_400000_NS6detail17trampoline_kernelINS0_14default_configENS1_27lower_bound_config_selectorIjjEEZNS1_14transform_implILb0ES3_S5_N6thrust23THRUST_200600_302600_NS17counting_iteratorIjNS8_11use_defaultESA_SA_EENS8_6detail15normal_iteratorINS8_10device_ptrIjEEEEZNS1_13binary_searchIS3_S5_SG_SB_SG_NS1_21lower_bound_search_opENSC_16wrapped_functionINS0_4lessIvEEbEEEE10hipError_tPvRmT1_T2_T3_mmT4_T5_P12ihipStream_tbEUlRKjE_EESN_SR_SS_mST_SW_bEUlT_E_NS1_11comp_targetILNS1_3genE10ELNS1_11target_archE1200ELNS1_3gpuE4ELNS1_3repE0EEENS1_30default_config_static_selectorELNS0_4arch9wavefront6targetE0EEEvSQ_.num_named_barrier, 0
	.set _ZN7rocprim17ROCPRIM_400000_NS6detail17trampoline_kernelINS0_14default_configENS1_27lower_bound_config_selectorIjjEEZNS1_14transform_implILb0ES3_S5_N6thrust23THRUST_200600_302600_NS17counting_iteratorIjNS8_11use_defaultESA_SA_EENS8_6detail15normal_iteratorINS8_10device_ptrIjEEEEZNS1_13binary_searchIS3_S5_SG_SB_SG_NS1_21lower_bound_search_opENSC_16wrapped_functionINS0_4lessIvEEbEEEE10hipError_tPvRmT1_T2_T3_mmT4_T5_P12ihipStream_tbEUlRKjE_EESN_SR_SS_mST_SW_bEUlT_E_NS1_11comp_targetILNS1_3genE10ELNS1_11target_archE1200ELNS1_3gpuE4ELNS1_3repE0EEENS1_30default_config_static_selectorELNS0_4arch9wavefront6targetE0EEEvSQ_.private_seg_size, 0
	.set _ZN7rocprim17ROCPRIM_400000_NS6detail17trampoline_kernelINS0_14default_configENS1_27lower_bound_config_selectorIjjEEZNS1_14transform_implILb0ES3_S5_N6thrust23THRUST_200600_302600_NS17counting_iteratorIjNS8_11use_defaultESA_SA_EENS8_6detail15normal_iteratorINS8_10device_ptrIjEEEEZNS1_13binary_searchIS3_S5_SG_SB_SG_NS1_21lower_bound_search_opENSC_16wrapped_functionINS0_4lessIvEEbEEEE10hipError_tPvRmT1_T2_T3_mmT4_T5_P12ihipStream_tbEUlRKjE_EESN_SR_SS_mST_SW_bEUlT_E_NS1_11comp_targetILNS1_3genE10ELNS1_11target_archE1200ELNS1_3gpuE4ELNS1_3repE0EEENS1_30default_config_static_selectorELNS0_4arch9wavefront6targetE0EEEvSQ_.uses_vcc, 0
	.set _ZN7rocprim17ROCPRIM_400000_NS6detail17trampoline_kernelINS0_14default_configENS1_27lower_bound_config_selectorIjjEEZNS1_14transform_implILb0ES3_S5_N6thrust23THRUST_200600_302600_NS17counting_iteratorIjNS8_11use_defaultESA_SA_EENS8_6detail15normal_iteratorINS8_10device_ptrIjEEEEZNS1_13binary_searchIS3_S5_SG_SB_SG_NS1_21lower_bound_search_opENSC_16wrapped_functionINS0_4lessIvEEbEEEE10hipError_tPvRmT1_T2_T3_mmT4_T5_P12ihipStream_tbEUlRKjE_EESN_SR_SS_mST_SW_bEUlT_E_NS1_11comp_targetILNS1_3genE10ELNS1_11target_archE1200ELNS1_3gpuE4ELNS1_3repE0EEENS1_30default_config_static_selectorELNS0_4arch9wavefront6targetE0EEEvSQ_.uses_flat_scratch, 0
	.set _ZN7rocprim17ROCPRIM_400000_NS6detail17trampoline_kernelINS0_14default_configENS1_27lower_bound_config_selectorIjjEEZNS1_14transform_implILb0ES3_S5_N6thrust23THRUST_200600_302600_NS17counting_iteratorIjNS8_11use_defaultESA_SA_EENS8_6detail15normal_iteratorINS8_10device_ptrIjEEEEZNS1_13binary_searchIS3_S5_SG_SB_SG_NS1_21lower_bound_search_opENSC_16wrapped_functionINS0_4lessIvEEbEEEE10hipError_tPvRmT1_T2_T3_mmT4_T5_P12ihipStream_tbEUlRKjE_EESN_SR_SS_mST_SW_bEUlT_E_NS1_11comp_targetILNS1_3genE10ELNS1_11target_archE1200ELNS1_3gpuE4ELNS1_3repE0EEENS1_30default_config_static_selectorELNS0_4arch9wavefront6targetE0EEEvSQ_.has_dyn_sized_stack, 0
	.set _ZN7rocprim17ROCPRIM_400000_NS6detail17trampoline_kernelINS0_14default_configENS1_27lower_bound_config_selectorIjjEEZNS1_14transform_implILb0ES3_S5_N6thrust23THRUST_200600_302600_NS17counting_iteratorIjNS8_11use_defaultESA_SA_EENS8_6detail15normal_iteratorINS8_10device_ptrIjEEEEZNS1_13binary_searchIS3_S5_SG_SB_SG_NS1_21lower_bound_search_opENSC_16wrapped_functionINS0_4lessIvEEbEEEE10hipError_tPvRmT1_T2_T3_mmT4_T5_P12ihipStream_tbEUlRKjE_EESN_SR_SS_mST_SW_bEUlT_E_NS1_11comp_targetILNS1_3genE10ELNS1_11target_archE1200ELNS1_3gpuE4ELNS1_3repE0EEENS1_30default_config_static_selectorELNS0_4arch9wavefront6targetE0EEEvSQ_.has_recursion, 0
	.set _ZN7rocprim17ROCPRIM_400000_NS6detail17trampoline_kernelINS0_14default_configENS1_27lower_bound_config_selectorIjjEEZNS1_14transform_implILb0ES3_S5_N6thrust23THRUST_200600_302600_NS17counting_iteratorIjNS8_11use_defaultESA_SA_EENS8_6detail15normal_iteratorINS8_10device_ptrIjEEEEZNS1_13binary_searchIS3_S5_SG_SB_SG_NS1_21lower_bound_search_opENSC_16wrapped_functionINS0_4lessIvEEbEEEE10hipError_tPvRmT1_T2_T3_mmT4_T5_P12ihipStream_tbEUlRKjE_EESN_SR_SS_mST_SW_bEUlT_E_NS1_11comp_targetILNS1_3genE10ELNS1_11target_archE1200ELNS1_3gpuE4ELNS1_3repE0EEENS1_30default_config_static_selectorELNS0_4arch9wavefront6targetE0EEEvSQ_.has_indirect_call, 0
	.section	.AMDGPU.csdata,"",@progbits
; Kernel info:
; codeLenInByte = 0
; TotalNumSgprs: 0
; NumVgprs: 0
; ScratchSize: 0
; MemoryBound: 0
; FloatMode: 240
; IeeeMode: 1
; LDSByteSize: 0 bytes/workgroup (compile time only)
; SGPRBlocks: 0
; VGPRBlocks: 0
; NumSGPRsForWavesPerEU: 1
; NumVGPRsForWavesPerEU: 1
; NamedBarCnt: 0
; Occupancy: 16
; WaveLimiterHint : 0
; COMPUTE_PGM_RSRC2:SCRATCH_EN: 0
; COMPUTE_PGM_RSRC2:USER_SGPR: 2
; COMPUTE_PGM_RSRC2:TRAP_HANDLER: 0
; COMPUTE_PGM_RSRC2:TGID_X_EN: 1
; COMPUTE_PGM_RSRC2:TGID_Y_EN: 0
; COMPUTE_PGM_RSRC2:TGID_Z_EN: 0
; COMPUTE_PGM_RSRC2:TIDIG_COMP_CNT: 0
	.section	.text._ZN7rocprim17ROCPRIM_400000_NS6detail17trampoline_kernelINS0_14default_configENS1_27lower_bound_config_selectorIjjEEZNS1_14transform_implILb0ES3_S5_N6thrust23THRUST_200600_302600_NS17counting_iteratorIjNS8_11use_defaultESA_SA_EENS8_6detail15normal_iteratorINS8_10device_ptrIjEEEEZNS1_13binary_searchIS3_S5_SG_SB_SG_NS1_21lower_bound_search_opENSC_16wrapped_functionINS0_4lessIvEEbEEEE10hipError_tPvRmT1_T2_T3_mmT4_T5_P12ihipStream_tbEUlRKjE_EESN_SR_SS_mST_SW_bEUlT_E_NS1_11comp_targetILNS1_3genE9ELNS1_11target_archE1100ELNS1_3gpuE3ELNS1_3repE0EEENS1_30default_config_static_selectorELNS0_4arch9wavefront6targetE0EEEvSQ_,"axG",@progbits,_ZN7rocprim17ROCPRIM_400000_NS6detail17trampoline_kernelINS0_14default_configENS1_27lower_bound_config_selectorIjjEEZNS1_14transform_implILb0ES3_S5_N6thrust23THRUST_200600_302600_NS17counting_iteratorIjNS8_11use_defaultESA_SA_EENS8_6detail15normal_iteratorINS8_10device_ptrIjEEEEZNS1_13binary_searchIS3_S5_SG_SB_SG_NS1_21lower_bound_search_opENSC_16wrapped_functionINS0_4lessIvEEbEEEE10hipError_tPvRmT1_T2_T3_mmT4_T5_P12ihipStream_tbEUlRKjE_EESN_SR_SS_mST_SW_bEUlT_E_NS1_11comp_targetILNS1_3genE9ELNS1_11target_archE1100ELNS1_3gpuE3ELNS1_3repE0EEENS1_30default_config_static_selectorELNS0_4arch9wavefront6targetE0EEEvSQ_,comdat
	.protected	_ZN7rocprim17ROCPRIM_400000_NS6detail17trampoline_kernelINS0_14default_configENS1_27lower_bound_config_selectorIjjEEZNS1_14transform_implILb0ES3_S5_N6thrust23THRUST_200600_302600_NS17counting_iteratorIjNS8_11use_defaultESA_SA_EENS8_6detail15normal_iteratorINS8_10device_ptrIjEEEEZNS1_13binary_searchIS3_S5_SG_SB_SG_NS1_21lower_bound_search_opENSC_16wrapped_functionINS0_4lessIvEEbEEEE10hipError_tPvRmT1_T2_T3_mmT4_T5_P12ihipStream_tbEUlRKjE_EESN_SR_SS_mST_SW_bEUlT_E_NS1_11comp_targetILNS1_3genE9ELNS1_11target_archE1100ELNS1_3gpuE3ELNS1_3repE0EEENS1_30default_config_static_selectorELNS0_4arch9wavefront6targetE0EEEvSQ_ ; -- Begin function _ZN7rocprim17ROCPRIM_400000_NS6detail17trampoline_kernelINS0_14default_configENS1_27lower_bound_config_selectorIjjEEZNS1_14transform_implILb0ES3_S5_N6thrust23THRUST_200600_302600_NS17counting_iteratorIjNS8_11use_defaultESA_SA_EENS8_6detail15normal_iteratorINS8_10device_ptrIjEEEEZNS1_13binary_searchIS3_S5_SG_SB_SG_NS1_21lower_bound_search_opENSC_16wrapped_functionINS0_4lessIvEEbEEEE10hipError_tPvRmT1_T2_T3_mmT4_T5_P12ihipStream_tbEUlRKjE_EESN_SR_SS_mST_SW_bEUlT_E_NS1_11comp_targetILNS1_3genE9ELNS1_11target_archE1100ELNS1_3gpuE3ELNS1_3repE0EEENS1_30default_config_static_selectorELNS0_4arch9wavefront6targetE0EEEvSQ_
	.globl	_ZN7rocprim17ROCPRIM_400000_NS6detail17trampoline_kernelINS0_14default_configENS1_27lower_bound_config_selectorIjjEEZNS1_14transform_implILb0ES3_S5_N6thrust23THRUST_200600_302600_NS17counting_iteratorIjNS8_11use_defaultESA_SA_EENS8_6detail15normal_iteratorINS8_10device_ptrIjEEEEZNS1_13binary_searchIS3_S5_SG_SB_SG_NS1_21lower_bound_search_opENSC_16wrapped_functionINS0_4lessIvEEbEEEE10hipError_tPvRmT1_T2_T3_mmT4_T5_P12ihipStream_tbEUlRKjE_EESN_SR_SS_mST_SW_bEUlT_E_NS1_11comp_targetILNS1_3genE9ELNS1_11target_archE1100ELNS1_3gpuE3ELNS1_3repE0EEENS1_30default_config_static_selectorELNS0_4arch9wavefront6targetE0EEEvSQ_
	.p2align	8
	.type	_ZN7rocprim17ROCPRIM_400000_NS6detail17trampoline_kernelINS0_14default_configENS1_27lower_bound_config_selectorIjjEEZNS1_14transform_implILb0ES3_S5_N6thrust23THRUST_200600_302600_NS17counting_iteratorIjNS8_11use_defaultESA_SA_EENS8_6detail15normal_iteratorINS8_10device_ptrIjEEEEZNS1_13binary_searchIS3_S5_SG_SB_SG_NS1_21lower_bound_search_opENSC_16wrapped_functionINS0_4lessIvEEbEEEE10hipError_tPvRmT1_T2_T3_mmT4_T5_P12ihipStream_tbEUlRKjE_EESN_SR_SS_mST_SW_bEUlT_E_NS1_11comp_targetILNS1_3genE9ELNS1_11target_archE1100ELNS1_3gpuE3ELNS1_3repE0EEENS1_30default_config_static_selectorELNS0_4arch9wavefront6targetE0EEEvSQ_,@function
_ZN7rocprim17ROCPRIM_400000_NS6detail17trampoline_kernelINS0_14default_configENS1_27lower_bound_config_selectorIjjEEZNS1_14transform_implILb0ES3_S5_N6thrust23THRUST_200600_302600_NS17counting_iteratorIjNS8_11use_defaultESA_SA_EENS8_6detail15normal_iteratorINS8_10device_ptrIjEEEEZNS1_13binary_searchIS3_S5_SG_SB_SG_NS1_21lower_bound_search_opENSC_16wrapped_functionINS0_4lessIvEEbEEEE10hipError_tPvRmT1_T2_T3_mmT4_T5_P12ihipStream_tbEUlRKjE_EESN_SR_SS_mST_SW_bEUlT_E_NS1_11comp_targetILNS1_3genE9ELNS1_11target_archE1100ELNS1_3gpuE3ELNS1_3repE0EEENS1_30default_config_static_selectorELNS0_4arch9wavefront6targetE0EEEvSQ_: ; @_ZN7rocprim17ROCPRIM_400000_NS6detail17trampoline_kernelINS0_14default_configENS1_27lower_bound_config_selectorIjjEEZNS1_14transform_implILb0ES3_S5_N6thrust23THRUST_200600_302600_NS17counting_iteratorIjNS8_11use_defaultESA_SA_EENS8_6detail15normal_iteratorINS8_10device_ptrIjEEEEZNS1_13binary_searchIS3_S5_SG_SB_SG_NS1_21lower_bound_search_opENSC_16wrapped_functionINS0_4lessIvEEbEEEE10hipError_tPvRmT1_T2_T3_mmT4_T5_P12ihipStream_tbEUlRKjE_EESN_SR_SS_mST_SW_bEUlT_E_NS1_11comp_targetILNS1_3genE9ELNS1_11target_archE1100ELNS1_3gpuE3ELNS1_3repE0EEENS1_30default_config_static_selectorELNS0_4arch9wavefront6targetE0EEEvSQ_
; %bb.0:
	.section	.rodata,"a",@progbits
	.p2align	6, 0x0
	.amdhsa_kernel _ZN7rocprim17ROCPRIM_400000_NS6detail17trampoline_kernelINS0_14default_configENS1_27lower_bound_config_selectorIjjEEZNS1_14transform_implILb0ES3_S5_N6thrust23THRUST_200600_302600_NS17counting_iteratorIjNS8_11use_defaultESA_SA_EENS8_6detail15normal_iteratorINS8_10device_ptrIjEEEEZNS1_13binary_searchIS3_S5_SG_SB_SG_NS1_21lower_bound_search_opENSC_16wrapped_functionINS0_4lessIvEEbEEEE10hipError_tPvRmT1_T2_T3_mmT4_T5_P12ihipStream_tbEUlRKjE_EESN_SR_SS_mST_SW_bEUlT_E_NS1_11comp_targetILNS1_3genE9ELNS1_11target_archE1100ELNS1_3gpuE3ELNS1_3repE0EEENS1_30default_config_static_selectorELNS0_4arch9wavefront6targetE0EEEvSQ_
		.amdhsa_group_segment_fixed_size 0
		.amdhsa_private_segment_fixed_size 0
		.amdhsa_kernarg_size 56
		.amdhsa_user_sgpr_count 2
		.amdhsa_user_sgpr_dispatch_ptr 0
		.amdhsa_user_sgpr_queue_ptr 0
		.amdhsa_user_sgpr_kernarg_segment_ptr 1
		.amdhsa_user_sgpr_dispatch_id 0
		.amdhsa_user_sgpr_kernarg_preload_length 0
		.amdhsa_user_sgpr_kernarg_preload_offset 0
		.amdhsa_user_sgpr_private_segment_size 0
		.amdhsa_wavefront_size32 1
		.amdhsa_uses_dynamic_stack 0
		.amdhsa_enable_private_segment 0
		.amdhsa_system_sgpr_workgroup_id_x 1
		.amdhsa_system_sgpr_workgroup_id_y 0
		.amdhsa_system_sgpr_workgroup_id_z 0
		.amdhsa_system_sgpr_workgroup_info 0
		.amdhsa_system_vgpr_workitem_id 0
		.amdhsa_next_free_vgpr 1
		.amdhsa_next_free_sgpr 1
		.amdhsa_named_barrier_count 0
		.amdhsa_reserve_vcc 0
		.amdhsa_float_round_mode_32 0
		.amdhsa_float_round_mode_16_64 0
		.amdhsa_float_denorm_mode_32 3
		.amdhsa_float_denorm_mode_16_64 3
		.amdhsa_fp16_overflow 0
		.amdhsa_memory_ordered 1
		.amdhsa_forward_progress 1
		.amdhsa_inst_pref_size 0
		.amdhsa_round_robin_scheduling 0
		.amdhsa_exception_fp_ieee_invalid_op 0
		.amdhsa_exception_fp_denorm_src 0
		.amdhsa_exception_fp_ieee_div_zero 0
		.amdhsa_exception_fp_ieee_overflow 0
		.amdhsa_exception_fp_ieee_underflow 0
		.amdhsa_exception_fp_ieee_inexact 0
		.amdhsa_exception_int_div_zero 0
	.end_amdhsa_kernel
	.section	.text._ZN7rocprim17ROCPRIM_400000_NS6detail17trampoline_kernelINS0_14default_configENS1_27lower_bound_config_selectorIjjEEZNS1_14transform_implILb0ES3_S5_N6thrust23THRUST_200600_302600_NS17counting_iteratorIjNS8_11use_defaultESA_SA_EENS8_6detail15normal_iteratorINS8_10device_ptrIjEEEEZNS1_13binary_searchIS3_S5_SG_SB_SG_NS1_21lower_bound_search_opENSC_16wrapped_functionINS0_4lessIvEEbEEEE10hipError_tPvRmT1_T2_T3_mmT4_T5_P12ihipStream_tbEUlRKjE_EESN_SR_SS_mST_SW_bEUlT_E_NS1_11comp_targetILNS1_3genE9ELNS1_11target_archE1100ELNS1_3gpuE3ELNS1_3repE0EEENS1_30default_config_static_selectorELNS0_4arch9wavefront6targetE0EEEvSQ_,"axG",@progbits,_ZN7rocprim17ROCPRIM_400000_NS6detail17trampoline_kernelINS0_14default_configENS1_27lower_bound_config_selectorIjjEEZNS1_14transform_implILb0ES3_S5_N6thrust23THRUST_200600_302600_NS17counting_iteratorIjNS8_11use_defaultESA_SA_EENS8_6detail15normal_iteratorINS8_10device_ptrIjEEEEZNS1_13binary_searchIS3_S5_SG_SB_SG_NS1_21lower_bound_search_opENSC_16wrapped_functionINS0_4lessIvEEbEEEE10hipError_tPvRmT1_T2_T3_mmT4_T5_P12ihipStream_tbEUlRKjE_EESN_SR_SS_mST_SW_bEUlT_E_NS1_11comp_targetILNS1_3genE9ELNS1_11target_archE1100ELNS1_3gpuE3ELNS1_3repE0EEENS1_30default_config_static_selectorELNS0_4arch9wavefront6targetE0EEEvSQ_,comdat
.Lfunc_end237:
	.size	_ZN7rocprim17ROCPRIM_400000_NS6detail17trampoline_kernelINS0_14default_configENS1_27lower_bound_config_selectorIjjEEZNS1_14transform_implILb0ES3_S5_N6thrust23THRUST_200600_302600_NS17counting_iteratorIjNS8_11use_defaultESA_SA_EENS8_6detail15normal_iteratorINS8_10device_ptrIjEEEEZNS1_13binary_searchIS3_S5_SG_SB_SG_NS1_21lower_bound_search_opENSC_16wrapped_functionINS0_4lessIvEEbEEEE10hipError_tPvRmT1_T2_T3_mmT4_T5_P12ihipStream_tbEUlRKjE_EESN_SR_SS_mST_SW_bEUlT_E_NS1_11comp_targetILNS1_3genE9ELNS1_11target_archE1100ELNS1_3gpuE3ELNS1_3repE0EEENS1_30default_config_static_selectorELNS0_4arch9wavefront6targetE0EEEvSQ_, .Lfunc_end237-_ZN7rocprim17ROCPRIM_400000_NS6detail17trampoline_kernelINS0_14default_configENS1_27lower_bound_config_selectorIjjEEZNS1_14transform_implILb0ES3_S5_N6thrust23THRUST_200600_302600_NS17counting_iteratorIjNS8_11use_defaultESA_SA_EENS8_6detail15normal_iteratorINS8_10device_ptrIjEEEEZNS1_13binary_searchIS3_S5_SG_SB_SG_NS1_21lower_bound_search_opENSC_16wrapped_functionINS0_4lessIvEEbEEEE10hipError_tPvRmT1_T2_T3_mmT4_T5_P12ihipStream_tbEUlRKjE_EESN_SR_SS_mST_SW_bEUlT_E_NS1_11comp_targetILNS1_3genE9ELNS1_11target_archE1100ELNS1_3gpuE3ELNS1_3repE0EEENS1_30default_config_static_selectorELNS0_4arch9wavefront6targetE0EEEvSQ_
                                        ; -- End function
	.set _ZN7rocprim17ROCPRIM_400000_NS6detail17trampoline_kernelINS0_14default_configENS1_27lower_bound_config_selectorIjjEEZNS1_14transform_implILb0ES3_S5_N6thrust23THRUST_200600_302600_NS17counting_iteratorIjNS8_11use_defaultESA_SA_EENS8_6detail15normal_iteratorINS8_10device_ptrIjEEEEZNS1_13binary_searchIS3_S5_SG_SB_SG_NS1_21lower_bound_search_opENSC_16wrapped_functionINS0_4lessIvEEbEEEE10hipError_tPvRmT1_T2_T3_mmT4_T5_P12ihipStream_tbEUlRKjE_EESN_SR_SS_mST_SW_bEUlT_E_NS1_11comp_targetILNS1_3genE9ELNS1_11target_archE1100ELNS1_3gpuE3ELNS1_3repE0EEENS1_30default_config_static_selectorELNS0_4arch9wavefront6targetE0EEEvSQ_.num_vgpr, 0
	.set _ZN7rocprim17ROCPRIM_400000_NS6detail17trampoline_kernelINS0_14default_configENS1_27lower_bound_config_selectorIjjEEZNS1_14transform_implILb0ES3_S5_N6thrust23THRUST_200600_302600_NS17counting_iteratorIjNS8_11use_defaultESA_SA_EENS8_6detail15normal_iteratorINS8_10device_ptrIjEEEEZNS1_13binary_searchIS3_S5_SG_SB_SG_NS1_21lower_bound_search_opENSC_16wrapped_functionINS0_4lessIvEEbEEEE10hipError_tPvRmT1_T2_T3_mmT4_T5_P12ihipStream_tbEUlRKjE_EESN_SR_SS_mST_SW_bEUlT_E_NS1_11comp_targetILNS1_3genE9ELNS1_11target_archE1100ELNS1_3gpuE3ELNS1_3repE0EEENS1_30default_config_static_selectorELNS0_4arch9wavefront6targetE0EEEvSQ_.num_agpr, 0
	.set _ZN7rocprim17ROCPRIM_400000_NS6detail17trampoline_kernelINS0_14default_configENS1_27lower_bound_config_selectorIjjEEZNS1_14transform_implILb0ES3_S5_N6thrust23THRUST_200600_302600_NS17counting_iteratorIjNS8_11use_defaultESA_SA_EENS8_6detail15normal_iteratorINS8_10device_ptrIjEEEEZNS1_13binary_searchIS3_S5_SG_SB_SG_NS1_21lower_bound_search_opENSC_16wrapped_functionINS0_4lessIvEEbEEEE10hipError_tPvRmT1_T2_T3_mmT4_T5_P12ihipStream_tbEUlRKjE_EESN_SR_SS_mST_SW_bEUlT_E_NS1_11comp_targetILNS1_3genE9ELNS1_11target_archE1100ELNS1_3gpuE3ELNS1_3repE0EEENS1_30default_config_static_selectorELNS0_4arch9wavefront6targetE0EEEvSQ_.numbered_sgpr, 0
	.set _ZN7rocprim17ROCPRIM_400000_NS6detail17trampoline_kernelINS0_14default_configENS1_27lower_bound_config_selectorIjjEEZNS1_14transform_implILb0ES3_S5_N6thrust23THRUST_200600_302600_NS17counting_iteratorIjNS8_11use_defaultESA_SA_EENS8_6detail15normal_iteratorINS8_10device_ptrIjEEEEZNS1_13binary_searchIS3_S5_SG_SB_SG_NS1_21lower_bound_search_opENSC_16wrapped_functionINS0_4lessIvEEbEEEE10hipError_tPvRmT1_T2_T3_mmT4_T5_P12ihipStream_tbEUlRKjE_EESN_SR_SS_mST_SW_bEUlT_E_NS1_11comp_targetILNS1_3genE9ELNS1_11target_archE1100ELNS1_3gpuE3ELNS1_3repE0EEENS1_30default_config_static_selectorELNS0_4arch9wavefront6targetE0EEEvSQ_.num_named_barrier, 0
	.set _ZN7rocprim17ROCPRIM_400000_NS6detail17trampoline_kernelINS0_14default_configENS1_27lower_bound_config_selectorIjjEEZNS1_14transform_implILb0ES3_S5_N6thrust23THRUST_200600_302600_NS17counting_iteratorIjNS8_11use_defaultESA_SA_EENS8_6detail15normal_iteratorINS8_10device_ptrIjEEEEZNS1_13binary_searchIS3_S5_SG_SB_SG_NS1_21lower_bound_search_opENSC_16wrapped_functionINS0_4lessIvEEbEEEE10hipError_tPvRmT1_T2_T3_mmT4_T5_P12ihipStream_tbEUlRKjE_EESN_SR_SS_mST_SW_bEUlT_E_NS1_11comp_targetILNS1_3genE9ELNS1_11target_archE1100ELNS1_3gpuE3ELNS1_3repE0EEENS1_30default_config_static_selectorELNS0_4arch9wavefront6targetE0EEEvSQ_.private_seg_size, 0
	.set _ZN7rocprim17ROCPRIM_400000_NS6detail17trampoline_kernelINS0_14default_configENS1_27lower_bound_config_selectorIjjEEZNS1_14transform_implILb0ES3_S5_N6thrust23THRUST_200600_302600_NS17counting_iteratorIjNS8_11use_defaultESA_SA_EENS8_6detail15normal_iteratorINS8_10device_ptrIjEEEEZNS1_13binary_searchIS3_S5_SG_SB_SG_NS1_21lower_bound_search_opENSC_16wrapped_functionINS0_4lessIvEEbEEEE10hipError_tPvRmT1_T2_T3_mmT4_T5_P12ihipStream_tbEUlRKjE_EESN_SR_SS_mST_SW_bEUlT_E_NS1_11comp_targetILNS1_3genE9ELNS1_11target_archE1100ELNS1_3gpuE3ELNS1_3repE0EEENS1_30default_config_static_selectorELNS0_4arch9wavefront6targetE0EEEvSQ_.uses_vcc, 0
	.set _ZN7rocprim17ROCPRIM_400000_NS6detail17trampoline_kernelINS0_14default_configENS1_27lower_bound_config_selectorIjjEEZNS1_14transform_implILb0ES3_S5_N6thrust23THRUST_200600_302600_NS17counting_iteratorIjNS8_11use_defaultESA_SA_EENS8_6detail15normal_iteratorINS8_10device_ptrIjEEEEZNS1_13binary_searchIS3_S5_SG_SB_SG_NS1_21lower_bound_search_opENSC_16wrapped_functionINS0_4lessIvEEbEEEE10hipError_tPvRmT1_T2_T3_mmT4_T5_P12ihipStream_tbEUlRKjE_EESN_SR_SS_mST_SW_bEUlT_E_NS1_11comp_targetILNS1_3genE9ELNS1_11target_archE1100ELNS1_3gpuE3ELNS1_3repE0EEENS1_30default_config_static_selectorELNS0_4arch9wavefront6targetE0EEEvSQ_.uses_flat_scratch, 0
	.set _ZN7rocprim17ROCPRIM_400000_NS6detail17trampoline_kernelINS0_14default_configENS1_27lower_bound_config_selectorIjjEEZNS1_14transform_implILb0ES3_S5_N6thrust23THRUST_200600_302600_NS17counting_iteratorIjNS8_11use_defaultESA_SA_EENS8_6detail15normal_iteratorINS8_10device_ptrIjEEEEZNS1_13binary_searchIS3_S5_SG_SB_SG_NS1_21lower_bound_search_opENSC_16wrapped_functionINS0_4lessIvEEbEEEE10hipError_tPvRmT1_T2_T3_mmT4_T5_P12ihipStream_tbEUlRKjE_EESN_SR_SS_mST_SW_bEUlT_E_NS1_11comp_targetILNS1_3genE9ELNS1_11target_archE1100ELNS1_3gpuE3ELNS1_3repE0EEENS1_30default_config_static_selectorELNS0_4arch9wavefront6targetE0EEEvSQ_.has_dyn_sized_stack, 0
	.set _ZN7rocprim17ROCPRIM_400000_NS6detail17trampoline_kernelINS0_14default_configENS1_27lower_bound_config_selectorIjjEEZNS1_14transform_implILb0ES3_S5_N6thrust23THRUST_200600_302600_NS17counting_iteratorIjNS8_11use_defaultESA_SA_EENS8_6detail15normal_iteratorINS8_10device_ptrIjEEEEZNS1_13binary_searchIS3_S5_SG_SB_SG_NS1_21lower_bound_search_opENSC_16wrapped_functionINS0_4lessIvEEbEEEE10hipError_tPvRmT1_T2_T3_mmT4_T5_P12ihipStream_tbEUlRKjE_EESN_SR_SS_mST_SW_bEUlT_E_NS1_11comp_targetILNS1_3genE9ELNS1_11target_archE1100ELNS1_3gpuE3ELNS1_3repE0EEENS1_30default_config_static_selectorELNS0_4arch9wavefront6targetE0EEEvSQ_.has_recursion, 0
	.set _ZN7rocprim17ROCPRIM_400000_NS6detail17trampoline_kernelINS0_14default_configENS1_27lower_bound_config_selectorIjjEEZNS1_14transform_implILb0ES3_S5_N6thrust23THRUST_200600_302600_NS17counting_iteratorIjNS8_11use_defaultESA_SA_EENS8_6detail15normal_iteratorINS8_10device_ptrIjEEEEZNS1_13binary_searchIS3_S5_SG_SB_SG_NS1_21lower_bound_search_opENSC_16wrapped_functionINS0_4lessIvEEbEEEE10hipError_tPvRmT1_T2_T3_mmT4_T5_P12ihipStream_tbEUlRKjE_EESN_SR_SS_mST_SW_bEUlT_E_NS1_11comp_targetILNS1_3genE9ELNS1_11target_archE1100ELNS1_3gpuE3ELNS1_3repE0EEENS1_30default_config_static_selectorELNS0_4arch9wavefront6targetE0EEEvSQ_.has_indirect_call, 0
	.section	.AMDGPU.csdata,"",@progbits
; Kernel info:
; codeLenInByte = 0
; TotalNumSgprs: 0
; NumVgprs: 0
; ScratchSize: 0
; MemoryBound: 0
; FloatMode: 240
; IeeeMode: 1
; LDSByteSize: 0 bytes/workgroup (compile time only)
; SGPRBlocks: 0
; VGPRBlocks: 0
; NumSGPRsForWavesPerEU: 1
; NumVGPRsForWavesPerEU: 1
; NamedBarCnt: 0
; Occupancy: 16
; WaveLimiterHint : 0
; COMPUTE_PGM_RSRC2:SCRATCH_EN: 0
; COMPUTE_PGM_RSRC2:USER_SGPR: 2
; COMPUTE_PGM_RSRC2:TRAP_HANDLER: 0
; COMPUTE_PGM_RSRC2:TGID_X_EN: 1
; COMPUTE_PGM_RSRC2:TGID_Y_EN: 0
; COMPUTE_PGM_RSRC2:TGID_Z_EN: 0
; COMPUTE_PGM_RSRC2:TIDIG_COMP_CNT: 0
	.section	.text._ZN7rocprim17ROCPRIM_400000_NS6detail17trampoline_kernelINS0_14default_configENS1_27lower_bound_config_selectorIjjEEZNS1_14transform_implILb0ES3_S5_N6thrust23THRUST_200600_302600_NS17counting_iteratorIjNS8_11use_defaultESA_SA_EENS8_6detail15normal_iteratorINS8_10device_ptrIjEEEEZNS1_13binary_searchIS3_S5_SG_SB_SG_NS1_21lower_bound_search_opENSC_16wrapped_functionINS0_4lessIvEEbEEEE10hipError_tPvRmT1_T2_T3_mmT4_T5_P12ihipStream_tbEUlRKjE_EESN_SR_SS_mST_SW_bEUlT_E_NS1_11comp_targetILNS1_3genE8ELNS1_11target_archE1030ELNS1_3gpuE2ELNS1_3repE0EEENS1_30default_config_static_selectorELNS0_4arch9wavefront6targetE0EEEvSQ_,"axG",@progbits,_ZN7rocprim17ROCPRIM_400000_NS6detail17trampoline_kernelINS0_14default_configENS1_27lower_bound_config_selectorIjjEEZNS1_14transform_implILb0ES3_S5_N6thrust23THRUST_200600_302600_NS17counting_iteratorIjNS8_11use_defaultESA_SA_EENS8_6detail15normal_iteratorINS8_10device_ptrIjEEEEZNS1_13binary_searchIS3_S5_SG_SB_SG_NS1_21lower_bound_search_opENSC_16wrapped_functionINS0_4lessIvEEbEEEE10hipError_tPvRmT1_T2_T3_mmT4_T5_P12ihipStream_tbEUlRKjE_EESN_SR_SS_mST_SW_bEUlT_E_NS1_11comp_targetILNS1_3genE8ELNS1_11target_archE1030ELNS1_3gpuE2ELNS1_3repE0EEENS1_30default_config_static_selectorELNS0_4arch9wavefront6targetE0EEEvSQ_,comdat
	.protected	_ZN7rocprim17ROCPRIM_400000_NS6detail17trampoline_kernelINS0_14default_configENS1_27lower_bound_config_selectorIjjEEZNS1_14transform_implILb0ES3_S5_N6thrust23THRUST_200600_302600_NS17counting_iteratorIjNS8_11use_defaultESA_SA_EENS8_6detail15normal_iteratorINS8_10device_ptrIjEEEEZNS1_13binary_searchIS3_S5_SG_SB_SG_NS1_21lower_bound_search_opENSC_16wrapped_functionINS0_4lessIvEEbEEEE10hipError_tPvRmT1_T2_T3_mmT4_T5_P12ihipStream_tbEUlRKjE_EESN_SR_SS_mST_SW_bEUlT_E_NS1_11comp_targetILNS1_3genE8ELNS1_11target_archE1030ELNS1_3gpuE2ELNS1_3repE0EEENS1_30default_config_static_selectorELNS0_4arch9wavefront6targetE0EEEvSQ_ ; -- Begin function _ZN7rocprim17ROCPRIM_400000_NS6detail17trampoline_kernelINS0_14default_configENS1_27lower_bound_config_selectorIjjEEZNS1_14transform_implILb0ES3_S5_N6thrust23THRUST_200600_302600_NS17counting_iteratorIjNS8_11use_defaultESA_SA_EENS8_6detail15normal_iteratorINS8_10device_ptrIjEEEEZNS1_13binary_searchIS3_S5_SG_SB_SG_NS1_21lower_bound_search_opENSC_16wrapped_functionINS0_4lessIvEEbEEEE10hipError_tPvRmT1_T2_T3_mmT4_T5_P12ihipStream_tbEUlRKjE_EESN_SR_SS_mST_SW_bEUlT_E_NS1_11comp_targetILNS1_3genE8ELNS1_11target_archE1030ELNS1_3gpuE2ELNS1_3repE0EEENS1_30default_config_static_selectorELNS0_4arch9wavefront6targetE0EEEvSQ_
	.globl	_ZN7rocprim17ROCPRIM_400000_NS6detail17trampoline_kernelINS0_14default_configENS1_27lower_bound_config_selectorIjjEEZNS1_14transform_implILb0ES3_S5_N6thrust23THRUST_200600_302600_NS17counting_iteratorIjNS8_11use_defaultESA_SA_EENS8_6detail15normal_iteratorINS8_10device_ptrIjEEEEZNS1_13binary_searchIS3_S5_SG_SB_SG_NS1_21lower_bound_search_opENSC_16wrapped_functionINS0_4lessIvEEbEEEE10hipError_tPvRmT1_T2_T3_mmT4_T5_P12ihipStream_tbEUlRKjE_EESN_SR_SS_mST_SW_bEUlT_E_NS1_11comp_targetILNS1_3genE8ELNS1_11target_archE1030ELNS1_3gpuE2ELNS1_3repE0EEENS1_30default_config_static_selectorELNS0_4arch9wavefront6targetE0EEEvSQ_
	.p2align	8
	.type	_ZN7rocprim17ROCPRIM_400000_NS6detail17trampoline_kernelINS0_14default_configENS1_27lower_bound_config_selectorIjjEEZNS1_14transform_implILb0ES3_S5_N6thrust23THRUST_200600_302600_NS17counting_iteratorIjNS8_11use_defaultESA_SA_EENS8_6detail15normal_iteratorINS8_10device_ptrIjEEEEZNS1_13binary_searchIS3_S5_SG_SB_SG_NS1_21lower_bound_search_opENSC_16wrapped_functionINS0_4lessIvEEbEEEE10hipError_tPvRmT1_T2_T3_mmT4_T5_P12ihipStream_tbEUlRKjE_EESN_SR_SS_mST_SW_bEUlT_E_NS1_11comp_targetILNS1_3genE8ELNS1_11target_archE1030ELNS1_3gpuE2ELNS1_3repE0EEENS1_30default_config_static_selectorELNS0_4arch9wavefront6targetE0EEEvSQ_,@function
_ZN7rocprim17ROCPRIM_400000_NS6detail17trampoline_kernelINS0_14default_configENS1_27lower_bound_config_selectorIjjEEZNS1_14transform_implILb0ES3_S5_N6thrust23THRUST_200600_302600_NS17counting_iteratorIjNS8_11use_defaultESA_SA_EENS8_6detail15normal_iteratorINS8_10device_ptrIjEEEEZNS1_13binary_searchIS3_S5_SG_SB_SG_NS1_21lower_bound_search_opENSC_16wrapped_functionINS0_4lessIvEEbEEEE10hipError_tPvRmT1_T2_T3_mmT4_T5_P12ihipStream_tbEUlRKjE_EESN_SR_SS_mST_SW_bEUlT_E_NS1_11comp_targetILNS1_3genE8ELNS1_11target_archE1030ELNS1_3gpuE2ELNS1_3repE0EEENS1_30default_config_static_selectorELNS0_4arch9wavefront6targetE0EEEvSQ_: ; @_ZN7rocprim17ROCPRIM_400000_NS6detail17trampoline_kernelINS0_14default_configENS1_27lower_bound_config_selectorIjjEEZNS1_14transform_implILb0ES3_S5_N6thrust23THRUST_200600_302600_NS17counting_iteratorIjNS8_11use_defaultESA_SA_EENS8_6detail15normal_iteratorINS8_10device_ptrIjEEEEZNS1_13binary_searchIS3_S5_SG_SB_SG_NS1_21lower_bound_search_opENSC_16wrapped_functionINS0_4lessIvEEbEEEE10hipError_tPvRmT1_T2_T3_mmT4_T5_P12ihipStream_tbEUlRKjE_EESN_SR_SS_mST_SW_bEUlT_E_NS1_11comp_targetILNS1_3genE8ELNS1_11target_archE1030ELNS1_3gpuE2ELNS1_3repE0EEENS1_30default_config_static_selectorELNS0_4arch9wavefront6targetE0EEEvSQ_
; %bb.0:
	.section	.rodata,"a",@progbits
	.p2align	6, 0x0
	.amdhsa_kernel _ZN7rocprim17ROCPRIM_400000_NS6detail17trampoline_kernelINS0_14default_configENS1_27lower_bound_config_selectorIjjEEZNS1_14transform_implILb0ES3_S5_N6thrust23THRUST_200600_302600_NS17counting_iteratorIjNS8_11use_defaultESA_SA_EENS8_6detail15normal_iteratorINS8_10device_ptrIjEEEEZNS1_13binary_searchIS3_S5_SG_SB_SG_NS1_21lower_bound_search_opENSC_16wrapped_functionINS0_4lessIvEEbEEEE10hipError_tPvRmT1_T2_T3_mmT4_T5_P12ihipStream_tbEUlRKjE_EESN_SR_SS_mST_SW_bEUlT_E_NS1_11comp_targetILNS1_3genE8ELNS1_11target_archE1030ELNS1_3gpuE2ELNS1_3repE0EEENS1_30default_config_static_selectorELNS0_4arch9wavefront6targetE0EEEvSQ_
		.amdhsa_group_segment_fixed_size 0
		.amdhsa_private_segment_fixed_size 0
		.amdhsa_kernarg_size 56
		.amdhsa_user_sgpr_count 2
		.amdhsa_user_sgpr_dispatch_ptr 0
		.amdhsa_user_sgpr_queue_ptr 0
		.amdhsa_user_sgpr_kernarg_segment_ptr 1
		.amdhsa_user_sgpr_dispatch_id 0
		.amdhsa_user_sgpr_kernarg_preload_length 0
		.amdhsa_user_sgpr_kernarg_preload_offset 0
		.amdhsa_user_sgpr_private_segment_size 0
		.amdhsa_wavefront_size32 1
		.amdhsa_uses_dynamic_stack 0
		.amdhsa_enable_private_segment 0
		.amdhsa_system_sgpr_workgroup_id_x 1
		.amdhsa_system_sgpr_workgroup_id_y 0
		.amdhsa_system_sgpr_workgroup_id_z 0
		.amdhsa_system_sgpr_workgroup_info 0
		.amdhsa_system_vgpr_workitem_id 0
		.amdhsa_next_free_vgpr 1
		.amdhsa_next_free_sgpr 1
		.amdhsa_named_barrier_count 0
		.amdhsa_reserve_vcc 0
		.amdhsa_float_round_mode_32 0
		.amdhsa_float_round_mode_16_64 0
		.amdhsa_float_denorm_mode_32 3
		.amdhsa_float_denorm_mode_16_64 3
		.amdhsa_fp16_overflow 0
		.amdhsa_memory_ordered 1
		.amdhsa_forward_progress 1
		.amdhsa_inst_pref_size 0
		.amdhsa_round_robin_scheduling 0
		.amdhsa_exception_fp_ieee_invalid_op 0
		.amdhsa_exception_fp_denorm_src 0
		.amdhsa_exception_fp_ieee_div_zero 0
		.amdhsa_exception_fp_ieee_overflow 0
		.amdhsa_exception_fp_ieee_underflow 0
		.amdhsa_exception_fp_ieee_inexact 0
		.amdhsa_exception_int_div_zero 0
	.end_amdhsa_kernel
	.section	.text._ZN7rocprim17ROCPRIM_400000_NS6detail17trampoline_kernelINS0_14default_configENS1_27lower_bound_config_selectorIjjEEZNS1_14transform_implILb0ES3_S5_N6thrust23THRUST_200600_302600_NS17counting_iteratorIjNS8_11use_defaultESA_SA_EENS8_6detail15normal_iteratorINS8_10device_ptrIjEEEEZNS1_13binary_searchIS3_S5_SG_SB_SG_NS1_21lower_bound_search_opENSC_16wrapped_functionINS0_4lessIvEEbEEEE10hipError_tPvRmT1_T2_T3_mmT4_T5_P12ihipStream_tbEUlRKjE_EESN_SR_SS_mST_SW_bEUlT_E_NS1_11comp_targetILNS1_3genE8ELNS1_11target_archE1030ELNS1_3gpuE2ELNS1_3repE0EEENS1_30default_config_static_selectorELNS0_4arch9wavefront6targetE0EEEvSQ_,"axG",@progbits,_ZN7rocprim17ROCPRIM_400000_NS6detail17trampoline_kernelINS0_14default_configENS1_27lower_bound_config_selectorIjjEEZNS1_14transform_implILb0ES3_S5_N6thrust23THRUST_200600_302600_NS17counting_iteratorIjNS8_11use_defaultESA_SA_EENS8_6detail15normal_iteratorINS8_10device_ptrIjEEEEZNS1_13binary_searchIS3_S5_SG_SB_SG_NS1_21lower_bound_search_opENSC_16wrapped_functionINS0_4lessIvEEbEEEE10hipError_tPvRmT1_T2_T3_mmT4_T5_P12ihipStream_tbEUlRKjE_EESN_SR_SS_mST_SW_bEUlT_E_NS1_11comp_targetILNS1_3genE8ELNS1_11target_archE1030ELNS1_3gpuE2ELNS1_3repE0EEENS1_30default_config_static_selectorELNS0_4arch9wavefront6targetE0EEEvSQ_,comdat
.Lfunc_end238:
	.size	_ZN7rocprim17ROCPRIM_400000_NS6detail17trampoline_kernelINS0_14default_configENS1_27lower_bound_config_selectorIjjEEZNS1_14transform_implILb0ES3_S5_N6thrust23THRUST_200600_302600_NS17counting_iteratorIjNS8_11use_defaultESA_SA_EENS8_6detail15normal_iteratorINS8_10device_ptrIjEEEEZNS1_13binary_searchIS3_S5_SG_SB_SG_NS1_21lower_bound_search_opENSC_16wrapped_functionINS0_4lessIvEEbEEEE10hipError_tPvRmT1_T2_T3_mmT4_T5_P12ihipStream_tbEUlRKjE_EESN_SR_SS_mST_SW_bEUlT_E_NS1_11comp_targetILNS1_3genE8ELNS1_11target_archE1030ELNS1_3gpuE2ELNS1_3repE0EEENS1_30default_config_static_selectorELNS0_4arch9wavefront6targetE0EEEvSQ_, .Lfunc_end238-_ZN7rocprim17ROCPRIM_400000_NS6detail17trampoline_kernelINS0_14default_configENS1_27lower_bound_config_selectorIjjEEZNS1_14transform_implILb0ES3_S5_N6thrust23THRUST_200600_302600_NS17counting_iteratorIjNS8_11use_defaultESA_SA_EENS8_6detail15normal_iteratorINS8_10device_ptrIjEEEEZNS1_13binary_searchIS3_S5_SG_SB_SG_NS1_21lower_bound_search_opENSC_16wrapped_functionINS0_4lessIvEEbEEEE10hipError_tPvRmT1_T2_T3_mmT4_T5_P12ihipStream_tbEUlRKjE_EESN_SR_SS_mST_SW_bEUlT_E_NS1_11comp_targetILNS1_3genE8ELNS1_11target_archE1030ELNS1_3gpuE2ELNS1_3repE0EEENS1_30default_config_static_selectorELNS0_4arch9wavefront6targetE0EEEvSQ_
                                        ; -- End function
	.set _ZN7rocprim17ROCPRIM_400000_NS6detail17trampoline_kernelINS0_14default_configENS1_27lower_bound_config_selectorIjjEEZNS1_14transform_implILb0ES3_S5_N6thrust23THRUST_200600_302600_NS17counting_iteratorIjNS8_11use_defaultESA_SA_EENS8_6detail15normal_iteratorINS8_10device_ptrIjEEEEZNS1_13binary_searchIS3_S5_SG_SB_SG_NS1_21lower_bound_search_opENSC_16wrapped_functionINS0_4lessIvEEbEEEE10hipError_tPvRmT1_T2_T3_mmT4_T5_P12ihipStream_tbEUlRKjE_EESN_SR_SS_mST_SW_bEUlT_E_NS1_11comp_targetILNS1_3genE8ELNS1_11target_archE1030ELNS1_3gpuE2ELNS1_3repE0EEENS1_30default_config_static_selectorELNS0_4arch9wavefront6targetE0EEEvSQ_.num_vgpr, 0
	.set _ZN7rocprim17ROCPRIM_400000_NS6detail17trampoline_kernelINS0_14default_configENS1_27lower_bound_config_selectorIjjEEZNS1_14transform_implILb0ES3_S5_N6thrust23THRUST_200600_302600_NS17counting_iteratorIjNS8_11use_defaultESA_SA_EENS8_6detail15normal_iteratorINS8_10device_ptrIjEEEEZNS1_13binary_searchIS3_S5_SG_SB_SG_NS1_21lower_bound_search_opENSC_16wrapped_functionINS0_4lessIvEEbEEEE10hipError_tPvRmT1_T2_T3_mmT4_T5_P12ihipStream_tbEUlRKjE_EESN_SR_SS_mST_SW_bEUlT_E_NS1_11comp_targetILNS1_3genE8ELNS1_11target_archE1030ELNS1_3gpuE2ELNS1_3repE0EEENS1_30default_config_static_selectorELNS0_4arch9wavefront6targetE0EEEvSQ_.num_agpr, 0
	.set _ZN7rocprim17ROCPRIM_400000_NS6detail17trampoline_kernelINS0_14default_configENS1_27lower_bound_config_selectorIjjEEZNS1_14transform_implILb0ES3_S5_N6thrust23THRUST_200600_302600_NS17counting_iteratorIjNS8_11use_defaultESA_SA_EENS8_6detail15normal_iteratorINS8_10device_ptrIjEEEEZNS1_13binary_searchIS3_S5_SG_SB_SG_NS1_21lower_bound_search_opENSC_16wrapped_functionINS0_4lessIvEEbEEEE10hipError_tPvRmT1_T2_T3_mmT4_T5_P12ihipStream_tbEUlRKjE_EESN_SR_SS_mST_SW_bEUlT_E_NS1_11comp_targetILNS1_3genE8ELNS1_11target_archE1030ELNS1_3gpuE2ELNS1_3repE0EEENS1_30default_config_static_selectorELNS0_4arch9wavefront6targetE0EEEvSQ_.numbered_sgpr, 0
	.set _ZN7rocprim17ROCPRIM_400000_NS6detail17trampoline_kernelINS0_14default_configENS1_27lower_bound_config_selectorIjjEEZNS1_14transform_implILb0ES3_S5_N6thrust23THRUST_200600_302600_NS17counting_iteratorIjNS8_11use_defaultESA_SA_EENS8_6detail15normal_iteratorINS8_10device_ptrIjEEEEZNS1_13binary_searchIS3_S5_SG_SB_SG_NS1_21lower_bound_search_opENSC_16wrapped_functionINS0_4lessIvEEbEEEE10hipError_tPvRmT1_T2_T3_mmT4_T5_P12ihipStream_tbEUlRKjE_EESN_SR_SS_mST_SW_bEUlT_E_NS1_11comp_targetILNS1_3genE8ELNS1_11target_archE1030ELNS1_3gpuE2ELNS1_3repE0EEENS1_30default_config_static_selectorELNS0_4arch9wavefront6targetE0EEEvSQ_.num_named_barrier, 0
	.set _ZN7rocprim17ROCPRIM_400000_NS6detail17trampoline_kernelINS0_14default_configENS1_27lower_bound_config_selectorIjjEEZNS1_14transform_implILb0ES3_S5_N6thrust23THRUST_200600_302600_NS17counting_iteratorIjNS8_11use_defaultESA_SA_EENS8_6detail15normal_iteratorINS8_10device_ptrIjEEEEZNS1_13binary_searchIS3_S5_SG_SB_SG_NS1_21lower_bound_search_opENSC_16wrapped_functionINS0_4lessIvEEbEEEE10hipError_tPvRmT1_T2_T3_mmT4_T5_P12ihipStream_tbEUlRKjE_EESN_SR_SS_mST_SW_bEUlT_E_NS1_11comp_targetILNS1_3genE8ELNS1_11target_archE1030ELNS1_3gpuE2ELNS1_3repE0EEENS1_30default_config_static_selectorELNS0_4arch9wavefront6targetE0EEEvSQ_.private_seg_size, 0
	.set _ZN7rocprim17ROCPRIM_400000_NS6detail17trampoline_kernelINS0_14default_configENS1_27lower_bound_config_selectorIjjEEZNS1_14transform_implILb0ES3_S5_N6thrust23THRUST_200600_302600_NS17counting_iteratorIjNS8_11use_defaultESA_SA_EENS8_6detail15normal_iteratorINS8_10device_ptrIjEEEEZNS1_13binary_searchIS3_S5_SG_SB_SG_NS1_21lower_bound_search_opENSC_16wrapped_functionINS0_4lessIvEEbEEEE10hipError_tPvRmT1_T2_T3_mmT4_T5_P12ihipStream_tbEUlRKjE_EESN_SR_SS_mST_SW_bEUlT_E_NS1_11comp_targetILNS1_3genE8ELNS1_11target_archE1030ELNS1_3gpuE2ELNS1_3repE0EEENS1_30default_config_static_selectorELNS0_4arch9wavefront6targetE0EEEvSQ_.uses_vcc, 0
	.set _ZN7rocprim17ROCPRIM_400000_NS6detail17trampoline_kernelINS0_14default_configENS1_27lower_bound_config_selectorIjjEEZNS1_14transform_implILb0ES3_S5_N6thrust23THRUST_200600_302600_NS17counting_iteratorIjNS8_11use_defaultESA_SA_EENS8_6detail15normal_iteratorINS8_10device_ptrIjEEEEZNS1_13binary_searchIS3_S5_SG_SB_SG_NS1_21lower_bound_search_opENSC_16wrapped_functionINS0_4lessIvEEbEEEE10hipError_tPvRmT1_T2_T3_mmT4_T5_P12ihipStream_tbEUlRKjE_EESN_SR_SS_mST_SW_bEUlT_E_NS1_11comp_targetILNS1_3genE8ELNS1_11target_archE1030ELNS1_3gpuE2ELNS1_3repE0EEENS1_30default_config_static_selectorELNS0_4arch9wavefront6targetE0EEEvSQ_.uses_flat_scratch, 0
	.set _ZN7rocprim17ROCPRIM_400000_NS6detail17trampoline_kernelINS0_14default_configENS1_27lower_bound_config_selectorIjjEEZNS1_14transform_implILb0ES3_S5_N6thrust23THRUST_200600_302600_NS17counting_iteratorIjNS8_11use_defaultESA_SA_EENS8_6detail15normal_iteratorINS8_10device_ptrIjEEEEZNS1_13binary_searchIS3_S5_SG_SB_SG_NS1_21lower_bound_search_opENSC_16wrapped_functionINS0_4lessIvEEbEEEE10hipError_tPvRmT1_T2_T3_mmT4_T5_P12ihipStream_tbEUlRKjE_EESN_SR_SS_mST_SW_bEUlT_E_NS1_11comp_targetILNS1_3genE8ELNS1_11target_archE1030ELNS1_3gpuE2ELNS1_3repE0EEENS1_30default_config_static_selectorELNS0_4arch9wavefront6targetE0EEEvSQ_.has_dyn_sized_stack, 0
	.set _ZN7rocprim17ROCPRIM_400000_NS6detail17trampoline_kernelINS0_14default_configENS1_27lower_bound_config_selectorIjjEEZNS1_14transform_implILb0ES3_S5_N6thrust23THRUST_200600_302600_NS17counting_iteratorIjNS8_11use_defaultESA_SA_EENS8_6detail15normal_iteratorINS8_10device_ptrIjEEEEZNS1_13binary_searchIS3_S5_SG_SB_SG_NS1_21lower_bound_search_opENSC_16wrapped_functionINS0_4lessIvEEbEEEE10hipError_tPvRmT1_T2_T3_mmT4_T5_P12ihipStream_tbEUlRKjE_EESN_SR_SS_mST_SW_bEUlT_E_NS1_11comp_targetILNS1_3genE8ELNS1_11target_archE1030ELNS1_3gpuE2ELNS1_3repE0EEENS1_30default_config_static_selectorELNS0_4arch9wavefront6targetE0EEEvSQ_.has_recursion, 0
	.set _ZN7rocprim17ROCPRIM_400000_NS6detail17trampoline_kernelINS0_14default_configENS1_27lower_bound_config_selectorIjjEEZNS1_14transform_implILb0ES3_S5_N6thrust23THRUST_200600_302600_NS17counting_iteratorIjNS8_11use_defaultESA_SA_EENS8_6detail15normal_iteratorINS8_10device_ptrIjEEEEZNS1_13binary_searchIS3_S5_SG_SB_SG_NS1_21lower_bound_search_opENSC_16wrapped_functionINS0_4lessIvEEbEEEE10hipError_tPvRmT1_T2_T3_mmT4_T5_P12ihipStream_tbEUlRKjE_EESN_SR_SS_mST_SW_bEUlT_E_NS1_11comp_targetILNS1_3genE8ELNS1_11target_archE1030ELNS1_3gpuE2ELNS1_3repE0EEENS1_30default_config_static_selectorELNS0_4arch9wavefront6targetE0EEEvSQ_.has_indirect_call, 0
	.section	.AMDGPU.csdata,"",@progbits
; Kernel info:
; codeLenInByte = 0
; TotalNumSgprs: 0
; NumVgprs: 0
; ScratchSize: 0
; MemoryBound: 0
; FloatMode: 240
; IeeeMode: 1
; LDSByteSize: 0 bytes/workgroup (compile time only)
; SGPRBlocks: 0
; VGPRBlocks: 0
; NumSGPRsForWavesPerEU: 1
; NumVGPRsForWavesPerEU: 1
; NamedBarCnt: 0
; Occupancy: 16
; WaveLimiterHint : 0
; COMPUTE_PGM_RSRC2:SCRATCH_EN: 0
; COMPUTE_PGM_RSRC2:USER_SGPR: 2
; COMPUTE_PGM_RSRC2:TRAP_HANDLER: 0
; COMPUTE_PGM_RSRC2:TGID_X_EN: 1
; COMPUTE_PGM_RSRC2:TGID_Y_EN: 0
; COMPUTE_PGM_RSRC2:TGID_Z_EN: 0
; COMPUTE_PGM_RSRC2:TIDIG_COMP_CNT: 0
	.section	.text._ZN7rocprim17ROCPRIM_400000_NS6detail17trampoline_kernelINS0_14default_configENS1_27upper_bound_config_selectorIjjEEZNS1_14transform_implILb0ES3_S5_N6thrust23THRUST_200600_302600_NS17counting_iteratorIjNS8_11use_defaultESA_SA_EENS8_6detail15normal_iteratorINS8_10device_ptrIjEEEEZNS1_13binary_searchIS3_S5_SG_SB_SG_NS1_21upper_bound_search_opENSC_16wrapped_functionINS0_4lessIvEEbEEEE10hipError_tPvRmT1_T2_T3_mmT4_T5_P12ihipStream_tbEUlRKjE_EESN_SR_SS_mST_SW_bEUlT_E_NS1_11comp_targetILNS1_3genE0ELNS1_11target_archE4294967295ELNS1_3gpuE0ELNS1_3repE0EEENS1_30default_config_static_selectorELNS0_4arch9wavefront6targetE0EEEvSQ_,"axG",@progbits,_ZN7rocprim17ROCPRIM_400000_NS6detail17trampoline_kernelINS0_14default_configENS1_27upper_bound_config_selectorIjjEEZNS1_14transform_implILb0ES3_S5_N6thrust23THRUST_200600_302600_NS17counting_iteratorIjNS8_11use_defaultESA_SA_EENS8_6detail15normal_iteratorINS8_10device_ptrIjEEEEZNS1_13binary_searchIS3_S5_SG_SB_SG_NS1_21upper_bound_search_opENSC_16wrapped_functionINS0_4lessIvEEbEEEE10hipError_tPvRmT1_T2_T3_mmT4_T5_P12ihipStream_tbEUlRKjE_EESN_SR_SS_mST_SW_bEUlT_E_NS1_11comp_targetILNS1_3genE0ELNS1_11target_archE4294967295ELNS1_3gpuE0ELNS1_3repE0EEENS1_30default_config_static_selectorELNS0_4arch9wavefront6targetE0EEEvSQ_,comdat
	.protected	_ZN7rocprim17ROCPRIM_400000_NS6detail17trampoline_kernelINS0_14default_configENS1_27upper_bound_config_selectorIjjEEZNS1_14transform_implILb0ES3_S5_N6thrust23THRUST_200600_302600_NS17counting_iteratorIjNS8_11use_defaultESA_SA_EENS8_6detail15normal_iteratorINS8_10device_ptrIjEEEEZNS1_13binary_searchIS3_S5_SG_SB_SG_NS1_21upper_bound_search_opENSC_16wrapped_functionINS0_4lessIvEEbEEEE10hipError_tPvRmT1_T2_T3_mmT4_T5_P12ihipStream_tbEUlRKjE_EESN_SR_SS_mST_SW_bEUlT_E_NS1_11comp_targetILNS1_3genE0ELNS1_11target_archE4294967295ELNS1_3gpuE0ELNS1_3repE0EEENS1_30default_config_static_selectorELNS0_4arch9wavefront6targetE0EEEvSQ_ ; -- Begin function _ZN7rocprim17ROCPRIM_400000_NS6detail17trampoline_kernelINS0_14default_configENS1_27upper_bound_config_selectorIjjEEZNS1_14transform_implILb0ES3_S5_N6thrust23THRUST_200600_302600_NS17counting_iteratorIjNS8_11use_defaultESA_SA_EENS8_6detail15normal_iteratorINS8_10device_ptrIjEEEEZNS1_13binary_searchIS3_S5_SG_SB_SG_NS1_21upper_bound_search_opENSC_16wrapped_functionINS0_4lessIvEEbEEEE10hipError_tPvRmT1_T2_T3_mmT4_T5_P12ihipStream_tbEUlRKjE_EESN_SR_SS_mST_SW_bEUlT_E_NS1_11comp_targetILNS1_3genE0ELNS1_11target_archE4294967295ELNS1_3gpuE0ELNS1_3repE0EEENS1_30default_config_static_selectorELNS0_4arch9wavefront6targetE0EEEvSQ_
	.globl	_ZN7rocprim17ROCPRIM_400000_NS6detail17trampoline_kernelINS0_14default_configENS1_27upper_bound_config_selectorIjjEEZNS1_14transform_implILb0ES3_S5_N6thrust23THRUST_200600_302600_NS17counting_iteratorIjNS8_11use_defaultESA_SA_EENS8_6detail15normal_iteratorINS8_10device_ptrIjEEEEZNS1_13binary_searchIS3_S5_SG_SB_SG_NS1_21upper_bound_search_opENSC_16wrapped_functionINS0_4lessIvEEbEEEE10hipError_tPvRmT1_T2_T3_mmT4_T5_P12ihipStream_tbEUlRKjE_EESN_SR_SS_mST_SW_bEUlT_E_NS1_11comp_targetILNS1_3genE0ELNS1_11target_archE4294967295ELNS1_3gpuE0ELNS1_3repE0EEENS1_30default_config_static_selectorELNS0_4arch9wavefront6targetE0EEEvSQ_
	.p2align	8
	.type	_ZN7rocprim17ROCPRIM_400000_NS6detail17trampoline_kernelINS0_14default_configENS1_27upper_bound_config_selectorIjjEEZNS1_14transform_implILb0ES3_S5_N6thrust23THRUST_200600_302600_NS17counting_iteratorIjNS8_11use_defaultESA_SA_EENS8_6detail15normal_iteratorINS8_10device_ptrIjEEEEZNS1_13binary_searchIS3_S5_SG_SB_SG_NS1_21upper_bound_search_opENSC_16wrapped_functionINS0_4lessIvEEbEEEE10hipError_tPvRmT1_T2_T3_mmT4_T5_P12ihipStream_tbEUlRKjE_EESN_SR_SS_mST_SW_bEUlT_E_NS1_11comp_targetILNS1_3genE0ELNS1_11target_archE4294967295ELNS1_3gpuE0ELNS1_3repE0EEENS1_30default_config_static_selectorELNS0_4arch9wavefront6targetE0EEEvSQ_,@function
_ZN7rocprim17ROCPRIM_400000_NS6detail17trampoline_kernelINS0_14default_configENS1_27upper_bound_config_selectorIjjEEZNS1_14transform_implILb0ES3_S5_N6thrust23THRUST_200600_302600_NS17counting_iteratorIjNS8_11use_defaultESA_SA_EENS8_6detail15normal_iteratorINS8_10device_ptrIjEEEEZNS1_13binary_searchIS3_S5_SG_SB_SG_NS1_21upper_bound_search_opENSC_16wrapped_functionINS0_4lessIvEEbEEEE10hipError_tPvRmT1_T2_T3_mmT4_T5_P12ihipStream_tbEUlRKjE_EESN_SR_SS_mST_SW_bEUlT_E_NS1_11comp_targetILNS1_3genE0ELNS1_11target_archE4294967295ELNS1_3gpuE0ELNS1_3repE0EEENS1_30default_config_static_selectorELNS0_4arch9wavefront6targetE0EEEvSQ_: ; @_ZN7rocprim17ROCPRIM_400000_NS6detail17trampoline_kernelINS0_14default_configENS1_27upper_bound_config_selectorIjjEEZNS1_14transform_implILb0ES3_S5_N6thrust23THRUST_200600_302600_NS17counting_iteratorIjNS8_11use_defaultESA_SA_EENS8_6detail15normal_iteratorINS8_10device_ptrIjEEEEZNS1_13binary_searchIS3_S5_SG_SB_SG_NS1_21upper_bound_search_opENSC_16wrapped_functionINS0_4lessIvEEbEEEE10hipError_tPvRmT1_T2_T3_mmT4_T5_P12ihipStream_tbEUlRKjE_EESN_SR_SS_mST_SW_bEUlT_E_NS1_11comp_targetILNS1_3genE0ELNS1_11target_archE4294967295ELNS1_3gpuE0ELNS1_3repE0EEENS1_30default_config_static_selectorELNS0_4arch9wavefront6targetE0EEEvSQ_
; %bb.0:
	s_clause 0x4
	s_load_b32 s12, s[0:1], 0x0
	s_load_b64 s[2:3], s[0:1], 0x8
	s_load_b32 s8, s[0:1], 0x38
	s_load_b128 s[4:7], s[0:1], 0x18
	s_load_b64 s[10:11], s[0:1], 0x28
	s_bfe_u32 s9, ttmp6, 0x4000c
	s_and_b32 s13, ttmp6, 15
	s_add_co_i32 s9, s9, 1
	s_getreg_b32 s14, hwreg(HW_REG_IB_STS2, 6, 4)
	s_mul_i32 s9, ttmp9, s9
                                        ; implicit-def: $vgpr2
	s_delay_alu instid0(SALU_CYCLE_1)
	s_add_co_i32 s13, s13, s9
	s_mov_b32 s9, 0
	s_wait_kmcnt 0x0
	s_add_co_i32 s12, s12, s2
	s_cmp_eq_u32 s14, 0
	s_mov_b32 s14, -1
	s_cselect_b32 s13, ttmp9, s13
	s_add_co_i32 s15, s8, -1
	s_lshl_b32 s8, s13, 8
	s_cmp_lg_u32 s13, s15
	s_mov_b32 s13, s9
	s_cbranch_scc1 .LBB239_4
; %bb.1:
	s_and_not1_b32 vcc_lo, exec_lo, s14
	s_cbranch_vccz .LBB239_10
.LBB239_2:
	s_and_saveexec_b32 s0, s13
	s_cbranch_execnz .LBB239_18
.LBB239_3:
	s_endpgm
.LBB239_4:
	s_cmp_eq_u64 s[10:11], 0
	s_cbranch_scc1 .LBB239_8
; %bb.5:
	v_mov_b64_e32 v[2:3], 0
	v_mov_b64_e32 v[4:5], s[10:11]
	v_add3_u32 v1, s12, s8, v0
	s_mov_b32 s13, 0
.LBB239_6:                              ; =>This Inner Loop Header: Depth=1
	s_delay_alu instid0(VALU_DEP_2) | instskip(NEXT) | instid1(VALU_DEP_1)
	v_sub_nc_u64_e32 v[6:7], v[4:5], v[2:3]
	v_lshrrev_b64 v[8:9], 1, v[6:7]
	v_lshrrev_b64 v[6:7], 6, v[6:7]
	s_delay_alu instid0(VALU_DEP_2) | instskip(NEXT) | instid1(VALU_DEP_1)
	v_add_nc_u64_e32 v[8:9], v[8:9], v[2:3]
	v_add_nc_u64_e32 v[6:7], v[8:9], v[6:7]
	s_delay_alu instid0(VALU_DEP_1)
	v_lshl_add_u64 v[8:9], v[6:7], 2, s[6:7]
	global_load_b32 v10, v[8:9], off
	s_wait_xcnt 0x0
	v_add_nc_u64_e32 v[8:9], 1, v[6:7]
	s_wait_loadcnt 0x0
	v_cmp_lt_u32_e32 vcc_lo, v1, v10
	v_dual_cndmask_b32 v5, v5, v7 :: v_dual_cndmask_b32 v4, v4, v6
	s_delay_alu instid0(VALU_DEP_3) | instskip(NEXT) | instid1(VALU_DEP_1)
	v_dual_cndmask_b32 v3, v9, v3 :: v_dual_cndmask_b32 v2, v8, v2
	v_cmp_ge_u64_e32 vcc_lo, v[2:3], v[4:5]
	s_or_b32 s13, vcc_lo, s13
	s_delay_alu instid0(SALU_CYCLE_1)
	s_and_not1_b32 exec_lo, exec_lo, s13
	s_cbranch_execnz .LBB239_6
; %bb.7:
	s_or_b32 exec_lo, exec_lo, s13
	s_branch .LBB239_9
.LBB239_8:
	v_mov_b32_e32 v2, 0
.LBB239_9:
	s_mov_b32 s13, -1
	s_cbranch_execnz .LBB239_2
.LBB239_10:
	s_load_b32 s0, s[0:1], 0x10
                                        ; implicit-def: $vgpr2
	s_wait_kmcnt 0x0
	s_sub_co_i32 s0, s0, s8
	s_delay_alu instid0(SALU_CYCLE_1)
	v_cmp_gt_u32_e32 vcc_lo, s0, v0
	s_and_saveexec_b32 s0, vcc_lo
	s_cbranch_execz .LBB239_17
; %bb.11:
	s_cmp_eq_u64 s[10:11], 0
	s_cbranch_scc1 .LBB239_15
; %bb.12:
	v_mov_b64_e32 v[2:3], 0
	v_mov_b64_e32 v[4:5], s[10:11]
	v_add3_u32 v1, s12, s8, v0
	s_mov_b32 s1, 0
.LBB239_13:                             ; =>This Inner Loop Header: Depth=1
	s_delay_alu instid0(VALU_DEP_2) | instskip(NEXT) | instid1(VALU_DEP_1)
	v_sub_nc_u64_e32 v[6:7], v[4:5], v[2:3]
	v_lshrrev_b64 v[8:9], 1, v[6:7]
	v_lshrrev_b64 v[6:7], 6, v[6:7]
	s_delay_alu instid0(VALU_DEP_2) | instskip(NEXT) | instid1(VALU_DEP_1)
	v_add_nc_u64_e32 v[8:9], v[8:9], v[2:3]
	v_add_nc_u64_e32 v[6:7], v[8:9], v[6:7]
	s_delay_alu instid0(VALU_DEP_1)
	v_lshl_add_u64 v[8:9], v[6:7], 2, s[6:7]
	global_load_b32 v10, v[8:9], off
	s_wait_xcnt 0x0
	v_add_nc_u64_e32 v[8:9], 1, v[6:7]
	s_wait_loadcnt 0x0
	v_cmp_lt_u32_e32 vcc_lo, v1, v10
	v_dual_cndmask_b32 v5, v5, v7 :: v_dual_cndmask_b32 v4, v4, v6
	s_delay_alu instid0(VALU_DEP_3) | instskip(NEXT) | instid1(VALU_DEP_1)
	v_dual_cndmask_b32 v3, v9, v3 :: v_dual_cndmask_b32 v2, v8, v2
	v_cmp_ge_u64_e32 vcc_lo, v[2:3], v[4:5]
	s_or_b32 s1, vcc_lo, s1
	s_delay_alu instid0(SALU_CYCLE_1)
	s_and_not1_b32 exec_lo, exec_lo, s1
	s_cbranch_execnz .LBB239_13
; %bb.14:
	s_or_b32 exec_lo, exec_lo, s1
	s_branch .LBB239_16
.LBB239_15:
	v_mov_b32_e32 v2, 0
.LBB239_16:
	s_or_b32 s13, s13, exec_lo
.LBB239_17:
	s_or_b32 exec_lo, exec_lo, s0
	s_and_saveexec_b32 s0, s13
	s_cbranch_execz .LBB239_3
.LBB239_18:
	s_lshl_b64 s[0:1], s[2:3], 2
	s_lshl_b64 s[2:3], s[8:9], 2
	s_add_nc_u64 s[0:1], s[4:5], s[0:1]
	s_delay_alu instid0(SALU_CYCLE_1)
	s_add_nc_u64 s[0:1], s[0:1], s[2:3]
	flat_store_b32 v0, v2, s[0:1] scale_offset
	s_endpgm
	.section	.rodata,"a",@progbits
	.p2align	6, 0x0
	.amdhsa_kernel _ZN7rocprim17ROCPRIM_400000_NS6detail17trampoline_kernelINS0_14default_configENS1_27upper_bound_config_selectorIjjEEZNS1_14transform_implILb0ES3_S5_N6thrust23THRUST_200600_302600_NS17counting_iteratorIjNS8_11use_defaultESA_SA_EENS8_6detail15normal_iteratorINS8_10device_ptrIjEEEEZNS1_13binary_searchIS3_S5_SG_SB_SG_NS1_21upper_bound_search_opENSC_16wrapped_functionINS0_4lessIvEEbEEEE10hipError_tPvRmT1_T2_T3_mmT4_T5_P12ihipStream_tbEUlRKjE_EESN_SR_SS_mST_SW_bEUlT_E_NS1_11comp_targetILNS1_3genE0ELNS1_11target_archE4294967295ELNS1_3gpuE0ELNS1_3repE0EEENS1_30default_config_static_selectorELNS0_4arch9wavefront6targetE0EEEvSQ_
		.amdhsa_group_segment_fixed_size 0
		.amdhsa_private_segment_fixed_size 0
		.amdhsa_kernarg_size 312
		.amdhsa_user_sgpr_count 2
		.amdhsa_user_sgpr_dispatch_ptr 0
		.amdhsa_user_sgpr_queue_ptr 0
		.amdhsa_user_sgpr_kernarg_segment_ptr 1
		.amdhsa_user_sgpr_dispatch_id 0
		.amdhsa_user_sgpr_kernarg_preload_length 0
		.amdhsa_user_sgpr_kernarg_preload_offset 0
		.amdhsa_user_sgpr_private_segment_size 0
		.amdhsa_wavefront_size32 1
		.amdhsa_uses_dynamic_stack 0
		.amdhsa_enable_private_segment 0
		.amdhsa_system_sgpr_workgroup_id_x 1
		.amdhsa_system_sgpr_workgroup_id_y 0
		.amdhsa_system_sgpr_workgroup_id_z 0
		.amdhsa_system_sgpr_workgroup_info 0
		.amdhsa_system_vgpr_workitem_id 0
		.amdhsa_next_free_vgpr 11
		.amdhsa_next_free_sgpr 16
		.amdhsa_named_barrier_count 0
		.amdhsa_reserve_vcc 1
		.amdhsa_float_round_mode_32 0
		.amdhsa_float_round_mode_16_64 0
		.amdhsa_float_denorm_mode_32 3
		.amdhsa_float_denorm_mode_16_64 3
		.amdhsa_fp16_overflow 0
		.amdhsa_memory_ordered 1
		.amdhsa_forward_progress 1
		.amdhsa_inst_pref_size 5
		.amdhsa_round_robin_scheduling 0
		.amdhsa_exception_fp_ieee_invalid_op 0
		.amdhsa_exception_fp_denorm_src 0
		.amdhsa_exception_fp_ieee_div_zero 0
		.amdhsa_exception_fp_ieee_overflow 0
		.amdhsa_exception_fp_ieee_underflow 0
		.amdhsa_exception_fp_ieee_inexact 0
		.amdhsa_exception_int_div_zero 0
	.end_amdhsa_kernel
	.section	.text._ZN7rocprim17ROCPRIM_400000_NS6detail17trampoline_kernelINS0_14default_configENS1_27upper_bound_config_selectorIjjEEZNS1_14transform_implILb0ES3_S5_N6thrust23THRUST_200600_302600_NS17counting_iteratorIjNS8_11use_defaultESA_SA_EENS8_6detail15normal_iteratorINS8_10device_ptrIjEEEEZNS1_13binary_searchIS3_S5_SG_SB_SG_NS1_21upper_bound_search_opENSC_16wrapped_functionINS0_4lessIvEEbEEEE10hipError_tPvRmT1_T2_T3_mmT4_T5_P12ihipStream_tbEUlRKjE_EESN_SR_SS_mST_SW_bEUlT_E_NS1_11comp_targetILNS1_3genE0ELNS1_11target_archE4294967295ELNS1_3gpuE0ELNS1_3repE0EEENS1_30default_config_static_selectorELNS0_4arch9wavefront6targetE0EEEvSQ_,"axG",@progbits,_ZN7rocprim17ROCPRIM_400000_NS6detail17trampoline_kernelINS0_14default_configENS1_27upper_bound_config_selectorIjjEEZNS1_14transform_implILb0ES3_S5_N6thrust23THRUST_200600_302600_NS17counting_iteratorIjNS8_11use_defaultESA_SA_EENS8_6detail15normal_iteratorINS8_10device_ptrIjEEEEZNS1_13binary_searchIS3_S5_SG_SB_SG_NS1_21upper_bound_search_opENSC_16wrapped_functionINS0_4lessIvEEbEEEE10hipError_tPvRmT1_T2_T3_mmT4_T5_P12ihipStream_tbEUlRKjE_EESN_SR_SS_mST_SW_bEUlT_E_NS1_11comp_targetILNS1_3genE0ELNS1_11target_archE4294967295ELNS1_3gpuE0ELNS1_3repE0EEENS1_30default_config_static_selectorELNS0_4arch9wavefront6targetE0EEEvSQ_,comdat
.Lfunc_end239:
	.size	_ZN7rocprim17ROCPRIM_400000_NS6detail17trampoline_kernelINS0_14default_configENS1_27upper_bound_config_selectorIjjEEZNS1_14transform_implILb0ES3_S5_N6thrust23THRUST_200600_302600_NS17counting_iteratorIjNS8_11use_defaultESA_SA_EENS8_6detail15normal_iteratorINS8_10device_ptrIjEEEEZNS1_13binary_searchIS3_S5_SG_SB_SG_NS1_21upper_bound_search_opENSC_16wrapped_functionINS0_4lessIvEEbEEEE10hipError_tPvRmT1_T2_T3_mmT4_T5_P12ihipStream_tbEUlRKjE_EESN_SR_SS_mST_SW_bEUlT_E_NS1_11comp_targetILNS1_3genE0ELNS1_11target_archE4294967295ELNS1_3gpuE0ELNS1_3repE0EEENS1_30default_config_static_selectorELNS0_4arch9wavefront6targetE0EEEvSQ_, .Lfunc_end239-_ZN7rocprim17ROCPRIM_400000_NS6detail17trampoline_kernelINS0_14default_configENS1_27upper_bound_config_selectorIjjEEZNS1_14transform_implILb0ES3_S5_N6thrust23THRUST_200600_302600_NS17counting_iteratorIjNS8_11use_defaultESA_SA_EENS8_6detail15normal_iteratorINS8_10device_ptrIjEEEEZNS1_13binary_searchIS3_S5_SG_SB_SG_NS1_21upper_bound_search_opENSC_16wrapped_functionINS0_4lessIvEEbEEEE10hipError_tPvRmT1_T2_T3_mmT4_T5_P12ihipStream_tbEUlRKjE_EESN_SR_SS_mST_SW_bEUlT_E_NS1_11comp_targetILNS1_3genE0ELNS1_11target_archE4294967295ELNS1_3gpuE0ELNS1_3repE0EEENS1_30default_config_static_selectorELNS0_4arch9wavefront6targetE0EEEvSQ_
                                        ; -- End function
	.set _ZN7rocprim17ROCPRIM_400000_NS6detail17trampoline_kernelINS0_14default_configENS1_27upper_bound_config_selectorIjjEEZNS1_14transform_implILb0ES3_S5_N6thrust23THRUST_200600_302600_NS17counting_iteratorIjNS8_11use_defaultESA_SA_EENS8_6detail15normal_iteratorINS8_10device_ptrIjEEEEZNS1_13binary_searchIS3_S5_SG_SB_SG_NS1_21upper_bound_search_opENSC_16wrapped_functionINS0_4lessIvEEbEEEE10hipError_tPvRmT1_T2_T3_mmT4_T5_P12ihipStream_tbEUlRKjE_EESN_SR_SS_mST_SW_bEUlT_E_NS1_11comp_targetILNS1_3genE0ELNS1_11target_archE4294967295ELNS1_3gpuE0ELNS1_3repE0EEENS1_30default_config_static_selectorELNS0_4arch9wavefront6targetE0EEEvSQ_.num_vgpr, 11
	.set _ZN7rocprim17ROCPRIM_400000_NS6detail17trampoline_kernelINS0_14default_configENS1_27upper_bound_config_selectorIjjEEZNS1_14transform_implILb0ES3_S5_N6thrust23THRUST_200600_302600_NS17counting_iteratorIjNS8_11use_defaultESA_SA_EENS8_6detail15normal_iteratorINS8_10device_ptrIjEEEEZNS1_13binary_searchIS3_S5_SG_SB_SG_NS1_21upper_bound_search_opENSC_16wrapped_functionINS0_4lessIvEEbEEEE10hipError_tPvRmT1_T2_T3_mmT4_T5_P12ihipStream_tbEUlRKjE_EESN_SR_SS_mST_SW_bEUlT_E_NS1_11comp_targetILNS1_3genE0ELNS1_11target_archE4294967295ELNS1_3gpuE0ELNS1_3repE0EEENS1_30default_config_static_selectorELNS0_4arch9wavefront6targetE0EEEvSQ_.num_agpr, 0
	.set _ZN7rocprim17ROCPRIM_400000_NS6detail17trampoline_kernelINS0_14default_configENS1_27upper_bound_config_selectorIjjEEZNS1_14transform_implILb0ES3_S5_N6thrust23THRUST_200600_302600_NS17counting_iteratorIjNS8_11use_defaultESA_SA_EENS8_6detail15normal_iteratorINS8_10device_ptrIjEEEEZNS1_13binary_searchIS3_S5_SG_SB_SG_NS1_21upper_bound_search_opENSC_16wrapped_functionINS0_4lessIvEEbEEEE10hipError_tPvRmT1_T2_T3_mmT4_T5_P12ihipStream_tbEUlRKjE_EESN_SR_SS_mST_SW_bEUlT_E_NS1_11comp_targetILNS1_3genE0ELNS1_11target_archE4294967295ELNS1_3gpuE0ELNS1_3repE0EEENS1_30default_config_static_selectorELNS0_4arch9wavefront6targetE0EEEvSQ_.numbered_sgpr, 16
	.set _ZN7rocprim17ROCPRIM_400000_NS6detail17trampoline_kernelINS0_14default_configENS1_27upper_bound_config_selectorIjjEEZNS1_14transform_implILb0ES3_S5_N6thrust23THRUST_200600_302600_NS17counting_iteratorIjNS8_11use_defaultESA_SA_EENS8_6detail15normal_iteratorINS8_10device_ptrIjEEEEZNS1_13binary_searchIS3_S5_SG_SB_SG_NS1_21upper_bound_search_opENSC_16wrapped_functionINS0_4lessIvEEbEEEE10hipError_tPvRmT1_T2_T3_mmT4_T5_P12ihipStream_tbEUlRKjE_EESN_SR_SS_mST_SW_bEUlT_E_NS1_11comp_targetILNS1_3genE0ELNS1_11target_archE4294967295ELNS1_3gpuE0ELNS1_3repE0EEENS1_30default_config_static_selectorELNS0_4arch9wavefront6targetE0EEEvSQ_.num_named_barrier, 0
	.set _ZN7rocprim17ROCPRIM_400000_NS6detail17trampoline_kernelINS0_14default_configENS1_27upper_bound_config_selectorIjjEEZNS1_14transform_implILb0ES3_S5_N6thrust23THRUST_200600_302600_NS17counting_iteratorIjNS8_11use_defaultESA_SA_EENS8_6detail15normal_iteratorINS8_10device_ptrIjEEEEZNS1_13binary_searchIS3_S5_SG_SB_SG_NS1_21upper_bound_search_opENSC_16wrapped_functionINS0_4lessIvEEbEEEE10hipError_tPvRmT1_T2_T3_mmT4_T5_P12ihipStream_tbEUlRKjE_EESN_SR_SS_mST_SW_bEUlT_E_NS1_11comp_targetILNS1_3genE0ELNS1_11target_archE4294967295ELNS1_3gpuE0ELNS1_3repE0EEENS1_30default_config_static_selectorELNS0_4arch9wavefront6targetE0EEEvSQ_.private_seg_size, 0
	.set _ZN7rocprim17ROCPRIM_400000_NS6detail17trampoline_kernelINS0_14default_configENS1_27upper_bound_config_selectorIjjEEZNS1_14transform_implILb0ES3_S5_N6thrust23THRUST_200600_302600_NS17counting_iteratorIjNS8_11use_defaultESA_SA_EENS8_6detail15normal_iteratorINS8_10device_ptrIjEEEEZNS1_13binary_searchIS3_S5_SG_SB_SG_NS1_21upper_bound_search_opENSC_16wrapped_functionINS0_4lessIvEEbEEEE10hipError_tPvRmT1_T2_T3_mmT4_T5_P12ihipStream_tbEUlRKjE_EESN_SR_SS_mST_SW_bEUlT_E_NS1_11comp_targetILNS1_3genE0ELNS1_11target_archE4294967295ELNS1_3gpuE0ELNS1_3repE0EEENS1_30default_config_static_selectorELNS0_4arch9wavefront6targetE0EEEvSQ_.uses_vcc, 1
	.set _ZN7rocprim17ROCPRIM_400000_NS6detail17trampoline_kernelINS0_14default_configENS1_27upper_bound_config_selectorIjjEEZNS1_14transform_implILb0ES3_S5_N6thrust23THRUST_200600_302600_NS17counting_iteratorIjNS8_11use_defaultESA_SA_EENS8_6detail15normal_iteratorINS8_10device_ptrIjEEEEZNS1_13binary_searchIS3_S5_SG_SB_SG_NS1_21upper_bound_search_opENSC_16wrapped_functionINS0_4lessIvEEbEEEE10hipError_tPvRmT1_T2_T3_mmT4_T5_P12ihipStream_tbEUlRKjE_EESN_SR_SS_mST_SW_bEUlT_E_NS1_11comp_targetILNS1_3genE0ELNS1_11target_archE4294967295ELNS1_3gpuE0ELNS1_3repE0EEENS1_30default_config_static_selectorELNS0_4arch9wavefront6targetE0EEEvSQ_.uses_flat_scratch, 0
	.set _ZN7rocprim17ROCPRIM_400000_NS6detail17trampoline_kernelINS0_14default_configENS1_27upper_bound_config_selectorIjjEEZNS1_14transform_implILb0ES3_S5_N6thrust23THRUST_200600_302600_NS17counting_iteratorIjNS8_11use_defaultESA_SA_EENS8_6detail15normal_iteratorINS8_10device_ptrIjEEEEZNS1_13binary_searchIS3_S5_SG_SB_SG_NS1_21upper_bound_search_opENSC_16wrapped_functionINS0_4lessIvEEbEEEE10hipError_tPvRmT1_T2_T3_mmT4_T5_P12ihipStream_tbEUlRKjE_EESN_SR_SS_mST_SW_bEUlT_E_NS1_11comp_targetILNS1_3genE0ELNS1_11target_archE4294967295ELNS1_3gpuE0ELNS1_3repE0EEENS1_30default_config_static_selectorELNS0_4arch9wavefront6targetE0EEEvSQ_.has_dyn_sized_stack, 0
	.set _ZN7rocprim17ROCPRIM_400000_NS6detail17trampoline_kernelINS0_14default_configENS1_27upper_bound_config_selectorIjjEEZNS1_14transform_implILb0ES3_S5_N6thrust23THRUST_200600_302600_NS17counting_iteratorIjNS8_11use_defaultESA_SA_EENS8_6detail15normal_iteratorINS8_10device_ptrIjEEEEZNS1_13binary_searchIS3_S5_SG_SB_SG_NS1_21upper_bound_search_opENSC_16wrapped_functionINS0_4lessIvEEbEEEE10hipError_tPvRmT1_T2_T3_mmT4_T5_P12ihipStream_tbEUlRKjE_EESN_SR_SS_mST_SW_bEUlT_E_NS1_11comp_targetILNS1_3genE0ELNS1_11target_archE4294967295ELNS1_3gpuE0ELNS1_3repE0EEENS1_30default_config_static_selectorELNS0_4arch9wavefront6targetE0EEEvSQ_.has_recursion, 0
	.set _ZN7rocprim17ROCPRIM_400000_NS6detail17trampoline_kernelINS0_14default_configENS1_27upper_bound_config_selectorIjjEEZNS1_14transform_implILb0ES3_S5_N6thrust23THRUST_200600_302600_NS17counting_iteratorIjNS8_11use_defaultESA_SA_EENS8_6detail15normal_iteratorINS8_10device_ptrIjEEEEZNS1_13binary_searchIS3_S5_SG_SB_SG_NS1_21upper_bound_search_opENSC_16wrapped_functionINS0_4lessIvEEbEEEE10hipError_tPvRmT1_T2_T3_mmT4_T5_P12ihipStream_tbEUlRKjE_EESN_SR_SS_mST_SW_bEUlT_E_NS1_11comp_targetILNS1_3genE0ELNS1_11target_archE4294967295ELNS1_3gpuE0ELNS1_3repE0EEENS1_30default_config_static_selectorELNS0_4arch9wavefront6targetE0EEEvSQ_.has_indirect_call, 0
	.section	.AMDGPU.csdata,"",@progbits
; Kernel info:
; codeLenInByte = 544
; TotalNumSgprs: 18
; NumVgprs: 11
; ScratchSize: 0
; MemoryBound: 0
; FloatMode: 240
; IeeeMode: 1
; LDSByteSize: 0 bytes/workgroup (compile time only)
; SGPRBlocks: 0
; VGPRBlocks: 0
; NumSGPRsForWavesPerEU: 18
; NumVGPRsForWavesPerEU: 11
; NamedBarCnt: 0
; Occupancy: 16
; WaveLimiterHint : 0
; COMPUTE_PGM_RSRC2:SCRATCH_EN: 0
; COMPUTE_PGM_RSRC2:USER_SGPR: 2
; COMPUTE_PGM_RSRC2:TRAP_HANDLER: 0
; COMPUTE_PGM_RSRC2:TGID_X_EN: 1
; COMPUTE_PGM_RSRC2:TGID_Y_EN: 0
; COMPUTE_PGM_RSRC2:TGID_Z_EN: 0
; COMPUTE_PGM_RSRC2:TIDIG_COMP_CNT: 0
	.section	.text._ZN7rocprim17ROCPRIM_400000_NS6detail17trampoline_kernelINS0_14default_configENS1_27upper_bound_config_selectorIjjEEZNS1_14transform_implILb0ES3_S5_N6thrust23THRUST_200600_302600_NS17counting_iteratorIjNS8_11use_defaultESA_SA_EENS8_6detail15normal_iteratorINS8_10device_ptrIjEEEEZNS1_13binary_searchIS3_S5_SG_SB_SG_NS1_21upper_bound_search_opENSC_16wrapped_functionINS0_4lessIvEEbEEEE10hipError_tPvRmT1_T2_T3_mmT4_T5_P12ihipStream_tbEUlRKjE_EESN_SR_SS_mST_SW_bEUlT_E_NS1_11comp_targetILNS1_3genE5ELNS1_11target_archE942ELNS1_3gpuE9ELNS1_3repE0EEENS1_30default_config_static_selectorELNS0_4arch9wavefront6targetE0EEEvSQ_,"axG",@progbits,_ZN7rocprim17ROCPRIM_400000_NS6detail17trampoline_kernelINS0_14default_configENS1_27upper_bound_config_selectorIjjEEZNS1_14transform_implILb0ES3_S5_N6thrust23THRUST_200600_302600_NS17counting_iteratorIjNS8_11use_defaultESA_SA_EENS8_6detail15normal_iteratorINS8_10device_ptrIjEEEEZNS1_13binary_searchIS3_S5_SG_SB_SG_NS1_21upper_bound_search_opENSC_16wrapped_functionINS0_4lessIvEEbEEEE10hipError_tPvRmT1_T2_T3_mmT4_T5_P12ihipStream_tbEUlRKjE_EESN_SR_SS_mST_SW_bEUlT_E_NS1_11comp_targetILNS1_3genE5ELNS1_11target_archE942ELNS1_3gpuE9ELNS1_3repE0EEENS1_30default_config_static_selectorELNS0_4arch9wavefront6targetE0EEEvSQ_,comdat
	.protected	_ZN7rocprim17ROCPRIM_400000_NS6detail17trampoline_kernelINS0_14default_configENS1_27upper_bound_config_selectorIjjEEZNS1_14transform_implILb0ES3_S5_N6thrust23THRUST_200600_302600_NS17counting_iteratorIjNS8_11use_defaultESA_SA_EENS8_6detail15normal_iteratorINS8_10device_ptrIjEEEEZNS1_13binary_searchIS3_S5_SG_SB_SG_NS1_21upper_bound_search_opENSC_16wrapped_functionINS0_4lessIvEEbEEEE10hipError_tPvRmT1_T2_T3_mmT4_T5_P12ihipStream_tbEUlRKjE_EESN_SR_SS_mST_SW_bEUlT_E_NS1_11comp_targetILNS1_3genE5ELNS1_11target_archE942ELNS1_3gpuE9ELNS1_3repE0EEENS1_30default_config_static_selectorELNS0_4arch9wavefront6targetE0EEEvSQ_ ; -- Begin function _ZN7rocprim17ROCPRIM_400000_NS6detail17trampoline_kernelINS0_14default_configENS1_27upper_bound_config_selectorIjjEEZNS1_14transform_implILb0ES3_S5_N6thrust23THRUST_200600_302600_NS17counting_iteratorIjNS8_11use_defaultESA_SA_EENS8_6detail15normal_iteratorINS8_10device_ptrIjEEEEZNS1_13binary_searchIS3_S5_SG_SB_SG_NS1_21upper_bound_search_opENSC_16wrapped_functionINS0_4lessIvEEbEEEE10hipError_tPvRmT1_T2_T3_mmT4_T5_P12ihipStream_tbEUlRKjE_EESN_SR_SS_mST_SW_bEUlT_E_NS1_11comp_targetILNS1_3genE5ELNS1_11target_archE942ELNS1_3gpuE9ELNS1_3repE0EEENS1_30default_config_static_selectorELNS0_4arch9wavefront6targetE0EEEvSQ_
	.globl	_ZN7rocprim17ROCPRIM_400000_NS6detail17trampoline_kernelINS0_14default_configENS1_27upper_bound_config_selectorIjjEEZNS1_14transform_implILb0ES3_S5_N6thrust23THRUST_200600_302600_NS17counting_iteratorIjNS8_11use_defaultESA_SA_EENS8_6detail15normal_iteratorINS8_10device_ptrIjEEEEZNS1_13binary_searchIS3_S5_SG_SB_SG_NS1_21upper_bound_search_opENSC_16wrapped_functionINS0_4lessIvEEbEEEE10hipError_tPvRmT1_T2_T3_mmT4_T5_P12ihipStream_tbEUlRKjE_EESN_SR_SS_mST_SW_bEUlT_E_NS1_11comp_targetILNS1_3genE5ELNS1_11target_archE942ELNS1_3gpuE9ELNS1_3repE0EEENS1_30default_config_static_selectorELNS0_4arch9wavefront6targetE0EEEvSQ_
	.p2align	8
	.type	_ZN7rocprim17ROCPRIM_400000_NS6detail17trampoline_kernelINS0_14default_configENS1_27upper_bound_config_selectorIjjEEZNS1_14transform_implILb0ES3_S5_N6thrust23THRUST_200600_302600_NS17counting_iteratorIjNS8_11use_defaultESA_SA_EENS8_6detail15normal_iteratorINS8_10device_ptrIjEEEEZNS1_13binary_searchIS3_S5_SG_SB_SG_NS1_21upper_bound_search_opENSC_16wrapped_functionINS0_4lessIvEEbEEEE10hipError_tPvRmT1_T2_T3_mmT4_T5_P12ihipStream_tbEUlRKjE_EESN_SR_SS_mST_SW_bEUlT_E_NS1_11comp_targetILNS1_3genE5ELNS1_11target_archE942ELNS1_3gpuE9ELNS1_3repE0EEENS1_30default_config_static_selectorELNS0_4arch9wavefront6targetE0EEEvSQ_,@function
_ZN7rocprim17ROCPRIM_400000_NS6detail17trampoline_kernelINS0_14default_configENS1_27upper_bound_config_selectorIjjEEZNS1_14transform_implILb0ES3_S5_N6thrust23THRUST_200600_302600_NS17counting_iteratorIjNS8_11use_defaultESA_SA_EENS8_6detail15normal_iteratorINS8_10device_ptrIjEEEEZNS1_13binary_searchIS3_S5_SG_SB_SG_NS1_21upper_bound_search_opENSC_16wrapped_functionINS0_4lessIvEEbEEEE10hipError_tPvRmT1_T2_T3_mmT4_T5_P12ihipStream_tbEUlRKjE_EESN_SR_SS_mST_SW_bEUlT_E_NS1_11comp_targetILNS1_3genE5ELNS1_11target_archE942ELNS1_3gpuE9ELNS1_3repE0EEENS1_30default_config_static_selectorELNS0_4arch9wavefront6targetE0EEEvSQ_: ; @_ZN7rocprim17ROCPRIM_400000_NS6detail17trampoline_kernelINS0_14default_configENS1_27upper_bound_config_selectorIjjEEZNS1_14transform_implILb0ES3_S5_N6thrust23THRUST_200600_302600_NS17counting_iteratorIjNS8_11use_defaultESA_SA_EENS8_6detail15normal_iteratorINS8_10device_ptrIjEEEEZNS1_13binary_searchIS3_S5_SG_SB_SG_NS1_21upper_bound_search_opENSC_16wrapped_functionINS0_4lessIvEEbEEEE10hipError_tPvRmT1_T2_T3_mmT4_T5_P12ihipStream_tbEUlRKjE_EESN_SR_SS_mST_SW_bEUlT_E_NS1_11comp_targetILNS1_3genE5ELNS1_11target_archE942ELNS1_3gpuE9ELNS1_3repE0EEENS1_30default_config_static_selectorELNS0_4arch9wavefront6targetE0EEEvSQ_
; %bb.0:
	.section	.rodata,"a",@progbits
	.p2align	6, 0x0
	.amdhsa_kernel _ZN7rocprim17ROCPRIM_400000_NS6detail17trampoline_kernelINS0_14default_configENS1_27upper_bound_config_selectorIjjEEZNS1_14transform_implILb0ES3_S5_N6thrust23THRUST_200600_302600_NS17counting_iteratorIjNS8_11use_defaultESA_SA_EENS8_6detail15normal_iteratorINS8_10device_ptrIjEEEEZNS1_13binary_searchIS3_S5_SG_SB_SG_NS1_21upper_bound_search_opENSC_16wrapped_functionINS0_4lessIvEEbEEEE10hipError_tPvRmT1_T2_T3_mmT4_T5_P12ihipStream_tbEUlRKjE_EESN_SR_SS_mST_SW_bEUlT_E_NS1_11comp_targetILNS1_3genE5ELNS1_11target_archE942ELNS1_3gpuE9ELNS1_3repE0EEENS1_30default_config_static_selectorELNS0_4arch9wavefront6targetE0EEEvSQ_
		.amdhsa_group_segment_fixed_size 0
		.amdhsa_private_segment_fixed_size 0
		.amdhsa_kernarg_size 56
		.amdhsa_user_sgpr_count 2
		.amdhsa_user_sgpr_dispatch_ptr 0
		.amdhsa_user_sgpr_queue_ptr 0
		.amdhsa_user_sgpr_kernarg_segment_ptr 1
		.amdhsa_user_sgpr_dispatch_id 0
		.amdhsa_user_sgpr_kernarg_preload_length 0
		.amdhsa_user_sgpr_kernarg_preload_offset 0
		.amdhsa_user_sgpr_private_segment_size 0
		.amdhsa_wavefront_size32 1
		.amdhsa_uses_dynamic_stack 0
		.amdhsa_enable_private_segment 0
		.amdhsa_system_sgpr_workgroup_id_x 1
		.amdhsa_system_sgpr_workgroup_id_y 0
		.amdhsa_system_sgpr_workgroup_id_z 0
		.amdhsa_system_sgpr_workgroup_info 0
		.amdhsa_system_vgpr_workitem_id 0
		.amdhsa_next_free_vgpr 1
		.amdhsa_next_free_sgpr 1
		.amdhsa_named_barrier_count 0
		.amdhsa_reserve_vcc 0
		.amdhsa_float_round_mode_32 0
		.amdhsa_float_round_mode_16_64 0
		.amdhsa_float_denorm_mode_32 3
		.amdhsa_float_denorm_mode_16_64 3
		.amdhsa_fp16_overflow 0
		.amdhsa_memory_ordered 1
		.amdhsa_forward_progress 1
		.amdhsa_inst_pref_size 0
		.amdhsa_round_robin_scheduling 0
		.amdhsa_exception_fp_ieee_invalid_op 0
		.amdhsa_exception_fp_denorm_src 0
		.amdhsa_exception_fp_ieee_div_zero 0
		.amdhsa_exception_fp_ieee_overflow 0
		.amdhsa_exception_fp_ieee_underflow 0
		.amdhsa_exception_fp_ieee_inexact 0
		.amdhsa_exception_int_div_zero 0
	.end_amdhsa_kernel
	.section	.text._ZN7rocprim17ROCPRIM_400000_NS6detail17trampoline_kernelINS0_14default_configENS1_27upper_bound_config_selectorIjjEEZNS1_14transform_implILb0ES3_S5_N6thrust23THRUST_200600_302600_NS17counting_iteratorIjNS8_11use_defaultESA_SA_EENS8_6detail15normal_iteratorINS8_10device_ptrIjEEEEZNS1_13binary_searchIS3_S5_SG_SB_SG_NS1_21upper_bound_search_opENSC_16wrapped_functionINS0_4lessIvEEbEEEE10hipError_tPvRmT1_T2_T3_mmT4_T5_P12ihipStream_tbEUlRKjE_EESN_SR_SS_mST_SW_bEUlT_E_NS1_11comp_targetILNS1_3genE5ELNS1_11target_archE942ELNS1_3gpuE9ELNS1_3repE0EEENS1_30default_config_static_selectorELNS0_4arch9wavefront6targetE0EEEvSQ_,"axG",@progbits,_ZN7rocprim17ROCPRIM_400000_NS6detail17trampoline_kernelINS0_14default_configENS1_27upper_bound_config_selectorIjjEEZNS1_14transform_implILb0ES3_S5_N6thrust23THRUST_200600_302600_NS17counting_iteratorIjNS8_11use_defaultESA_SA_EENS8_6detail15normal_iteratorINS8_10device_ptrIjEEEEZNS1_13binary_searchIS3_S5_SG_SB_SG_NS1_21upper_bound_search_opENSC_16wrapped_functionINS0_4lessIvEEbEEEE10hipError_tPvRmT1_T2_T3_mmT4_T5_P12ihipStream_tbEUlRKjE_EESN_SR_SS_mST_SW_bEUlT_E_NS1_11comp_targetILNS1_3genE5ELNS1_11target_archE942ELNS1_3gpuE9ELNS1_3repE0EEENS1_30default_config_static_selectorELNS0_4arch9wavefront6targetE0EEEvSQ_,comdat
.Lfunc_end240:
	.size	_ZN7rocprim17ROCPRIM_400000_NS6detail17trampoline_kernelINS0_14default_configENS1_27upper_bound_config_selectorIjjEEZNS1_14transform_implILb0ES3_S5_N6thrust23THRUST_200600_302600_NS17counting_iteratorIjNS8_11use_defaultESA_SA_EENS8_6detail15normal_iteratorINS8_10device_ptrIjEEEEZNS1_13binary_searchIS3_S5_SG_SB_SG_NS1_21upper_bound_search_opENSC_16wrapped_functionINS0_4lessIvEEbEEEE10hipError_tPvRmT1_T2_T3_mmT4_T5_P12ihipStream_tbEUlRKjE_EESN_SR_SS_mST_SW_bEUlT_E_NS1_11comp_targetILNS1_3genE5ELNS1_11target_archE942ELNS1_3gpuE9ELNS1_3repE0EEENS1_30default_config_static_selectorELNS0_4arch9wavefront6targetE0EEEvSQ_, .Lfunc_end240-_ZN7rocprim17ROCPRIM_400000_NS6detail17trampoline_kernelINS0_14default_configENS1_27upper_bound_config_selectorIjjEEZNS1_14transform_implILb0ES3_S5_N6thrust23THRUST_200600_302600_NS17counting_iteratorIjNS8_11use_defaultESA_SA_EENS8_6detail15normal_iteratorINS8_10device_ptrIjEEEEZNS1_13binary_searchIS3_S5_SG_SB_SG_NS1_21upper_bound_search_opENSC_16wrapped_functionINS0_4lessIvEEbEEEE10hipError_tPvRmT1_T2_T3_mmT4_T5_P12ihipStream_tbEUlRKjE_EESN_SR_SS_mST_SW_bEUlT_E_NS1_11comp_targetILNS1_3genE5ELNS1_11target_archE942ELNS1_3gpuE9ELNS1_3repE0EEENS1_30default_config_static_selectorELNS0_4arch9wavefront6targetE0EEEvSQ_
                                        ; -- End function
	.set _ZN7rocprim17ROCPRIM_400000_NS6detail17trampoline_kernelINS0_14default_configENS1_27upper_bound_config_selectorIjjEEZNS1_14transform_implILb0ES3_S5_N6thrust23THRUST_200600_302600_NS17counting_iteratorIjNS8_11use_defaultESA_SA_EENS8_6detail15normal_iteratorINS8_10device_ptrIjEEEEZNS1_13binary_searchIS3_S5_SG_SB_SG_NS1_21upper_bound_search_opENSC_16wrapped_functionINS0_4lessIvEEbEEEE10hipError_tPvRmT1_T2_T3_mmT4_T5_P12ihipStream_tbEUlRKjE_EESN_SR_SS_mST_SW_bEUlT_E_NS1_11comp_targetILNS1_3genE5ELNS1_11target_archE942ELNS1_3gpuE9ELNS1_3repE0EEENS1_30default_config_static_selectorELNS0_4arch9wavefront6targetE0EEEvSQ_.num_vgpr, 0
	.set _ZN7rocprim17ROCPRIM_400000_NS6detail17trampoline_kernelINS0_14default_configENS1_27upper_bound_config_selectorIjjEEZNS1_14transform_implILb0ES3_S5_N6thrust23THRUST_200600_302600_NS17counting_iteratorIjNS8_11use_defaultESA_SA_EENS8_6detail15normal_iteratorINS8_10device_ptrIjEEEEZNS1_13binary_searchIS3_S5_SG_SB_SG_NS1_21upper_bound_search_opENSC_16wrapped_functionINS0_4lessIvEEbEEEE10hipError_tPvRmT1_T2_T3_mmT4_T5_P12ihipStream_tbEUlRKjE_EESN_SR_SS_mST_SW_bEUlT_E_NS1_11comp_targetILNS1_3genE5ELNS1_11target_archE942ELNS1_3gpuE9ELNS1_3repE0EEENS1_30default_config_static_selectorELNS0_4arch9wavefront6targetE0EEEvSQ_.num_agpr, 0
	.set _ZN7rocprim17ROCPRIM_400000_NS6detail17trampoline_kernelINS0_14default_configENS1_27upper_bound_config_selectorIjjEEZNS1_14transform_implILb0ES3_S5_N6thrust23THRUST_200600_302600_NS17counting_iteratorIjNS8_11use_defaultESA_SA_EENS8_6detail15normal_iteratorINS8_10device_ptrIjEEEEZNS1_13binary_searchIS3_S5_SG_SB_SG_NS1_21upper_bound_search_opENSC_16wrapped_functionINS0_4lessIvEEbEEEE10hipError_tPvRmT1_T2_T3_mmT4_T5_P12ihipStream_tbEUlRKjE_EESN_SR_SS_mST_SW_bEUlT_E_NS1_11comp_targetILNS1_3genE5ELNS1_11target_archE942ELNS1_3gpuE9ELNS1_3repE0EEENS1_30default_config_static_selectorELNS0_4arch9wavefront6targetE0EEEvSQ_.numbered_sgpr, 0
	.set _ZN7rocprim17ROCPRIM_400000_NS6detail17trampoline_kernelINS0_14default_configENS1_27upper_bound_config_selectorIjjEEZNS1_14transform_implILb0ES3_S5_N6thrust23THRUST_200600_302600_NS17counting_iteratorIjNS8_11use_defaultESA_SA_EENS8_6detail15normal_iteratorINS8_10device_ptrIjEEEEZNS1_13binary_searchIS3_S5_SG_SB_SG_NS1_21upper_bound_search_opENSC_16wrapped_functionINS0_4lessIvEEbEEEE10hipError_tPvRmT1_T2_T3_mmT4_T5_P12ihipStream_tbEUlRKjE_EESN_SR_SS_mST_SW_bEUlT_E_NS1_11comp_targetILNS1_3genE5ELNS1_11target_archE942ELNS1_3gpuE9ELNS1_3repE0EEENS1_30default_config_static_selectorELNS0_4arch9wavefront6targetE0EEEvSQ_.num_named_barrier, 0
	.set _ZN7rocprim17ROCPRIM_400000_NS6detail17trampoline_kernelINS0_14default_configENS1_27upper_bound_config_selectorIjjEEZNS1_14transform_implILb0ES3_S5_N6thrust23THRUST_200600_302600_NS17counting_iteratorIjNS8_11use_defaultESA_SA_EENS8_6detail15normal_iteratorINS8_10device_ptrIjEEEEZNS1_13binary_searchIS3_S5_SG_SB_SG_NS1_21upper_bound_search_opENSC_16wrapped_functionINS0_4lessIvEEbEEEE10hipError_tPvRmT1_T2_T3_mmT4_T5_P12ihipStream_tbEUlRKjE_EESN_SR_SS_mST_SW_bEUlT_E_NS1_11comp_targetILNS1_3genE5ELNS1_11target_archE942ELNS1_3gpuE9ELNS1_3repE0EEENS1_30default_config_static_selectorELNS0_4arch9wavefront6targetE0EEEvSQ_.private_seg_size, 0
	.set _ZN7rocprim17ROCPRIM_400000_NS6detail17trampoline_kernelINS0_14default_configENS1_27upper_bound_config_selectorIjjEEZNS1_14transform_implILb0ES3_S5_N6thrust23THRUST_200600_302600_NS17counting_iteratorIjNS8_11use_defaultESA_SA_EENS8_6detail15normal_iteratorINS8_10device_ptrIjEEEEZNS1_13binary_searchIS3_S5_SG_SB_SG_NS1_21upper_bound_search_opENSC_16wrapped_functionINS0_4lessIvEEbEEEE10hipError_tPvRmT1_T2_T3_mmT4_T5_P12ihipStream_tbEUlRKjE_EESN_SR_SS_mST_SW_bEUlT_E_NS1_11comp_targetILNS1_3genE5ELNS1_11target_archE942ELNS1_3gpuE9ELNS1_3repE0EEENS1_30default_config_static_selectorELNS0_4arch9wavefront6targetE0EEEvSQ_.uses_vcc, 0
	.set _ZN7rocprim17ROCPRIM_400000_NS6detail17trampoline_kernelINS0_14default_configENS1_27upper_bound_config_selectorIjjEEZNS1_14transform_implILb0ES3_S5_N6thrust23THRUST_200600_302600_NS17counting_iteratorIjNS8_11use_defaultESA_SA_EENS8_6detail15normal_iteratorINS8_10device_ptrIjEEEEZNS1_13binary_searchIS3_S5_SG_SB_SG_NS1_21upper_bound_search_opENSC_16wrapped_functionINS0_4lessIvEEbEEEE10hipError_tPvRmT1_T2_T3_mmT4_T5_P12ihipStream_tbEUlRKjE_EESN_SR_SS_mST_SW_bEUlT_E_NS1_11comp_targetILNS1_3genE5ELNS1_11target_archE942ELNS1_3gpuE9ELNS1_3repE0EEENS1_30default_config_static_selectorELNS0_4arch9wavefront6targetE0EEEvSQ_.uses_flat_scratch, 0
	.set _ZN7rocprim17ROCPRIM_400000_NS6detail17trampoline_kernelINS0_14default_configENS1_27upper_bound_config_selectorIjjEEZNS1_14transform_implILb0ES3_S5_N6thrust23THRUST_200600_302600_NS17counting_iteratorIjNS8_11use_defaultESA_SA_EENS8_6detail15normal_iteratorINS8_10device_ptrIjEEEEZNS1_13binary_searchIS3_S5_SG_SB_SG_NS1_21upper_bound_search_opENSC_16wrapped_functionINS0_4lessIvEEbEEEE10hipError_tPvRmT1_T2_T3_mmT4_T5_P12ihipStream_tbEUlRKjE_EESN_SR_SS_mST_SW_bEUlT_E_NS1_11comp_targetILNS1_3genE5ELNS1_11target_archE942ELNS1_3gpuE9ELNS1_3repE0EEENS1_30default_config_static_selectorELNS0_4arch9wavefront6targetE0EEEvSQ_.has_dyn_sized_stack, 0
	.set _ZN7rocprim17ROCPRIM_400000_NS6detail17trampoline_kernelINS0_14default_configENS1_27upper_bound_config_selectorIjjEEZNS1_14transform_implILb0ES3_S5_N6thrust23THRUST_200600_302600_NS17counting_iteratorIjNS8_11use_defaultESA_SA_EENS8_6detail15normal_iteratorINS8_10device_ptrIjEEEEZNS1_13binary_searchIS3_S5_SG_SB_SG_NS1_21upper_bound_search_opENSC_16wrapped_functionINS0_4lessIvEEbEEEE10hipError_tPvRmT1_T2_T3_mmT4_T5_P12ihipStream_tbEUlRKjE_EESN_SR_SS_mST_SW_bEUlT_E_NS1_11comp_targetILNS1_3genE5ELNS1_11target_archE942ELNS1_3gpuE9ELNS1_3repE0EEENS1_30default_config_static_selectorELNS0_4arch9wavefront6targetE0EEEvSQ_.has_recursion, 0
	.set _ZN7rocprim17ROCPRIM_400000_NS6detail17trampoline_kernelINS0_14default_configENS1_27upper_bound_config_selectorIjjEEZNS1_14transform_implILb0ES3_S5_N6thrust23THRUST_200600_302600_NS17counting_iteratorIjNS8_11use_defaultESA_SA_EENS8_6detail15normal_iteratorINS8_10device_ptrIjEEEEZNS1_13binary_searchIS3_S5_SG_SB_SG_NS1_21upper_bound_search_opENSC_16wrapped_functionINS0_4lessIvEEbEEEE10hipError_tPvRmT1_T2_T3_mmT4_T5_P12ihipStream_tbEUlRKjE_EESN_SR_SS_mST_SW_bEUlT_E_NS1_11comp_targetILNS1_3genE5ELNS1_11target_archE942ELNS1_3gpuE9ELNS1_3repE0EEENS1_30default_config_static_selectorELNS0_4arch9wavefront6targetE0EEEvSQ_.has_indirect_call, 0
	.section	.AMDGPU.csdata,"",@progbits
; Kernel info:
; codeLenInByte = 0
; TotalNumSgprs: 0
; NumVgprs: 0
; ScratchSize: 0
; MemoryBound: 0
; FloatMode: 240
; IeeeMode: 1
; LDSByteSize: 0 bytes/workgroup (compile time only)
; SGPRBlocks: 0
; VGPRBlocks: 0
; NumSGPRsForWavesPerEU: 1
; NumVGPRsForWavesPerEU: 1
; NamedBarCnt: 0
; Occupancy: 16
; WaveLimiterHint : 0
; COMPUTE_PGM_RSRC2:SCRATCH_EN: 0
; COMPUTE_PGM_RSRC2:USER_SGPR: 2
; COMPUTE_PGM_RSRC2:TRAP_HANDLER: 0
; COMPUTE_PGM_RSRC2:TGID_X_EN: 1
; COMPUTE_PGM_RSRC2:TGID_Y_EN: 0
; COMPUTE_PGM_RSRC2:TGID_Z_EN: 0
; COMPUTE_PGM_RSRC2:TIDIG_COMP_CNT: 0
	.section	.text._ZN7rocprim17ROCPRIM_400000_NS6detail17trampoline_kernelINS0_14default_configENS1_27upper_bound_config_selectorIjjEEZNS1_14transform_implILb0ES3_S5_N6thrust23THRUST_200600_302600_NS17counting_iteratorIjNS8_11use_defaultESA_SA_EENS8_6detail15normal_iteratorINS8_10device_ptrIjEEEEZNS1_13binary_searchIS3_S5_SG_SB_SG_NS1_21upper_bound_search_opENSC_16wrapped_functionINS0_4lessIvEEbEEEE10hipError_tPvRmT1_T2_T3_mmT4_T5_P12ihipStream_tbEUlRKjE_EESN_SR_SS_mST_SW_bEUlT_E_NS1_11comp_targetILNS1_3genE4ELNS1_11target_archE910ELNS1_3gpuE8ELNS1_3repE0EEENS1_30default_config_static_selectorELNS0_4arch9wavefront6targetE0EEEvSQ_,"axG",@progbits,_ZN7rocprim17ROCPRIM_400000_NS6detail17trampoline_kernelINS0_14default_configENS1_27upper_bound_config_selectorIjjEEZNS1_14transform_implILb0ES3_S5_N6thrust23THRUST_200600_302600_NS17counting_iteratorIjNS8_11use_defaultESA_SA_EENS8_6detail15normal_iteratorINS8_10device_ptrIjEEEEZNS1_13binary_searchIS3_S5_SG_SB_SG_NS1_21upper_bound_search_opENSC_16wrapped_functionINS0_4lessIvEEbEEEE10hipError_tPvRmT1_T2_T3_mmT4_T5_P12ihipStream_tbEUlRKjE_EESN_SR_SS_mST_SW_bEUlT_E_NS1_11comp_targetILNS1_3genE4ELNS1_11target_archE910ELNS1_3gpuE8ELNS1_3repE0EEENS1_30default_config_static_selectorELNS0_4arch9wavefront6targetE0EEEvSQ_,comdat
	.protected	_ZN7rocprim17ROCPRIM_400000_NS6detail17trampoline_kernelINS0_14default_configENS1_27upper_bound_config_selectorIjjEEZNS1_14transform_implILb0ES3_S5_N6thrust23THRUST_200600_302600_NS17counting_iteratorIjNS8_11use_defaultESA_SA_EENS8_6detail15normal_iteratorINS8_10device_ptrIjEEEEZNS1_13binary_searchIS3_S5_SG_SB_SG_NS1_21upper_bound_search_opENSC_16wrapped_functionINS0_4lessIvEEbEEEE10hipError_tPvRmT1_T2_T3_mmT4_T5_P12ihipStream_tbEUlRKjE_EESN_SR_SS_mST_SW_bEUlT_E_NS1_11comp_targetILNS1_3genE4ELNS1_11target_archE910ELNS1_3gpuE8ELNS1_3repE0EEENS1_30default_config_static_selectorELNS0_4arch9wavefront6targetE0EEEvSQ_ ; -- Begin function _ZN7rocprim17ROCPRIM_400000_NS6detail17trampoline_kernelINS0_14default_configENS1_27upper_bound_config_selectorIjjEEZNS1_14transform_implILb0ES3_S5_N6thrust23THRUST_200600_302600_NS17counting_iteratorIjNS8_11use_defaultESA_SA_EENS8_6detail15normal_iteratorINS8_10device_ptrIjEEEEZNS1_13binary_searchIS3_S5_SG_SB_SG_NS1_21upper_bound_search_opENSC_16wrapped_functionINS0_4lessIvEEbEEEE10hipError_tPvRmT1_T2_T3_mmT4_T5_P12ihipStream_tbEUlRKjE_EESN_SR_SS_mST_SW_bEUlT_E_NS1_11comp_targetILNS1_3genE4ELNS1_11target_archE910ELNS1_3gpuE8ELNS1_3repE0EEENS1_30default_config_static_selectorELNS0_4arch9wavefront6targetE0EEEvSQ_
	.globl	_ZN7rocprim17ROCPRIM_400000_NS6detail17trampoline_kernelINS0_14default_configENS1_27upper_bound_config_selectorIjjEEZNS1_14transform_implILb0ES3_S5_N6thrust23THRUST_200600_302600_NS17counting_iteratorIjNS8_11use_defaultESA_SA_EENS8_6detail15normal_iteratorINS8_10device_ptrIjEEEEZNS1_13binary_searchIS3_S5_SG_SB_SG_NS1_21upper_bound_search_opENSC_16wrapped_functionINS0_4lessIvEEbEEEE10hipError_tPvRmT1_T2_T3_mmT4_T5_P12ihipStream_tbEUlRKjE_EESN_SR_SS_mST_SW_bEUlT_E_NS1_11comp_targetILNS1_3genE4ELNS1_11target_archE910ELNS1_3gpuE8ELNS1_3repE0EEENS1_30default_config_static_selectorELNS0_4arch9wavefront6targetE0EEEvSQ_
	.p2align	8
	.type	_ZN7rocprim17ROCPRIM_400000_NS6detail17trampoline_kernelINS0_14default_configENS1_27upper_bound_config_selectorIjjEEZNS1_14transform_implILb0ES3_S5_N6thrust23THRUST_200600_302600_NS17counting_iteratorIjNS8_11use_defaultESA_SA_EENS8_6detail15normal_iteratorINS8_10device_ptrIjEEEEZNS1_13binary_searchIS3_S5_SG_SB_SG_NS1_21upper_bound_search_opENSC_16wrapped_functionINS0_4lessIvEEbEEEE10hipError_tPvRmT1_T2_T3_mmT4_T5_P12ihipStream_tbEUlRKjE_EESN_SR_SS_mST_SW_bEUlT_E_NS1_11comp_targetILNS1_3genE4ELNS1_11target_archE910ELNS1_3gpuE8ELNS1_3repE0EEENS1_30default_config_static_selectorELNS0_4arch9wavefront6targetE0EEEvSQ_,@function
_ZN7rocprim17ROCPRIM_400000_NS6detail17trampoline_kernelINS0_14default_configENS1_27upper_bound_config_selectorIjjEEZNS1_14transform_implILb0ES3_S5_N6thrust23THRUST_200600_302600_NS17counting_iteratorIjNS8_11use_defaultESA_SA_EENS8_6detail15normal_iteratorINS8_10device_ptrIjEEEEZNS1_13binary_searchIS3_S5_SG_SB_SG_NS1_21upper_bound_search_opENSC_16wrapped_functionINS0_4lessIvEEbEEEE10hipError_tPvRmT1_T2_T3_mmT4_T5_P12ihipStream_tbEUlRKjE_EESN_SR_SS_mST_SW_bEUlT_E_NS1_11comp_targetILNS1_3genE4ELNS1_11target_archE910ELNS1_3gpuE8ELNS1_3repE0EEENS1_30default_config_static_selectorELNS0_4arch9wavefront6targetE0EEEvSQ_: ; @_ZN7rocprim17ROCPRIM_400000_NS6detail17trampoline_kernelINS0_14default_configENS1_27upper_bound_config_selectorIjjEEZNS1_14transform_implILb0ES3_S5_N6thrust23THRUST_200600_302600_NS17counting_iteratorIjNS8_11use_defaultESA_SA_EENS8_6detail15normal_iteratorINS8_10device_ptrIjEEEEZNS1_13binary_searchIS3_S5_SG_SB_SG_NS1_21upper_bound_search_opENSC_16wrapped_functionINS0_4lessIvEEbEEEE10hipError_tPvRmT1_T2_T3_mmT4_T5_P12ihipStream_tbEUlRKjE_EESN_SR_SS_mST_SW_bEUlT_E_NS1_11comp_targetILNS1_3genE4ELNS1_11target_archE910ELNS1_3gpuE8ELNS1_3repE0EEENS1_30default_config_static_selectorELNS0_4arch9wavefront6targetE0EEEvSQ_
; %bb.0:
	.section	.rodata,"a",@progbits
	.p2align	6, 0x0
	.amdhsa_kernel _ZN7rocprim17ROCPRIM_400000_NS6detail17trampoline_kernelINS0_14default_configENS1_27upper_bound_config_selectorIjjEEZNS1_14transform_implILb0ES3_S5_N6thrust23THRUST_200600_302600_NS17counting_iteratorIjNS8_11use_defaultESA_SA_EENS8_6detail15normal_iteratorINS8_10device_ptrIjEEEEZNS1_13binary_searchIS3_S5_SG_SB_SG_NS1_21upper_bound_search_opENSC_16wrapped_functionINS0_4lessIvEEbEEEE10hipError_tPvRmT1_T2_T3_mmT4_T5_P12ihipStream_tbEUlRKjE_EESN_SR_SS_mST_SW_bEUlT_E_NS1_11comp_targetILNS1_3genE4ELNS1_11target_archE910ELNS1_3gpuE8ELNS1_3repE0EEENS1_30default_config_static_selectorELNS0_4arch9wavefront6targetE0EEEvSQ_
		.amdhsa_group_segment_fixed_size 0
		.amdhsa_private_segment_fixed_size 0
		.amdhsa_kernarg_size 56
		.amdhsa_user_sgpr_count 2
		.amdhsa_user_sgpr_dispatch_ptr 0
		.amdhsa_user_sgpr_queue_ptr 0
		.amdhsa_user_sgpr_kernarg_segment_ptr 1
		.amdhsa_user_sgpr_dispatch_id 0
		.amdhsa_user_sgpr_kernarg_preload_length 0
		.amdhsa_user_sgpr_kernarg_preload_offset 0
		.amdhsa_user_sgpr_private_segment_size 0
		.amdhsa_wavefront_size32 1
		.amdhsa_uses_dynamic_stack 0
		.amdhsa_enable_private_segment 0
		.amdhsa_system_sgpr_workgroup_id_x 1
		.amdhsa_system_sgpr_workgroup_id_y 0
		.amdhsa_system_sgpr_workgroup_id_z 0
		.amdhsa_system_sgpr_workgroup_info 0
		.amdhsa_system_vgpr_workitem_id 0
		.amdhsa_next_free_vgpr 1
		.amdhsa_next_free_sgpr 1
		.amdhsa_named_barrier_count 0
		.amdhsa_reserve_vcc 0
		.amdhsa_float_round_mode_32 0
		.amdhsa_float_round_mode_16_64 0
		.amdhsa_float_denorm_mode_32 3
		.amdhsa_float_denorm_mode_16_64 3
		.amdhsa_fp16_overflow 0
		.amdhsa_memory_ordered 1
		.amdhsa_forward_progress 1
		.amdhsa_inst_pref_size 0
		.amdhsa_round_robin_scheduling 0
		.amdhsa_exception_fp_ieee_invalid_op 0
		.amdhsa_exception_fp_denorm_src 0
		.amdhsa_exception_fp_ieee_div_zero 0
		.amdhsa_exception_fp_ieee_overflow 0
		.amdhsa_exception_fp_ieee_underflow 0
		.amdhsa_exception_fp_ieee_inexact 0
		.amdhsa_exception_int_div_zero 0
	.end_amdhsa_kernel
	.section	.text._ZN7rocprim17ROCPRIM_400000_NS6detail17trampoline_kernelINS0_14default_configENS1_27upper_bound_config_selectorIjjEEZNS1_14transform_implILb0ES3_S5_N6thrust23THRUST_200600_302600_NS17counting_iteratorIjNS8_11use_defaultESA_SA_EENS8_6detail15normal_iteratorINS8_10device_ptrIjEEEEZNS1_13binary_searchIS3_S5_SG_SB_SG_NS1_21upper_bound_search_opENSC_16wrapped_functionINS0_4lessIvEEbEEEE10hipError_tPvRmT1_T2_T3_mmT4_T5_P12ihipStream_tbEUlRKjE_EESN_SR_SS_mST_SW_bEUlT_E_NS1_11comp_targetILNS1_3genE4ELNS1_11target_archE910ELNS1_3gpuE8ELNS1_3repE0EEENS1_30default_config_static_selectorELNS0_4arch9wavefront6targetE0EEEvSQ_,"axG",@progbits,_ZN7rocprim17ROCPRIM_400000_NS6detail17trampoline_kernelINS0_14default_configENS1_27upper_bound_config_selectorIjjEEZNS1_14transform_implILb0ES3_S5_N6thrust23THRUST_200600_302600_NS17counting_iteratorIjNS8_11use_defaultESA_SA_EENS8_6detail15normal_iteratorINS8_10device_ptrIjEEEEZNS1_13binary_searchIS3_S5_SG_SB_SG_NS1_21upper_bound_search_opENSC_16wrapped_functionINS0_4lessIvEEbEEEE10hipError_tPvRmT1_T2_T3_mmT4_T5_P12ihipStream_tbEUlRKjE_EESN_SR_SS_mST_SW_bEUlT_E_NS1_11comp_targetILNS1_3genE4ELNS1_11target_archE910ELNS1_3gpuE8ELNS1_3repE0EEENS1_30default_config_static_selectorELNS0_4arch9wavefront6targetE0EEEvSQ_,comdat
.Lfunc_end241:
	.size	_ZN7rocprim17ROCPRIM_400000_NS6detail17trampoline_kernelINS0_14default_configENS1_27upper_bound_config_selectorIjjEEZNS1_14transform_implILb0ES3_S5_N6thrust23THRUST_200600_302600_NS17counting_iteratorIjNS8_11use_defaultESA_SA_EENS8_6detail15normal_iteratorINS8_10device_ptrIjEEEEZNS1_13binary_searchIS3_S5_SG_SB_SG_NS1_21upper_bound_search_opENSC_16wrapped_functionINS0_4lessIvEEbEEEE10hipError_tPvRmT1_T2_T3_mmT4_T5_P12ihipStream_tbEUlRKjE_EESN_SR_SS_mST_SW_bEUlT_E_NS1_11comp_targetILNS1_3genE4ELNS1_11target_archE910ELNS1_3gpuE8ELNS1_3repE0EEENS1_30default_config_static_selectorELNS0_4arch9wavefront6targetE0EEEvSQ_, .Lfunc_end241-_ZN7rocprim17ROCPRIM_400000_NS6detail17trampoline_kernelINS0_14default_configENS1_27upper_bound_config_selectorIjjEEZNS1_14transform_implILb0ES3_S5_N6thrust23THRUST_200600_302600_NS17counting_iteratorIjNS8_11use_defaultESA_SA_EENS8_6detail15normal_iteratorINS8_10device_ptrIjEEEEZNS1_13binary_searchIS3_S5_SG_SB_SG_NS1_21upper_bound_search_opENSC_16wrapped_functionINS0_4lessIvEEbEEEE10hipError_tPvRmT1_T2_T3_mmT4_T5_P12ihipStream_tbEUlRKjE_EESN_SR_SS_mST_SW_bEUlT_E_NS1_11comp_targetILNS1_3genE4ELNS1_11target_archE910ELNS1_3gpuE8ELNS1_3repE0EEENS1_30default_config_static_selectorELNS0_4arch9wavefront6targetE0EEEvSQ_
                                        ; -- End function
	.set _ZN7rocprim17ROCPRIM_400000_NS6detail17trampoline_kernelINS0_14default_configENS1_27upper_bound_config_selectorIjjEEZNS1_14transform_implILb0ES3_S5_N6thrust23THRUST_200600_302600_NS17counting_iteratorIjNS8_11use_defaultESA_SA_EENS8_6detail15normal_iteratorINS8_10device_ptrIjEEEEZNS1_13binary_searchIS3_S5_SG_SB_SG_NS1_21upper_bound_search_opENSC_16wrapped_functionINS0_4lessIvEEbEEEE10hipError_tPvRmT1_T2_T3_mmT4_T5_P12ihipStream_tbEUlRKjE_EESN_SR_SS_mST_SW_bEUlT_E_NS1_11comp_targetILNS1_3genE4ELNS1_11target_archE910ELNS1_3gpuE8ELNS1_3repE0EEENS1_30default_config_static_selectorELNS0_4arch9wavefront6targetE0EEEvSQ_.num_vgpr, 0
	.set _ZN7rocprim17ROCPRIM_400000_NS6detail17trampoline_kernelINS0_14default_configENS1_27upper_bound_config_selectorIjjEEZNS1_14transform_implILb0ES3_S5_N6thrust23THRUST_200600_302600_NS17counting_iteratorIjNS8_11use_defaultESA_SA_EENS8_6detail15normal_iteratorINS8_10device_ptrIjEEEEZNS1_13binary_searchIS3_S5_SG_SB_SG_NS1_21upper_bound_search_opENSC_16wrapped_functionINS0_4lessIvEEbEEEE10hipError_tPvRmT1_T2_T3_mmT4_T5_P12ihipStream_tbEUlRKjE_EESN_SR_SS_mST_SW_bEUlT_E_NS1_11comp_targetILNS1_3genE4ELNS1_11target_archE910ELNS1_3gpuE8ELNS1_3repE0EEENS1_30default_config_static_selectorELNS0_4arch9wavefront6targetE0EEEvSQ_.num_agpr, 0
	.set _ZN7rocprim17ROCPRIM_400000_NS6detail17trampoline_kernelINS0_14default_configENS1_27upper_bound_config_selectorIjjEEZNS1_14transform_implILb0ES3_S5_N6thrust23THRUST_200600_302600_NS17counting_iteratorIjNS8_11use_defaultESA_SA_EENS8_6detail15normal_iteratorINS8_10device_ptrIjEEEEZNS1_13binary_searchIS3_S5_SG_SB_SG_NS1_21upper_bound_search_opENSC_16wrapped_functionINS0_4lessIvEEbEEEE10hipError_tPvRmT1_T2_T3_mmT4_T5_P12ihipStream_tbEUlRKjE_EESN_SR_SS_mST_SW_bEUlT_E_NS1_11comp_targetILNS1_3genE4ELNS1_11target_archE910ELNS1_3gpuE8ELNS1_3repE0EEENS1_30default_config_static_selectorELNS0_4arch9wavefront6targetE0EEEvSQ_.numbered_sgpr, 0
	.set _ZN7rocprim17ROCPRIM_400000_NS6detail17trampoline_kernelINS0_14default_configENS1_27upper_bound_config_selectorIjjEEZNS1_14transform_implILb0ES3_S5_N6thrust23THRUST_200600_302600_NS17counting_iteratorIjNS8_11use_defaultESA_SA_EENS8_6detail15normal_iteratorINS8_10device_ptrIjEEEEZNS1_13binary_searchIS3_S5_SG_SB_SG_NS1_21upper_bound_search_opENSC_16wrapped_functionINS0_4lessIvEEbEEEE10hipError_tPvRmT1_T2_T3_mmT4_T5_P12ihipStream_tbEUlRKjE_EESN_SR_SS_mST_SW_bEUlT_E_NS1_11comp_targetILNS1_3genE4ELNS1_11target_archE910ELNS1_3gpuE8ELNS1_3repE0EEENS1_30default_config_static_selectorELNS0_4arch9wavefront6targetE0EEEvSQ_.num_named_barrier, 0
	.set _ZN7rocprim17ROCPRIM_400000_NS6detail17trampoline_kernelINS0_14default_configENS1_27upper_bound_config_selectorIjjEEZNS1_14transform_implILb0ES3_S5_N6thrust23THRUST_200600_302600_NS17counting_iteratorIjNS8_11use_defaultESA_SA_EENS8_6detail15normal_iteratorINS8_10device_ptrIjEEEEZNS1_13binary_searchIS3_S5_SG_SB_SG_NS1_21upper_bound_search_opENSC_16wrapped_functionINS0_4lessIvEEbEEEE10hipError_tPvRmT1_T2_T3_mmT4_T5_P12ihipStream_tbEUlRKjE_EESN_SR_SS_mST_SW_bEUlT_E_NS1_11comp_targetILNS1_3genE4ELNS1_11target_archE910ELNS1_3gpuE8ELNS1_3repE0EEENS1_30default_config_static_selectorELNS0_4arch9wavefront6targetE0EEEvSQ_.private_seg_size, 0
	.set _ZN7rocprim17ROCPRIM_400000_NS6detail17trampoline_kernelINS0_14default_configENS1_27upper_bound_config_selectorIjjEEZNS1_14transform_implILb0ES3_S5_N6thrust23THRUST_200600_302600_NS17counting_iteratorIjNS8_11use_defaultESA_SA_EENS8_6detail15normal_iteratorINS8_10device_ptrIjEEEEZNS1_13binary_searchIS3_S5_SG_SB_SG_NS1_21upper_bound_search_opENSC_16wrapped_functionINS0_4lessIvEEbEEEE10hipError_tPvRmT1_T2_T3_mmT4_T5_P12ihipStream_tbEUlRKjE_EESN_SR_SS_mST_SW_bEUlT_E_NS1_11comp_targetILNS1_3genE4ELNS1_11target_archE910ELNS1_3gpuE8ELNS1_3repE0EEENS1_30default_config_static_selectorELNS0_4arch9wavefront6targetE0EEEvSQ_.uses_vcc, 0
	.set _ZN7rocprim17ROCPRIM_400000_NS6detail17trampoline_kernelINS0_14default_configENS1_27upper_bound_config_selectorIjjEEZNS1_14transform_implILb0ES3_S5_N6thrust23THRUST_200600_302600_NS17counting_iteratorIjNS8_11use_defaultESA_SA_EENS8_6detail15normal_iteratorINS8_10device_ptrIjEEEEZNS1_13binary_searchIS3_S5_SG_SB_SG_NS1_21upper_bound_search_opENSC_16wrapped_functionINS0_4lessIvEEbEEEE10hipError_tPvRmT1_T2_T3_mmT4_T5_P12ihipStream_tbEUlRKjE_EESN_SR_SS_mST_SW_bEUlT_E_NS1_11comp_targetILNS1_3genE4ELNS1_11target_archE910ELNS1_3gpuE8ELNS1_3repE0EEENS1_30default_config_static_selectorELNS0_4arch9wavefront6targetE0EEEvSQ_.uses_flat_scratch, 0
	.set _ZN7rocprim17ROCPRIM_400000_NS6detail17trampoline_kernelINS0_14default_configENS1_27upper_bound_config_selectorIjjEEZNS1_14transform_implILb0ES3_S5_N6thrust23THRUST_200600_302600_NS17counting_iteratorIjNS8_11use_defaultESA_SA_EENS8_6detail15normal_iteratorINS8_10device_ptrIjEEEEZNS1_13binary_searchIS3_S5_SG_SB_SG_NS1_21upper_bound_search_opENSC_16wrapped_functionINS0_4lessIvEEbEEEE10hipError_tPvRmT1_T2_T3_mmT4_T5_P12ihipStream_tbEUlRKjE_EESN_SR_SS_mST_SW_bEUlT_E_NS1_11comp_targetILNS1_3genE4ELNS1_11target_archE910ELNS1_3gpuE8ELNS1_3repE0EEENS1_30default_config_static_selectorELNS0_4arch9wavefront6targetE0EEEvSQ_.has_dyn_sized_stack, 0
	.set _ZN7rocprim17ROCPRIM_400000_NS6detail17trampoline_kernelINS0_14default_configENS1_27upper_bound_config_selectorIjjEEZNS1_14transform_implILb0ES3_S5_N6thrust23THRUST_200600_302600_NS17counting_iteratorIjNS8_11use_defaultESA_SA_EENS8_6detail15normal_iteratorINS8_10device_ptrIjEEEEZNS1_13binary_searchIS3_S5_SG_SB_SG_NS1_21upper_bound_search_opENSC_16wrapped_functionINS0_4lessIvEEbEEEE10hipError_tPvRmT1_T2_T3_mmT4_T5_P12ihipStream_tbEUlRKjE_EESN_SR_SS_mST_SW_bEUlT_E_NS1_11comp_targetILNS1_3genE4ELNS1_11target_archE910ELNS1_3gpuE8ELNS1_3repE0EEENS1_30default_config_static_selectorELNS0_4arch9wavefront6targetE0EEEvSQ_.has_recursion, 0
	.set _ZN7rocprim17ROCPRIM_400000_NS6detail17trampoline_kernelINS0_14default_configENS1_27upper_bound_config_selectorIjjEEZNS1_14transform_implILb0ES3_S5_N6thrust23THRUST_200600_302600_NS17counting_iteratorIjNS8_11use_defaultESA_SA_EENS8_6detail15normal_iteratorINS8_10device_ptrIjEEEEZNS1_13binary_searchIS3_S5_SG_SB_SG_NS1_21upper_bound_search_opENSC_16wrapped_functionINS0_4lessIvEEbEEEE10hipError_tPvRmT1_T2_T3_mmT4_T5_P12ihipStream_tbEUlRKjE_EESN_SR_SS_mST_SW_bEUlT_E_NS1_11comp_targetILNS1_3genE4ELNS1_11target_archE910ELNS1_3gpuE8ELNS1_3repE0EEENS1_30default_config_static_selectorELNS0_4arch9wavefront6targetE0EEEvSQ_.has_indirect_call, 0
	.section	.AMDGPU.csdata,"",@progbits
; Kernel info:
; codeLenInByte = 0
; TotalNumSgprs: 0
; NumVgprs: 0
; ScratchSize: 0
; MemoryBound: 0
; FloatMode: 240
; IeeeMode: 1
; LDSByteSize: 0 bytes/workgroup (compile time only)
; SGPRBlocks: 0
; VGPRBlocks: 0
; NumSGPRsForWavesPerEU: 1
; NumVGPRsForWavesPerEU: 1
; NamedBarCnt: 0
; Occupancy: 16
; WaveLimiterHint : 0
; COMPUTE_PGM_RSRC2:SCRATCH_EN: 0
; COMPUTE_PGM_RSRC2:USER_SGPR: 2
; COMPUTE_PGM_RSRC2:TRAP_HANDLER: 0
; COMPUTE_PGM_RSRC2:TGID_X_EN: 1
; COMPUTE_PGM_RSRC2:TGID_Y_EN: 0
; COMPUTE_PGM_RSRC2:TGID_Z_EN: 0
; COMPUTE_PGM_RSRC2:TIDIG_COMP_CNT: 0
	.section	.text._ZN7rocprim17ROCPRIM_400000_NS6detail17trampoline_kernelINS0_14default_configENS1_27upper_bound_config_selectorIjjEEZNS1_14transform_implILb0ES3_S5_N6thrust23THRUST_200600_302600_NS17counting_iteratorIjNS8_11use_defaultESA_SA_EENS8_6detail15normal_iteratorINS8_10device_ptrIjEEEEZNS1_13binary_searchIS3_S5_SG_SB_SG_NS1_21upper_bound_search_opENSC_16wrapped_functionINS0_4lessIvEEbEEEE10hipError_tPvRmT1_T2_T3_mmT4_T5_P12ihipStream_tbEUlRKjE_EESN_SR_SS_mST_SW_bEUlT_E_NS1_11comp_targetILNS1_3genE3ELNS1_11target_archE908ELNS1_3gpuE7ELNS1_3repE0EEENS1_30default_config_static_selectorELNS0_4arch9wavefront6targetE0EEEvSQ_,"axG",@progbits,_ZN7rocprim17ROCPRIM_400000_NS6detail17trampoline_kernelINS0_14default_configENS1_27upper_bound_config_selectorIjjEEZNS1_14transform_implILb0ES3_S5_N6thrust23THRUST_200600_302600_NS17counting_iteratorIjNS8_11use_defaultESA_SA_EENS8_6detail15normal_iteratorINS8_10device_ptrIjEEEEZNS1_13binary_searchIS3_S5_SG_SB_SG_NS1_21upper_bound_search_opENSC_16wrapped_functionINS0_4lessIvEEbEEEE10hipError_tPvRmT1_T2_T3_mmT4_T5_P12ihipStream_tbEUlRKjE_EESN_SR_SS_mST_SW_bEUlT_E_NS1_11comp_targetILNS1_3genE3ELNS1_11target_archE908ELNS1_3gpuE7ELNS1_3repE0EEENS1_30default_config_static_selectorELNS0_4arch9wavefront6targetE0EEEvSQ_,comdat
	.protected	_ZN7rocprim17ROCPRIM_400000_NS6detail17trampoline_kernelINS0_14default_configENS1_27upper_bound_config_selectorIjjEEZNS1_14transform_implILb0ES3_S5_N6thrust23THRUST_200600_302600_NS17counting_iteratorIjNS8_11use_defaultESA_SA_EENS8_6detail15normal_iteratorINS8_10device_ptrIjEEEEZNS1_13binary_searchIS3_S5_SG_SB_SG_NS1_21upper_bound_search_opENSC_16wrapped_functionINS0_4lessIvEEbEEEE10hipError_tPvRmT1_T2_T3_mmT4_T5_P12ihipStream_tbEUlRKjE_EESN_SR_SS_mST_SW_bEUlT_E_NS1_11comp_targetILNS1_3genE3ELNS1_11target_archE908ELNS1_3gpuE7ELNS1_3repE0EEENS1_30default_config_static_selectorELNS0_4arch9wavefront6targetE0EEEvSQ_ ; -- Begin function _ZN7rocprim17ROCPRIM_400000_NS6detail17trampoline_kernelINS0_14default_configENS1_27upper_bound_config_selectorIjjEEZNS1_14transform_implILb0ES3_S5_N6thrust23THRUST_200600_302600_NS17counting_iteratorIjNS8_11use_defaultESA_SA_EENS8_6detail15normal_iteratorINS8_10device_ptrIjEEEEZNS1_13binary_searchIS3_S5_SG_SB_SG_NS1_21upper_bound_search_opENSC_16wrapped_functionINS0_4lessIvEEbEEEE10hipError_tPvRmT1_T2_T3_mmT4_T5_P12ihipStream_tbEUlRKjE_EESN_SR_SS_mST_SW_bEUlT_E_NS1_11comp_targetILNS1_3genE3ELNS1_11target_archE908ELNS1_3gpuE7ELNS1_3repE0EEENS1_30default_config_static_selectorELNS0_4arch9wavefront6targetE0EEEvSQ_
	.globl	_ZN7rocprim17ROCPRIM_400000_NS6detail17trampoline_kernelINS0_14default_configENS1_27upper_bound_config_selectorIjjEEZNS1_14transform_implILb0ES3_S5_N6thrust23THRUST_200600_302600_NS17counting_iteratorIjNS8_11use_defaultESA_SA_EENS8_6detail15normal_iteratorINS8_10device_ptrIjEEEEZNS1_13binary_searchIS3_S5_SG_SB_SG_NS1_21upper_bound_search_opENSC_16wrapped_functionINS0_4lessIvEEbEEEE10hipError_tPvRmT1_T2_T3_mmT4_T5_P12ihipStream_tbEUlRKjE_EESN_SR_SS_mST_SW_bEUlT_E_NS1_11comp_targetILNS1_3genE3ELNS1_11target_archE908ELNS1_3gpuE7ELNS1_3repE0EEENS1_30default_config_static_selectorELNS0_4arch9wavefront6targetE0EEEvSQ_
	.p2align	8
	.type	_ZN7rocprim17ROCPRIM_400000_NS6detail17trampoline_kernelINS0_14default_configENS1_27upper_bound_config_selectorIjjEEZNS1_14transform_implILb0ES3_S5_N6thrust23THRUST_200600_302600_NS17counting_iteratorIjNS8_11use_defaultESA_SA_EENS8_6detail15normal_iteratorINS8_10device_ptrIjEEEEZNS1_13binary_searchIS3_S5_SG_SB_SG_NS1_21upper_bound_search_opENSC_16wrapped_functionINS0_4lessIvEEbEEEE10hipError_tPvRmT1_T2_T3_mmT4_T5_P12ihipStream_tbEUlRKjE_EESN_SR_SS_mST_SW_bEUlT_E_NS1_11comp_targetILNS1_3genE3ELNS1_11target_archE908ELNS1_3gpuE7ELNS1_3repE0EEENS1_30default_config_static_selectorELNS0_4arch9wavefront6targetE0EEEvSQ_,@function
_ZN7rocprim17ROCPRIM_400000_NS6detail17trampoline_kernelINS0_14default_configENS1_27upper_bound_config_selectorIjjEEZNS1_14transform_implILb0ES3_S5_N6thrust23THRUST_200600_302600_NS17counting_iteratorIjNS8_11use_defaultESA_SA_EENS8_6detail15normal_iteratorINS8_10device_ptrIjEEEEZNS1_13binary_searchIS3_S5_SG_SB_SG_NS1_21upper_bound_search_opENSC_16wrapped_functionINS0_4lessIvEEbEEEE10hipError_tPvRmT1_T2_T3_mmT4_T5_P12ihipStream_tbEUlRKjE_EESN_SR_SS_mST_SW_bEUlT_E_NS1_11comp_targetILNS1_3genE3ELNS1_11target_archE908ELNS1_3gpuE7ELNS1_3repE0EEENS1_30default_config_static_selectorELNS0_4arch9wavefront6targetE0EEEvSQ_: ; @_ZN7rocprim17ROCPRIM_400000_NS6detail17trampoline_kernelINS0_14default_configENS1_27upper_bound_config_selectorIjjEEZNS1_14transform_implILb0ES3_S5_N6thrust23THRUST_200600_302600_NS17counting_iteratorIjNS8_11use_defaultESA_SA_EENS8_6detail15normal_iteratorINS8_10device_ptrIjEEEEZNS1_13binary_searchIS3_S5_SG_SB_SG_NS1_21upper_bound_search_opENSC_16wrapped_functionINS0_4lessIvEEbEEEE10hipError_tPvRmT1_T2_T3_mmT4_T5_P12ihipStream_tbEUlRKjE_EESN_SR_SS_mST_SW_bEUlT_E_NS1_11comp_targetILNS1_3genE3ELNS1_11target_archE908ELNS1_3gpuE7ELNS1_3repE0EEENS1_30default_config_static_selectorELNS0_4arch9wavefront6targetE0EEEvSQ_
; %bb.0:
	.section	.rodata,"a",@progbits
	.p2align	6, 0x0
	.amdhsa_kernel _ZN7rocprim17ROCPRIM_400000_NS6detail17trampoline_kernelINS0_14default_configENS1_27upper_bound_config_selectorIjjEEZNS1_14transform_implILb0ES3_S5_N6thrust23THRUST_200600_302600_NS17counting_iteratorIjNS8_11use_defaultESA_SA_EENS8_6detail15normal_iteratorINS8_10device_ptrIjEEEEZNS1_13binary_searchIS3_S5_SG_SB_SG_NS1_21upper_bound_search_opENSC_16wrapped_functionINS0_4lessIvEEbEEEE10hipError_tPvRmT1_T2_T3_mmT4_T5_P12ihipStream_tbEUlRKjE_EESN_SR_SS_mST_SW_bEUlT_E_NS1_11comp_targetILNS1_3genE3ELNS1_11target_archE908ELNS1_3gpuE7ELNS1_3repE0EEENS1_30default_config_static_selectorELNS0_4arch9wavefront6targetE0EEEvSQ_
		.amdhsa_group_segment_fixed_size 0
		.amdhsa_private_segment_fixed_size 0
		.amdhsa_kernarg_size 56
		.amdhsa_user_sgpr_count 2
		.amdhsa_user_sgpr_dispatch_ptr 0
		.amdhsa_user_sgpr_queue_ptr 0
		.amdhsa_user_sgpr_kernarg_segment_ptr 1
		.amdhsa_user_sgpr_dispatch_id 0
		.amdhsa_user_sgpr_kernarg_preload_length 0
		.amdhsa_user_sgpr_kernarg_preload_offset 0
		.amdhsa_user_sgpr_private_segment_size 0
		.amdhsa_wavefront_size32 1
		.amdhsa_uses_dynamic_stack 0
		.amdhsa_enable_private_segment 0
		.amdhsa_system_sgpr_workgroup_id_x 1
		.amdhsa_system_sgpr_workgroup_id_y 0
		.amdhsa_system_sgpr_workgroup_id_z 0
		.amdhsa_system_sgpr_workgroup_info 0
		.amdhsa_system_vgpr_workitem_id 0
		.amdhsa_next_free_vgpr 1
		.amdhsa_next_free_sgpr 1
		.amdhsa_named_barrier_count 0
		.amdhsa_reserve_vcc 0
		.amdhsa_float_round_mode_32 0
		.amdhsa_float_round_mode_16_64 0
		.amdhsa_float_denorm_mode_32 3
		.amdhsa_float_denorm_mode_16_64 3
		.amdhsa_fp16_overflow 0
		.amdhsa_memory_ordered 1
		.amdhsa_forward_progress 1
		.amdhsa_inst_pref_size 0
		.amdhsa_round_robin_scheduling 0
		.amdhsa_exception_fp_ieee_invalid_op 0
		.amdhsa_exception_fp_denorm_src 0
		.amdhsa_exception_fp_ieee_div_zero 0
		.amdhsa_exception_fp_ieee_overflow 0
		.amdhsa_exception_fp_ieee_underflow 0
		.amdhsa_exception_fp_ieee_inexact 0
		.amdhsa_exception_int_div_zero 0
	.end_amdhsa_kernel
	.section	.text._ZN7rocprim17ROCPRIM_400000_NS6detail17trampoline_kernelINS0_14default_configENS1_27upper_bound_config_selectorIjjEEZNS1_14transform_implILb0ES3_S5_N6thrust23THRUST_200600_302600_NS17counting_iteratorIjNS8_11use_defaultESA_SA_EENS8_6detail15normal_iteratorINS8_10device_ptrIjEEEEZNS1_13binary_searchIS3_S5_SG_SB_SG_NS1_21upper_bound_search_opENSC_16wrapped_functionINS0_4lessIvEEbEEEE10hipError_tPvRmT1_T2_T3_mmT4_T5_P12ihipStream_tbEUlRKjE_EESN_SR_SS_mST_SW_bEUlT_E_NS1_11comp_targetILNS1_3genE3ELNS1_11target_archE908ELNS1_3gpuE7ELNS1_3repE0EEENS1_30default_config_static_selectorELNS0_4arch9wavefront6targetE0EEEvSQ_,"axG",@progbits,_ZN7rocprim17ROCPRIM_400000_NS6detail17trampoline_kernelINS0_14default_configENS1_27upper_bound_config_selectorIjjEEZNS1_14transform_implILb0ES3_S5_N6thrust23THRUST_200600_302600_NS17counting_iteratorIjNS8_11use_defaultESA_SA_EENS8_6detail15normal_iteratorINS8_10device_ptrIjEEEEZNS1_13binary_searchIS3_S5_SG_SB_SG_NS1_21upper_bound_search_opENSC_16wrapped_functionINS0_4lessIvEEbEEEE10hipError_tPvRmT1_T2_T3_mmT4_T5_P12ihipStream_tbEUlRKjE_EESN_SR_SS_mST_SW_bEUlT_E_NS1_11comp_targetILNS1_3genE3ELNS1_11target_archE908ELNS1_3gpuE7ELNS1_3repE0EEENS1_30default_config_static_selectorELNS0_4arch9wavefront6targetE0EEEvSQ_,comdat
.Lfunc_end242:
	.size	_ZN7rocprim17ROCPRIM_400000_NS6detail17trampoline_kernelINS0_14default_configENS1_27upper_bound_config_selectorIjjEEZNS1_14transform_implILb0ES3_S5_N6thrust23THRUST_200600_302600_NS17counting_iteratorIjNS8_11use_defaultESA_SA_EENS8_6detail15normal_iteratorINS8_10device_ptrIjEEEEZNS1_13binary_searchIS3_S5_SG_SB_SG_NS1_21upper_bound_search_opENSC_16wrapped_functionINS0_4lessIvEEbEEEE10hipError_tPvRmT1_T2_T3_mmT4_T5_P12ihipStream_tbEUlRKjE_EESN_SR_SS_mST_SW_bEUlT_E_NS1_11comp_targetILNS1_3genE3ELNS1_11target_archE908ELNS1_3gpuE7ELNS1_3repE0EEENS1_30default_config_static_selectorELNS0_4arch9wavefront6targetE0EEEvSQ_, .Lfunc_end242-_ZN7rocprim17ROCPRIM_400000_NS6detail17trampoline_kernelINS0_14default_configENS1_27upper_bound_config_selectorIjjEEZNS1_14transform_implILb0ES3_S5_N6thrust23THRUST_200600_302600_NS17counting_iteratorIjNS8_11use_defaultESA_SA_EENS8_6detail15normal_iteratorINS8_10device_ptrIjEEEEZNS1_13binary_searchIS3_S5_SG_SB_SG_NS1_21upper_bound_search_opENSC_16wrapped_functionINS0_4lessIvEEbEEEE10hipError_tPvRmT1_T2_T3_mmT4_T5_P12ihipStream_tbEUlRKjE_EESN_SR_SS_mST_SW_bEUlT_E_NS1_11comp_targetILNS1_3genE3ELNS1_11target_archE908ELNS1_3gpuE7ELNS1_3repE0EEENS1_30default_config_static_selectorELNS0_4arch9wavefront6targetE0EEEvSQ_
                                        ; -- End function
	.set _ZN7rocprim17ROCPRIM_400000_NS6detail17trampoline_kernelINS0_14default_configENS1_27upper_bound_config_selectorIjjEEZNS1_14transform_implILb0ES3_S5_N6thrust23THRUST_200600_302600_NS17counting_iteratorIjNS8_11use_defaultESA_SA_EENS8_6detail15normal_iteratorINS8_10device_ptrIjEEEEZNS1_13binary_searchIS3_S5_SG_SB_SG_NS1_21upper_bound_search_opENSC_16wrapped_functionINS0_4lessIvEEbEEEE10hipError_tPvRmT1_T2_T3_mmT4_T5_P12ihipStream_tbEUlRKjE_EESN_SR_SS_mST_SW_bEUlT_E_NS1_11comp_targetILNS1_3genE3ELNS1_11target_archE908ELNS1_3gpuE7ELNS1_3repE0EEENS1_30default_config_static_selectorELNS0_4arch9wavefront6targetE0EEEvSQ_.num_vgpr, 0
	.set _ZN7rocprim17ROCPRIM_400000_NS6detail17trampoline_kernelINS0_14default_configENS1_27upper_bound_config_selectorIjjEEZNS1_14transform_implILb0ES3_S5_N6thrust23THRUST_200600_302600_NS17counting_iteratorIjNS8_11use_defaultESA_SA_EENS8_6detail15normal_iteratorINS8_10device_ptrIjEEEEZNS1_13binary_searchIS3_S5_SG_SB_SG_NS1_21upper_bound_search_opENSC_16wrapped_functionINS0_4lessIvEEbEEEE10hipError_tPvRmT1_T2_T3_mmT4_T5_P12ihipStream_tbEUlRKjE_EESN_SR_SS_mST_SW_bEUlT_E_NS1_11comp_targetILNS1_3genE3ELNS1_11target_archE908ELNS1_3gpuE7ELNS1_3repE0EEENS1_30default_config_static_selectorELNS0_4arch9wavefront6targetE0EEEvSQ_.num_agpr, 0
	.set _ZN7rocprim17ROCPRIM_400000_NS6detail17trampoline_kernelINS0_14default_configENS1_27upper_bound_config_selectorIjjEEZNS1_14transform_implILb0ES3_S5_N6thrust23THRUST_200600_302600_NS17counting_iteratorIjNS8_11use_defaultESA_SA_EENS8_6detail15normal_iteratorINS8_10device_ptrIjEEEEZNS1_13binary_searchIS3_S5_SG_SB_SG_NS1_21upper_bound_search_opENSC_16wrapped_functionINS0_4lessIvEEbEEEE10hipError_tPvRmT1_T2_T3_mmT4_T5_P12ihipStream_tbEUlRKjE_EESN_SR_SS_mST_SW_bEUlT_E_NS1_11comp_targetILNS1_3genE3ELNS1_11target_archE908ELNS1_3gpuE7ELNS1_3repE0EEENS1_30default_config_static_selectorELNS0_4arch9wavefront6targetE0EEEvSQ_.numbered_sgpr, 0
	.set _ZN7rocprim17ROCPRIM_400000_NS6detail17trampoline_kernelINS0_14default_configENS1_27upper_bound_config_selectorIjjEEZNS1_14transform_implILb0ES3_S5_N6thrust23THRUST_200600_302600_NS17counting_iteratorIjNS8_11use_defaultESA_SA_EENS8_6detail15normal_iteratorINS8_10device_ptrIjEEEEZNS1_13binary_searchIS3_S5_SG_SB_SG_NS1_21upper_bound_search_opENSC_16wrapped_functionINS0_4lessIvEEbEEEE10hipError_tPvRmT1_T2_T3_mmT4_T5_P12ihipStream_tbEUlRKjE_EESN_SR_SS_mST_SW_bEUlT_E_NS1_11comp_targetILNS1_3genE3ELNS1_11target_archE908ELNS1_3gpuE7ELNS1_3repE0EEENS1_30default_config_static_selectorELNS0_4arch9wavefront6targetE0EEEvSQ_.num_named_barrier, 0
	.set _ZN7rocprim17ROCPRIM_400000_NS6detail17trampoline_kernelINS0_14default_configENS1_27upper_bound_config_selectorIjjEEZNS1_14transform_implILb0ES3_S5_N6thrust23THRUST_200600_302600_NS17counting_iteratorIjNS8_11use_defaultESA_SA_EENS8_6detail15normal_iteratorINS8_10device_ptrIjEEEEZNS1_13binary_searchIS3_S5_SG_SB_SG_NS1_21upper_bound_search_opENSC_16wrapped_functionINS0_4lessIvEEbEEEE10hipError_tPvRmT1_T2_T3_mmT4_T5_P12ihipStream_tbEUlRKjE_EESN_SR_SS_mST_SW_bEUlT_E_NS1_11comp_targetILNS1_3genE3ELNS1_11target_archE908ELNS1_3gpuE7ELNS1_3repE0EEENS1_30default_config_static_selectorELNS0_4arch9wavefront6targetE0EEEvSQ_.private_seg_size, 0
	.set _ZN7rocprim17ROCPRIM_400000_NS6detail17trampoline_kernelINS0_14default_configENS1_27upper_bound_config_selectorIjjEEZNS1_14transform_implILb0ES3_S5_N6thrust23THRUST_200600_302600_NS17counting_iteratorIjNS8_11use_defaultESA_SA_EENS8_6detail15normal_iteratorINS8_10device_ptrIjEEEEZNS1_13binary_searchIS3_S5_SG_SB_SG_NS1_21upper_bound_search_opENSC_16wrapped_functionINS0_4lessIvEEbEEEE10hipError_tPvRmT1_T2_T3_mmT4_T5_P12ihipStream_tbEUlRKjE_EESN_SR_SS_mST_SW_bEUlT_E_NS1_11comp_targetILNS1_3genE3ELNS1_11target_archE908ELNS1_3gpuE7ELNS1_3repE0EEENS1_30default_config_static_selectorELNS0_4arch9wavefront6targetE0EEEvSQ_.uses_vcc, 0
	.set _ZN7rocprim17ROCPRIM_400000_NS6detail17trampoline_kernelINS0_14default_configENS1_27upper_bound_config_selectorIjjEEZNS1_14transform_implILb0ES3_S5_N6thrust23THRUST_200600_302600_NS17counting_iteratorIjNS8_11use_defaultESA_SA_EENS8_6detail15normal_iteratorINS8_10device_ptrIjEEEEZNS1_13binary_searchIS3_S5_SG_SB_SG_NS1_21upper_bound_search_opENSC_16wrapped_functionINS0_4lessIvEEbEEEE10hipError_tPvRmT1_T2_T3_mmT4_T5_P12ihipStream_tbEUlRKjE_EESN_SR_SS_mST_SW_bEUlT_E_NS1_11comp_targetILNS1_3genE3ELNS1_11target_archE908ELNS1_3gpuE7ELNS1_3repE0EEENS1_30default_config_static_selectorELNS0_4arch9wavefront6targetE0EEEvSQ_.uses_flat_scratch, 0
	.set _ZN7rocprim17ROCPRIM_400000_NS6detail17trampoline_kernelINS0_14default_configENS1_27upper_bound_config_selectorIjjEEZNS1_14transform_implILb0ES3_S5_N6thrust23THRUST_200600_302600_NS17counting_iteratorIjNS8_11use_defaultESA_SA_EENS8_6detail15normal_iteratorINS8_10device_ptrIjEEEEZNS1_13binary_searchIS3_S5_SG_SB_SG_NS1_21upper_bound_search_opENSC_16wrapped_functionINS0_4lessIvEEbEEEE10hipError_tPvRmT1_T2_T3_mmT4_T5_P12ihipStream_tbEUlRKjE_EESN_SR_SS_mST_SW_bEUlT_E_NS1_11comp_targetILNS1_3genE3ELNS1_11target_archE908ELNS1_3gpuE7ELNS1_3repE0EEENS1_30default_config_static_selectorELNS0_4arch9wavefront6targetE0EEEvSQ_.has_dyn_sized_stack, 0
	.set _ZN7rocprim17ROCPRIM_400000_NS6detail17trampoline_kernelINS0_14default_configENS1_27upper_bound_config_selectorIjjEEZNS1_14transform_implILb0ES3_S5_N6thrust23THRUST_200600_302600_NS17counting_iteratorIjNS8_11use_defaultESA_SA_EENS8_6detail15normal_iteratorINS8_10device_ptrIjEEEEZNS1_13binary_searchIS3_S5_SG_SB_SG_NS1_21upper_bound_search_opENSC_16wrapped_functionINS0_4lessIvEEbEEEE10hipError_tPvRmT1_T2_T3_mmT4_T5_P12ihipStream_tbEUlRKjE_EESN_SR_SS_mST_SW_bEUlT_E_NS1_11comp_targetILNS1_3genE3ELNS1_11target_archE908ELNS1_3gpuE7ELNS1_3repE0EEENS1_30default_config_static_selectorELNS0_4arch9wavefront6targetE0EEEvSQ_.has_recursion, 0
	.set _ZN7rocprim17ROCPRIM_400000_NS6detail17trampoline_kernelINS0_14default_configENS1_27upper_bound_config_selectorIjjEEZNS1_14transform_implILb0ES3_S5_N6thrust23THRUST_200600_302600_NS17counting_iteratorIjNS8_11use_defaultESA_SA_EENS8_6detail15normal_iteratorINS8_10device_ptrIjEEEEZNS1_13binary_searchIS3_S5_SG_SB_SG_NS1_21upper_bound_search_opENSC_16wrapped_functionINS0_4lessIvEEbEEEE10hipError_tPvRmT1_T2_T3_mmT4_T5_P12ihipStream_tbEUlRKjE_EESN_SR_SS_mST_SW_bEUlT_E_NS1_11comp_targetILNS1_3genE3ELNS1_11target_archE908ELNS1_3gpuE7ELNS1_3repE0EEENS1_30default_config_static_selectorELNS0_4arch9wavefront6targetE0EEEvSQ_.has_indirect_call, 0
	.section	.AMDGPU.csdata,"",@progbits
; Kernel info:
; codeLenInByte = 0
; TotalNumSgprs: 0
; NumVgprs: 0
; ScratchSize: 0
; MemoryBound: 0
; FloatMode: 240
; IeeeMode: 1
; LDSByteSize: 0 bytes/workgroup (compile time only)
; SGPRBlocks: 0
; VGPRBlocks: 0
; NumSGPRsForWavesPerEU: 1
; NumVGPRsForWavesPerEU: 1
; NamedBarCnt: 0
; Occupancy: 16
; WaveLimiterHint : 0
; COMPUTE_PGM_RSRC2:SCRATCH_EN: 0
; COMPUTE_PGM_RSRC2:USER_SGPR: 2
; COMPUTE_PGM_RSRC2:TRAP_HANDLER: 0
; COMPUTE_PGM_RSRC2:TGID_X_EN: 1
; COMPUTE_PGM_RSRC2:TGID_Y_EN: 0
; COMPUTE_PGM_RSRC2:TGID_Z_EN: 0
; COMPUTE_PGM_RSRC2:TIDIG_COMP_CNT: 0
	.section	.text._ZN7rocprim17ROCPRIM_400000_NS6detail17trampoline_kernelINS0_14default_configENS1_27upper_bound_config_selectorIjjEEZNS1_14transform_implILb0ES3_S5_N6thrust23THRUST_200600_302600_NS17counting_iteratorIjNS8_11use_defaultESA_SA_EENS8_6detail15normal_iteratorINS8_10device_ptrIjEEEEZNS1_13binary_searchIS3_S5_SG_SB_SG_NS1_21upper_bound_search_opENSC_16wrapped_functionINS0_4lessIvEEbEEEE10hipError_tPvRmT1_T2_T3_mmT4_T5_P12ihipStream_tbEUlRKjE_EESN_SR_SS_mST_SW_bEUlT_E_NS1_11comp_targetILNS1_3genE2ELNS1_11target_archE906ELNS1_3gpuE6ELNS1_3repE0EEENS1_30default_config_static_selectorELNS0_4arch9wavefront6targetE0EEEvSQ_,"axG",@progbits,_ZN7rocprim17ROCPRIM_400000_NS6detail17trampoline_kernelINS0_14default_configENS1_27upper_bound_config_selectorIjjEEZNS1_14transform_implILb0ES3_S5_N6thrust23THRUST_200600_302600_NS17counting_iteratorIjNS8_11use_defaultESA_SA_EENS8_6detail15normal_iteratorINS8_10device_ptrIjEEEEZNS1_13binary_searchIS3_S5_SG_SB_SG_NS1_21upper_bound_search_opENSC_16wrapped_functionINS0_4lessIvEEbEEEE10hipError_tPvRmT1_T2_T3_mmT4_T5_P12ihipStream_tbEUlRKjE_EESN_SR_SS_mST_SW_bEUlT_E_NS1_11comp_targetILNS1_3genE2ELNS1_11target_archE906ELNS1_3gpuE6ELNS1_3repE0EEENS1_30default_config_static_selectorELNS0_4arch9wavefront6targetE0EEEvSQ_,comdat
	.protected	_ZN7rocprim17ROCPRIM_400000_NS6detail17trampoline_kernelINS0_14default_configENS1_27upper_bound_config_selectorIjjEEZNS1_14transform_implILb0ES3_S5_N6thrust23THRUST_200600_302600_NS17counting_iteratorIjNS8_11use_defaultESA_SA_EENS8_6detail15normal_iteratorINS8_10device_ptrIjEEEEZNS1_13binary_searchIS3_S5_SG_SB_SG_NS1_21upper_bound_search_opENSC_16wrapped_functionINS0_4lessIvEEbEEEE10hipError_tPvRmT1_T2_T3_mmT4_T5_P12ihipStream_tbEUlRKjE_EESN_SR_SS_mST_SW_bEUlT_E_NS1_11comp_targetILNS1_3genE2ELNS1_11target_archE906ELNS1_3gpuE6ELNS1_3repE0EEENS1_30default_config_static_selectorELNS0_4arch9wavefront6targetE0EEEvSQ_ ; -- Begin function _ZN7rocprim17ROCPRIM_400000_NS6detail17trampoline_kernelINS0_14default_configENS1_27upper_bound_config_selectorIjjEEZNS1_14transform_implILb0ES3_S5_N6thrust23THRUST_200600_302600_NS17counting_iteratorIjNS8_11use_defaultESA_SA_EENS8_6detail15normal_iteratorINS8_10device_ptrIjEEEEZNS1_13binary_searchIS3_S5_SG_SB_SG_NS1_21upper_bound_search_opENSC_16wrapped_functionINS0_4lessIvEEbEEEE10hipError_tPvRmT1_T2_T3_mmT4_T5_P12ihipStream_tbEUlRKjE_EESN_SR_SS_mST_SW_bEUlT_E_NS1_11comp_targetILNS1_3genE2ELNS1_11target_archE906ELNS1_3gpuE6ELNS1_3repE0EEENS1_30default_config_static_selectorELNS0_4arch9wavefront6targetE0EEEvSQ_
	.globl	_ZN7rocprim17ROCPRIM_400000_NS6detail17trampoline_kernelINS0_14default_configENS1_27upper_bound_config_selectorIjjEEZNS1_14transform_implILb0ES3_S5_N6thrust23THRUST_200600_302600_NS17counting_iteratorIjNS8_11use_defaultESA_SA_EENS8_6detail15normal_iteratorINS8_10device_ptrIjEEEEZNS1_13binary_searchIS3_S5_SG_SB_SG_NS1_21upper_bound_search_opENSC_16wrapped_functionINS0_4lessIvEEbEEEE10hipError_tPvRmT1_T2_T3_mmT4_T5_P12ihipStream_tbEUlRKjE_EESN_SR_SS_mST_SW_bEUlT_E_NS1_11comp_targetILNS1_3genE2ELNS1_11target_archE906ELNS1_3gpuE6ELNS1_3repE0EEENS1_30default_config_static_selectorELNS0_4arch9wavefront6targetE0EEEvSQ_
	.p2align	8
	.type	_ZN7rocprim17ROCPRIM_400000_NS6detail17trampoline_kernelINS0_14default_configENS1_27upper_bound_config_selectorIjjEEZNS1_14transform_implILb0ES3_S5_N6thrust23THRUST_200600_302600_NS17counting_iteratorIjNS8_11use_defaultESA_SA_EENS8_6detail15normal_iteratorINS8_10device_ptrIjEEEEZNS1_13binary_searchIS3_S5_SG_SB_SG_NS1_21upper_bound_search_opENSC_16wrapped_functionINS0_4lessIvEEbEEEE10hipError_tPvRmT1_T2_T3_mmT4_T5_P12ihipStream_tbEUlRKjE_EESN_SR_SS_mST_SW_bEUlT_E_NS1_11comp_targetILNS1_3genE2ELNS1_11target_archE906ELNS1_3gpuE6ELNS1_3repE0EEENS1_30default_config_static_selectorELNS0_4arch9wavefront6targetE0EEEvSQ_,@function
_ZN7rocprim17ROCPRIM_400000_NS6detail17trampoline_kernelINS0_14default_configENS1_27upper_bound_config_selectorIjjEEZNS1_14transform_implILb0ES3_S5_N6thrust23THRUST_200600_302600_NS17counting_iteratorIjNS8_11use_defaultESA_SA_EENS8_6detail15normal_iteratorINS8_10device_ptrIjEEEEZNS1_13binary_searchIS3_S5_SG_SB_SG_NS1_21upper_bound_search_opENSC_16wrapped_functionINS0_4lessIvEEbEEEE10hipError_tPvRmT1_T2_T3_mmT4_T5_P12ihipStream_tbEUlRKjE_EESN_SR_SS_mST_SW_bEUlT_E_NS1_11comp_targetILNS1_3genE2ELNS1_11target_archE906ELNS1_3gpuE6ELNS1_3repE0EEENS1_30default_config_static_selectorELNS0_4arch9wavefront6targetE0EEEvSQ_: ; @_ZN7rocprim17ROCPRIM_400000_NS6detail17trampoline_kernelINS0_14default_configENS1_27upper_bound_config_selectorIjjEEZNS1_14transform_implILb0ES3_S5_N6thrust23THRUST_200600_302600_NS17counting_iteratorIjNS8_11use_defaultESA_SA_EENS8_6detail15normal_iteratorINS8_10device_ptrIjEEEEZNS1_13binary_searchIS3_S5_SG_SB_SG_NS1_21upper_bound_search_opENSC_16wrapped_functionINS0_4lessIvEEbEEEE10hipError_tPvRmT1_T2_T3_mmT4_T5_P12ihipStream_tbEUlRKjE_EESN_SR_SS_mST_SW_bEUlT_E_NS1_11comp_targetILNS1_3genE2ELNS1_11target_archE906ELNS1_3gpuE6ELNS1_3repE0EEENS1_30default_config_static_selectorELNS0_4arch9wavefront6targetE0EEEvSQ_
; %bb.0:
	.section	.rodata,"a",@progbits
	.p2align	6, 0x0
	.amdhsa_kernel _ZN7rocprim17ROCPRIM_400000_NS6detail17trampoline_kernelINS0_14default_configENS1_27upper_bound_config_selectorIjjEEZNS1_14transform_implILb0ES3_S5_N6thrust23THRUST_200600_302600_NS17counting_iteratorIjNS8_11use_defaultESA_SA_EENS8_6detail15normal_iteratorINS8_10device_ptrIjEEEEZNS1_13binary_searchIS3_S5_SG_SB_SG_NS1_21upper_bound_search_opENSC_16wrapped_functionINS0_4lessIvEEbEEEE10hipError_tPvRmT1_T2_T3_mmT4_T5_P12ihipStream_tbEUlRKjE_EESN_SR_SS_mST_SW_bEUlT_E_NS1_11comp_targetILNS1_3genE2ELNS1_11target_archE906ELNS1_3gpuE6ELNS1_3repE0EEENS1_30default_config_static_selectorELNS0_4arch9wavefront6targetE0EEEvSQ_
		.amdhsa_group_segment_fixed_size 0
		.amdhsa_private_segment_fixed_size 0
		.amdhsa_kernarg_size 56
		.amdhsa_user_sgpr_count 2
		.amdhsa_user_sgpr_dispatch_ptr 0
		.amdhsa_user_sgpr_queue_ptr 0
		.amdhsa_user_sgpr_kernarg_segment_ptr 1
		.amdhsa_user_sgpr_dispatch_id 0
		.amdhsa_user_sgpr_kernarg_preload_length 0
		.amdhsa_user_sgpr_kernarg_preload_offset 0
		.amdhsa_user_sgpr_private_segment_size 0
		.amdhsa_wavefront_size32 1
		.amdhsa_uses_dynamic_stack 0
		.amdhsa_enable_private_segment 0
		.amdhsa_system_sgpr_workgroup_id_x 1
		.amdhsa_system_sgpr_workgroup_id_y 0
		.amdhsa_system_sgpr_workgroup_id_z 0
		.amdhsa_system_sgpr_workgroup_info 0
		.amdhsa_system_vgpr_workitem_id 0
		.amdhsa_next_free_vgpr 1
		.amdhsa_next_free_sgpr 1
		.amdhsa_named_barrier_count 0
		.amdhsa_reserve_vcc 0
		.amdhsa_float_round_mode_32 0
		.amdhsa_float_round_mode_16_64 0
		.amdhsa_float_denorm_mode_32 3
		.amdhsa_float_denorm_mode_16_64 3
		.amdhsa_fp16_overflow 0
		.amdhsa_memory_ordered 1
		.amdhsa_forward_progress 1
		.amdhsa_inst_pref_size 0
		.amdhsa_round_robin_scheduling 0
		.amdhsa_exception_fp_ieee_invalid_op 0
		.amdhsa_exception_fp_denorm_src 0
		.amdhsa_exception_fp_ieee_div_zero 0
		.amdhsa_exception_fp_ieee_overflow 0
		.amdhsa_exception_fp_ieee_underflow 0
		.amdhsa_exception_fp_ieee_inexact 0
		.amdhsa_exception_int_div_zero 0
	.end_amdhsa_kernel
	.section	.text._ZN7rocprim17ROCPRIM_400000_NS6detail17trampoline_kernelINS0_14default_configENS1_27upper_bound_config_selectorIjjEEZNS1_14transform_implILb0ES3_S5_N6thrust23THRUST_200600_302600_NS17counting_iteratorIjNS8_11use_defaultESA_SA_EENS8_6detail15normal_iteratorINS8_10device_ptrIjEEEEZNS1_13binary_searchIS3_S5_SG_SB_SG_NS1_21upper_bound_search_opENSC_16wrapped_functionINS0_4lessIvEEbEEEE10hipError_tPvRmT1_T2_T3_mmT4_T5_P12ihipStream_tbEUlRKjE_EESN_SR_SS_mST_SW_bEUlT_E_NS1_11comp_targetILNS1_3genE2ELNS1_11target_archE906ELNS1_3gpuE6ELNS1_3repE0EEENS1_30default_config_static_selectorELNS0_4arch9wavefront6targetE0EEEvSQ_,"axG",@progbits,_ZN7rocprim17ROCPRIM_400000_NS6detail17trampoline_kernelINS0_14default_configENS1_27upper_bound_config_selectorIjjEEZNS1_14transform_implILb0ES3_S5_N6thrust23THRUST_200600_302600_NS17counting_iteratorIjNS8_11use_defaultESA_SA_EENS8_6detail15normal_iteratorINS8_10device_ptrIjEEEEZNS1_13binary_searchIS3_S5_SG_SB_SG_NS1_21upper_bound_search_opENSC_16wrapped_functionINS0_4lessIvEEbEEEE10hipError_tPvRmT1_T2_T3_mmT4_T5_P12ihipStream_tbEUlRKjE_EESN_SR_SS_mST_SW_bEUlT_E_NS1_11comp_targetILNS1_3genE2ELNS1_11target_archE906ELNS1_3gpuE6ELNS1_3repE0EEENS1_30default_config_static_selectorELNS0_4arch9wavefront6targetE0EEEvSQ_,comdat
.Lfunc_end243:
	.size	_ZN7rocprim17ROCPRIM_400000_NS6detail17trampoline_kernelINS0_14default_configENS1_27upper_bound_config_selectorIjjEEZNS1_14transform_implILb0ES3_S5_N6thrust23THRUST_200600_302600_NS17counting_iteratorIjNS8_11use_defaultESA_SA_EENS8_6detail15normal_iteratorINS8_10device_ptrIjEEEEZNS1_13binary_searchIS3_S5_SG_SB_SG_NS1_21upper_bound_search_opENSC_16wrapped_functionINS0_4lessIvEEbEEEE10hipError_tPvRmT1_T2_T3_mmT4_T5_P12ihipStream_tbEUlRKjE_EESN_SR_SS_mST_SW_bEUlT_E_NS1_11comp_targetILNS1_3genE2ELNS1_11target_archE906ELNS1_3gpuE6ELNS1_3repE0EEENS1_30default_config_static_selectorELNS0_4arch9wavefront6targetE0EEEvSQ_, .Lfunc_end243-_ZN7rocprim17ROCPRIM_400000_NS6detail17trampoline_kernelINS0_14default_configENS1_27upper_bound_config_selectorIjjEEZNS1_14transform_implILb0ES3_S5_N6thrust23THRUST_200600_302600_NS17counting_iteratorIjNS8_11use_defaultESA_SA_EENS8_6detail15normal_iteratorINS8_10device_ptrIjEEEEZNS1_13binary_searchIS3_S5_SG_SB_SG_NS1_21upper_bound_search_opENSC_16wrapped_functionINS0_4lessIvEEbEEEE10hipError_tPvRmT1_T2_T3_mmT4_T5_P12ihipStream_tbEUlRKjE_EESN_SR_SS_mST_SW_bEUlT_E_NS1_11comp_targetILNS1_3genE2ELNS1_11target_archE906ELNS1_3gpuE6ELNS1_3repE0EEENS1_30default_config_static_selectorELNS0_4arch9wavefront6targetE0EEEvSQ_
                                        ; -- End function
	.set _ZN7rocprim17ROCPRIM_400000_NS6detail17trampoline_kernelINS0_14default_configENS1_27upper_bound_config_selectorIjjEEZNS1_14transform_implILb0ES3_S5_N6thrust23THRUST_200600_302600_NS17counting_iteratorIjNS8_11use_defaultESA_SA_EENS8_6detail15normal_iteratorINS8_10device_ptrIjEEEEZNS1_13binary_searchIS3_S5_SG_SB_SG_NS1_21upper_bound_search_opENSC_16wrapped_functionINS0_4lessIvEEbEEEE10hipError_tPvRmT1_T2_T3_mmT4_T5_P12ihipStream_tbEUlRKjE_EESN_SR_SS_mST_SW_bEUlT_E_NS1_11comp_targetILNS1_3genE2ELNS1_11target_archE906ELNS1_3gpuE6ELNS1_3repE0EEENS1_30default_config_static_selectorELNS0_4arch9wavefront6targetE0EEEvSQ_.num_vgpr, 0
	.set _ZN7rocprim17ROCPRIM_400000_NS6detail17trampoline_kernelINS0_14default_configENS1_27upper_bound_config_selectorIjjEEZNS1_14transform_implILb0ES3_S5_N6thrust23THRUST_200600_302600_NS17counting_iteratorIjNS8_11use_defaultESA_SA_EENS8_6detail15normal_iteratorINS8_10device_ptrIjEEEEZNS1_13binary_searchIS3_S5_SG_SB_SG_NS1_21upper_bound_search_opENSC_16wrapped_functionINS0_4lessIvEEbEEEE10hipError_tPvRmT1_T2_T3_mmT4_T5_P12ihipStream_tbEUlRKjE_EESN_SR_SS_mST_SW_bEUlT_E_NS1_11comp_targetILNS1_3genE2ELNS1_11target_archE906ELNS1_3gpuE6ELNS1_3repE0EEENS1_30default_config_static_selectorELNS0_4arch9wavefront6targetE0EEEvSQ_.num_agpr, 0
	.set _ZN7rocprim17ROCPRIM_400000_NS6detail17trampoline_kernelINS0_14default_configENS1_27upper_bound_config_selectorIjjEEZNS1_14transform_implILb0ES3_S5_N6thrust23THRUST_200600_302600_NS17counting_iteratorIjNS8_11use_defaultESA_SA_EENS8_6detail15normal_iteratorINS8_10device_ptrIjEEEEZNS1_13binary_searchIS3_S5_SG_SB_SG_NS1_21upper_bound_search_opENSC_16wrapped_functionINS0_4lessIvEEbEEEE10hipError_tPvRmT1_T2_T3_mmT4_T5_P12ihipStream_tbEUlRKjE_EESN_SR_SS_mST_SW_bEUlT_E_NS1_11comp_targetILNS1_3genE2ELNS1_11target_archE906ELNS1_3gpuE6ELNS1_3repE0EEENS1_30default_config_static_selectorELNS0_4arch9wavefront6targetE0EEEvSQ_.numbered_sgpr, 0
	.set _ZN7rocprim17ROCPRIM_400000_NS6detail17trampoline_kernelINS0_14default_configENS1_27upper_bound_config_selectorIjjEEZNS1_14transform_implILb0ES3_S5_N6thrust23THRUST_200600_302600_NS17counting_iteratorIjNS8_11use_defaultESA_SA_EENS8_6detail15normal_iteratorINS8_10device_ptrIjEEEEZNS1_13binary_searchIS3_S5_SG_SB_SG_NS1_21upper_bound_search_opENSC_16wrapped_functionINS0_4lessIvEEbEEEE10hipError_tPvRmT1_T2_T3_mmT4_T5_P12ihipStream_tbEUlRKjE_EESN_SR_SS_mST_SW_bEUlT_E_NS1_11comp_targetILNS1_3genE2ELNS1_11target_archE906ELNS1_3gpuE6ELNS1_3repE0EEENS1_30default_config_static_selectorELNS0_4arch9wavefront6targetE0EEEvSQ_.num_named_barrier, 0
	.set _ZN7rocprim17ROCPRIM_400000_NS6detail17trampoline_kernelINS0_14default_configENS1_27upper_bound_config_selectorIjjEEZNS1_14transform_implILb0ES3_S5_N6thrust23THRUST_200600_302600_NS17counting_iteratorIjNS8_11use_defaultESA_SA_EENS8_6detail15normal_iteratorINS8_10device_ptrIjEEEEZNS1_13binary_searchIS3_S5_SG_SB_SG_NS1_21upper_bound_search_opENSC_16wrapped_functionINS0_4lessIvEEbEEEE10hipError_tPvRmT1_T2_T3_mmT4_T5_P12ihipStream_tbEUlRKjE_EESN_SR_SS_mST_SW_bEUlT_E_NS1_11comp_targetILNS1_3genE2ELNS1_11target_archE906ELNS1_3gpuE6ELNS1_3repE0EEENS1_30default_config_static_selectorELNS0_4arch9wavefront6targetE0EEEvSQ_.private_seg_size, 0
	.set _ZN7rocprim17ROCPRIM_400000_NS6detail17trampoline_kernelINS0_14default_configENS1_27upper_bound_config_selectorIjjEEZNS1_14transform_implILb0ES3_S5_N6thrust23THRUST_200600_302600_NS17counting_iteratorIjNS8_11use_defaultESA_SA_EENS8_6detail15normal_iteratorINS8_10device_ptrIjEEEEZNS1_13binary_searchIS3_S5_SG_SB_SG_NS1_21upper_bound_search_opENSC_16wrapped_functionINS0_4lessIvEEbEEEE10hipError_tPvRmT1_T2_T3_mmT4_T5_P12ihipStream_tbEUlRKjE_EESN_SR_SS_mST_SW_bEUlT_E_NS1_11comp_targetILNS1_3genE2ELNS1_11target_archE906ELNS1_3gpuE6ELNS1_3repE0EEENS1_30default_config_static_selectorELNS0_4arch9wavefront6targetE0EEEvSQ_.uses_vcc, 0
	.set _ZN7rocprim17ROCPRIM_400000_NS6detail17trampoline_kernelINS0_14default_configENS1_27upper_bound_config_selectorIjjEEZNS1_14transform_implILb0ES3_S5_N6thrust23THRUST_200600_302600_NS17counting_iteratorIjNS8_11use_defaultESA_SA_EENS8_6detail15normal_iteratorINS8_10device_ptrIjEEEEZNS1_13binary_searchIS3_S5_SG_SB_SG_NS1_21upper_bound_search_opENSC_16wrapped_functionINS0_4lessIvEEbEEEE10hipError_tPvRmT1_T2_T3_mmT4_T5_P12ihipStream_tbEUlRKjE_EESN_SR_SS_mST_SW_bEUlT_E_NS1_11comp_targetILNS1_3genE2ELNS1_11target_archE906ELNS1_3gpuE6ELNS1_3repE0EEENS1_30default_config_static_selectorELNS0_4arch9wavefront6targetE0EEEvSQ_.uses_flat_scratch, 0
	.set _ZN7rocprim17ROCPRIM_400000_NS6detail17trampoline_kernelINS0_14default_configENS1_27upper_bound_config_selectorIjjEEZNS1_14transform_implILb0ES3_S5_N6thrust23THRUST_200600_302600_NS17counting_iteratorIjNS8_11use_defaultESA_SA_EENS8_6detail15normal_iteratorINS8_10device_ptrIjEEEEZNS1_13binary_searchIS3_S5_SG_SB_SG_NS1_21upper_bound_search_opENSC_16wrapped_functionINS0_4lessIvEEbEEEE10hipError_tPvRmT1_T2_T3_mmT4_T5_P12ihipStream_tbEUlRKjE_EESN_SR_SS_mST_SW_bEUlT_E_NS1_11comp_targetILNS1_3genE2ELNS1_11target_archE906ELNS1_3gpuE6ELNS1_3repE0EEENS1_30default_config_static_selectorELNS0_4arch9wavefront6targetE0EEEvSQ_.has_dyn_sized_stack, 0
	.set _ZN7rocprim17ROCPRIM_400000_NS6detail17trampoline_kernelINS0_14default_configENS1_27upper_bound_config_selectorIjjEEZNS1_14transform_implILb0ES3_S5_N6thrust23THRUST_200600_302600_NS17counting_iteratorIjNS8_11use_defaultESA_SA_EENS8_6detail15normal_iteratorINS8_10device_ptrIjEEEEZNS1_13binary_searchIS3_S5_SG_SB_SG_NS1_21upper_bound_search_opENSC_16wrapped_functionINS0_4lessIvEEbEEEE10hipError_tPvRmT1_T2_T3_mmT4_T5_P12ihipStream_tbEUlRKjE_EESN_SR_SS_mST_SW_bEUlT_E_NS1_11comp_targetILNS1_3genE2ELNS1_11target_archE906ELNS1_3gpuE6ELNS1_3repE0EEENS1_30default_config_static_selectorELNS0_4arch9wavefront6targetE0EEEvSQ_.has_recursion, 0
	.set _ZN7rocprim17ROCPRIM_400000_NS6detail17trampoline_kernelINS0_14default_configENS1_27upper_bound_config_selectorIjjEEZNS1_14transform_implILb0ES3_S5_N6thrust23THRUST_200600_302600_NS17counting_iteratorIjNS8_11use_defaultESA_SA_EENS8_6detail15normal_iteratorINS8_10device_ptrIjEEEEZNS1_13binary_searchIS3_S5_SG_SB_SG_NS1_21upper_bound_search_opENSC_16wrapped_functionINS0_4lessIvEEbEEEE10hipError_tPvRmT1_T2_T3_mmT4_T5_P12ihipStream_tbEUlRKjE_EESN_SR_SS_mST_SW_bEUlT_E_NS1_11comp_targetILNS1_3genE2ELNS1_11target_archE906ELNS1_3gpuE6ELNS1_3repE0EEENS1_30default_config_static_selectorELNS0_4arch9wavefront6targetE0EEEvSQ_.has_indirect_call, 0
	.section	.AMDGPU.csdata,"",@progbits
; Kernel info:
; codeLenInByte = 0
; TotalNumSgprs: 0
; NumVgprs: 0
; ScratchSize: 0
; MemoryBound: 0
; FloatMode: 240
; IeeeMode: 1
; LDSByteSize: 0 bytes/workgroup (compile time only)
; SGPRBlocks: 0
; VGPRBlocks: 0
; NumSGPRsForWavesPerEU: 1
; NumVGPRsForWavesPerEU: 1
; NamedBarCnt: 0
; Occupancy: 16
; WaveLimiterHint : 0
; COMPUTE_PGM_RSRC2:SCRATCH_EN: 0
; COMPUTE_PGM_RSRC2:USER_SGPR: 2
; COMPUTE_PGM_RSRC2:TRAP_HANDLER: 0
; COMPUTE_PGM_RSRC2:TGID_X_EN: 1
; COMPUTE_PGM_RSRC2:TGID_Y_EN: 0
; COMPUTE_PGM_RSRC2:TGID_Z_EN: 0
; COMPUTE_PGM_RSRC2:TIDIG_COMP_CNT: 0
	.section	.text._ZN7rocprim17ROCPRIM_400000_NS6detail17trampoline_kernelINS0_14default_configENS1_27upper_bound_config_selectorIjjEEZNS1_14transform_implILb0ES3_S5_N6thrust23THRUST_200600_302600_NS17counting_iteratorIjNS8_11use_defaultESA_SA_EENS8_6detail15normal_iteratorINS8_10device_ptrIjEEEEZNS1_13binary_searchIS3_S5_SG_SB_SG_NS1_21upper_bound_search_opENSC_16wrapped_functionINS0_4lessIvEEbEEEE10hipError_tPvRmT1_T2_T3_mmT4_T5_P12ihipStream_tbEUlRKjE_EESN_SR_SS_mST_SW_bEUlT_E_NS1_11comp_targetILNS1_3genE10ELNS1_11target_archE1201ELNS1_3gpuE5ELNS1_3repE0EEENS1_30default_config_static_selectorELNS0_4arch9wavefront6targetE0EEEvSQ_,"axG",@progbits,_ZN7rocprim17ROCPRIM_400000_NS6detail17trampoline_kernelINS0_14default_configENS1_27upper_bound_config_selectorIjjEEZNS1_14transform_implILb0ES3_S5_N6thrust23THRUST_200600_302600_NS17counting_iteratorIjNS8_11use_defaultESA_SA_EENS8_6detail15normal_iteratorINS8_10device_ptrIjEEEEZNS1_13binary_searchIS3_S5_SG_SB_SG_NS1_21upper_bound_search_opENSC_16wrapped_functionINS0_4lessIvEEbEEEE10hipError_tPvRmT1_T2_T3_mmT4_T5_P12ihipStream_tbEUlRKjE_EESN_SR_SS_mST_SW_bEUlT_E_NS1_11comp_targetILNS1_3genE10ELNS1_11target_archE1201ELNS1_3gpuE5ELNS1_3repE0EEENS1_30default_config_static_selectorELNS0_4arch9wavefront6targetE0EEEvSQ_,comdat
	.protected	_ZN7rocprim17ROCPRIM_400000_NS6detail17trampoline_kernelINS0_14default_configENS1_27upper_bound_config_selectorIjjEEZNS1_14transform_implILb0ES3_S5_N6thrust23THRUST_200600_302600_NS17counting_iteratorIjNS8_11use_defaultESA_SA_EENS8_6detail15normal_iteratorINS8_10device_ptrIjEEEEZNS1_13binary_searchIS3_S5_SG_SB_SG_NS1_21upper_bound_search_opENSC_16wrapped_functionINS0_4lessIvEEbEEEE10hipError_tPvRmT1_T2_T3_mmT4_T5_P12ihipStream_tbEUlRKjE_EESN_SR_SS_mST_SW_bEUlT_E_NS1_11comp_targetILNS1_3genE10ELNS1_11target_archE1201ELNS1_3gpuE5ELNS1_3repE0EEENS1_30default_config_static_selectorELNS0_4arch9wavefront6targetE0EEEvSQ_ ; -- Begin function _ZN7rocprim17ROCPRIM_400000_NS6detail17trampoline_kernelINS0_14default_configENS1_27upper_bound_config_selectorIjjEEZNS1_14transform_implILb0ES3_S5_N6thrust23THRUST_200600_302600_NS17counting_iteratorIjNS8_11use_defaultESA_SA_EENS8_6detail15normal_iteratorINS8_10device_ptrIjEEEEZNS1_13binary_searchIS3_S5_SG_SB_SG_NS1_21upper_bound_search_opENSC_16wrapped_functionINS0_4lessIvEEbEEEE10hipError_tPvRmT1_T2_T3_mmT4_T5_P12ihipStream_tbEUlRKjE_EESN_SR_SS_mST_SW_bEUlT_E_NS1_11comp_targetILNS1_3genE10ELNS1_11target_archE1201ELNS1_3gpuE5ELNS1_3repE0EEENS1_30default_config_static_selectorELNS0_4arch9wavefront6targetE0EEEvSQ_
	.globl	_ZN7rocprim17ROCPRIM_400000_NS6detail17trampoline_kernelINS0_14default_configENS1_27upper_bound_config_selectorIjjEEZNS1_14transform_implILb0ES3_S5_N6thrust23THRUST_200600_302600_NS17counting_iteratorIjNS8_11use_defaultESA_SA_EENS8_6detail15normal_iteratorINS8_10device_ptrIjEEEEZNS1_13binary_searchIS3_S5_SG_SB_SG_NS1_21upper_bound_search_opENSC_16wrapped_functionINS0_4lessIvEEbEEEE10hipError_tPvRmT1_T2_T3_mmT4_T5_P12ihipStream_tbEUlRKjE_EESN_SR_SS_mST_SW_bEUlT_E_NS1_11comp_targetILNS1_3genE10ELNS1_11target_archE1201ELNS1_3gpuE5ELNS1_3repE0EEENS1_30default_config_static_selectorELNS0_4arch9wavefront6targetE0EEEvSQ_
	.p2align	8
	.type	_ZN7rocprim17ROCPRIM_400000_NS6detail17trampoline_kernelINS0_14default_configENS1_27upper_bound_config_selectorIjjEEZNS1_14transform_implILb0ES3_S5_N6thrust23THRUST_200600_302600_NS17counting_iteratorIjNS8_11use_defaultESA_SA_EENS8_6detail15normal_iteratorINS8_10device_ptrIjEEEEZNS1_13binary_searchIS3_S5_SG_SB_SG_NS1_21upper_bound_search_opENSC_16wrapped_functionINS0_4lessIvEEbEEEE10hipError_tPvRmT1_T2_T3_mmT4_T5_P12ihipStream_tbEUlRKjE_EESN_SR_SS_mST_SW_bEUlT_E_NS1_11comp_targetILNS1_3genE10ELNS1_11target_archE1201ELNS1_3gpuE5ELNS1_3repE0EEENS1_30default_config_static_selectorELNS0_4arch9wavefront6targetE0EEEvSQ_,@function
_ZN7rocprim17ROCPRIM_400000_NS6detail17trampoline_kernelINS0_14default_configENS1_27upper_bound_config_selectorIjjEEZNS1_14transform_implILb0ES3_S5_N6thrust23THRUST_200600_302600_NS17counting_iteratorIjNS8_11use_defaultESA_SA_EENS8_6detail15normal_iteratorINS8_10device_ptrIjEEEEZNS1_13binary_searchIS3_S5_SG_SB_SG_NS1_21upper_bound_search_opENSC_16wrapped_functionINS0_4lessIvEEbEEEE10hipError_tPvRmT1_T2_T3_mmT4_T5_P12ihipStream_tbEUlRKjE_EESN_SR_SS_mST_SW_bEUlT_E_NS1_11comp_targetILNS1_3genE10ELNS1_11target_archE1201ELNS1_3gpuE5ELNS1_3repE0EEENS1_30default_config_static_selectorELNS0_4arch9wavefront6targetE0EEEvSQ_: ; @_ZN7rocprim17ROCPRIM_400000_NS6detail17trampoline_kernelINS0_14default_configENS1_27upper_bound_config_selectorIjjEEZNS1_14transform_implILb0ES3_S5_N6thrust23THRUST_200600_302600_NS17counting_iteratorIjNS8_11use_defaultESA_SA_EENS8_6detail15normal_iteratorINS8_10device_ptrIjEEEEZNS1_13binary_searchIS3_S5_SG_SB_SG_NS1_21upper_bound_search_opENSC_16wrapped_functionINS0_4lessIvEEbEEEE10hipError_tPvRmT1_T2_T3_mmT4_T5_P12ihipStream_tbEUlRKjE_EESN_SR_SS_mST_SW_bEUlT_E_NS1_11comp_targetILNS1_3genE10ELNS1_11target_archE1201ELNS1_3gpuE5ELNS1_3repE0EEENS1_30default_config_static_selectorELNS0_4arch9wavefront6targetE0EEEvSQ_
; %bb.0:
	.section	.rodata,"a",@progbits
	.p2align	6, 0x0
	.amdhsa_kernel _ZN7rocprim17ROCPRIM_400000_NS6detail17trampoline_kernelINS0_14default_configENS1_27upper_bound_config_selectorIjjEEZNS1_14transform_implILb0ES3_S5_N6thrust23THRUST_200600_302600_NS17counting_iteratorIjNS8_11use_defaultESA_SA_EENS8_6detail15normal_iteratorINS8_10device_ptrIjEEEEZNS1_13binary_searchIS3_S5_SG_SB_SG_NS1_21upper_bound_search_opENSC_16wrapped_functionINS0_4lessIvEEbEEEE10hipError_tPvRmT1_T2_T3_mmT4_T5_P12ihipStream_tbEUlRKjE_EESN_SR_SS_mST_SW_bEUlT_E_NS1_11comp_targetILNS1_3genE10ELNS1_11target_archE1201ELNS1_3gpuE5ELNS1_3repE0EEENS1_30default_config_static_selectorELNS0_4arch9wavefront6targetE0EEEvSQ_
		.amdhsa_group_segment_fixed_size 0
		.amdhsa_private_segment_fixed_size 0
		.amdhsa_kernarg_size 56
		.amdhsa_user_sgpr_count 2
		.amdhsa_user_sgpr_dispatch_ptr 0
		.amdhsa_user_sgpr_queue_ptr 0
		.amdhsa_user_sgpr_kernarg_segment_ptr 1
		.amdhsa_user_sgpr_dispatch_id 0
		.amdhsa_user_sgpr_kernarg_preload_length 0
		.amdhsa_user_sgpr_kernarg_preload_offset 0
		.amdhsa_user_sgpr_private_segment_size 0
		.amdhsa_wavefront_size32 1
		.amdhsa_uses_dynamic_stack 0
		.amdhsa_enable_private_segment 0
		.amdhsa_system_sgpr_workgroup_id_x 1
		.amdhsa_system_sgpr_workgroup_id_y 0
		.amdhsa_system_sgpr_workgroup_id_z 0
		.amdhsa_system_sgpr_workgroup_info 0
		.amdhsa_system_vgpr_workitem_id 0
		.amdhsa_next_free_vgpr 1
		.amdhsa_next_free_sgpr 1
		.amdhsa_named_barrier_count 0
		.amdhsa_reserve_vcc 0
		.amdhsa_float_round_mode_32 0
		.amdhsa_float_round_mode_16_64 0
		.amdhsa_float_denorm_mode_32 3
		.amdhsa_float_denorm_mode_16_64 3
		.amdhsa_fp16_overflow 0
		.amdhsa_memory_ordered 1
		.amdhsa_forward_progress 1
		.amdhsa_inst_pref_size 0
		.amdhsa_round_robin_scheduling 0
		.amdhsa_exception_fp_ieee_invalid_op 0
		.amdhsa_exception_fp_denorm_src 0
		.amdhsa_exception_fp_ieee_div_zero 0
		.amdhsa_exception_fp_ieee_overflow 0
		.amdhsa_exception_fp_ieee_underflow 0
		.amdhsa_exception_fp_ieee_inexact 0
		.amdhsa_exception_int_div_zero 0
	.end_amdhsa_kernel
	.section	.text._ZN7rocprim17ROCPRIM_400000_NS6detail17trampoline_kernelINS0_14default_configENS1_27upper_bound_config_selectorIjjEEZNS1_14transform_implILb0ES3_S5_N6thrust23THRUST_200600_302600_NS17counting_iteratorIjNS8_11use_defaultESA_SA_EENS8_6detail15normal_iteratorINS8_10device_ptrIjEEEEZNS1_13binary_searchIS3_S5_SG_SB_SG_NS1_21upper_bound_search_opENSC_16wrapped_functionINS0_4lessIvEEbEEEE10hipError_tPvRmT1_T2_T3_mmT4_T5_P12ihipStream_tbEUlRKjE_EESN_SR_SS_mST_SW_bEUlT_E_NS1_11comp_targetILNS1_3genE10ELNS1_11target_archE1201ELNS1_3gpuE5ELNS1_3repE0EEENS1_30default_config_static_selectorELNS0_4arch9wavefront6targetE0EEEvSQ_,"axG",@progbits,_ZN7rocprim17ROCPRIM_400000_NS6detail17trampoline_kernelINS0_14default_configENS1_27upper_bound_config_selectorIjjEEZNS1_14transform_implILb0ES3_S5_N6thrust23THRUST_200600_302600_NS17counting_iteratorIjNS8_11use_defaultESA_SA_EENS8_6detail15normal_iteratorINS8_10device_ptrIjEEEEZNS1_13binary_searchIS3_S5_SG_SB_SG_NS1_21upper_bound_search_opENSC_16wrapped_functionINS0_4lessIvEEbEEEE10hipError_tPvRmT1_T2_T3_mmT4_T5_P12ihipStream_tbEUlRKjE_EESN_SR_SS_mST_SW_bEUlT_E_NS1_11comp_targetILNS1_3genE10ELNS1_11target_archE1201ELNS1_3gpuE5ELNS1_3repE0EEENS1_30default_config_static_selectorELNS0_4arch9wavefront6targetE0EEEvSQ_,comdat
.Lfunc_end244:
	.size	_ZN7rocprim17ROCPRIM_400000_NS6detail17trampoline_kernelINS0_14default_configENS1_27upper_bound_config_selectorIjjEEZNS1_14transform_implILb0ES3_S5_N6thrust23THRUST_200600_302600_NS17counting_iteratorIjNS8_11use_defaultESA_SA_EENS8_6detail15normal_iteratorINS8_10device_ptrIjEEEEZNS1_13binary_searchIS3_S5_SG_SB_SG_NS1_21upper_bound_search_opENSC_16wrapped_functionINS0_4lessIvEEbEEEE10hipError_tPvRmT1_T2_T3_mmT4_T5_P12ihipStream_tbEUlRKjE_EESN_SR_SS_mST_SW_bEUlT_E_NS1_11comp_targetILNS1_3genE10ELNS1_11target_archE1201ELNS1_3gpuE5ELNS1_3repE0EEENS1_30default_config_static_selectorELNS0_4arch9wavefront6targetE0EEEvSQ_, .Lfunc_end244-_ZN7rocprim17ROCPRIM_400000_NS6detail17trampoline_kernelINS0_14default_configENS1_27upper_bound_config_selectorIjjEEZNS1_14transform_implILb0ES3_S5_N6thrust23THRUST_200600_302600_NS17counting_iteratorIjNS8_11use_defaultESA_SA_EENS8_6detail15normal_iteratorINS8_10device_ptrIjEEEEZNS1_13binary_searchIS3_S5_SG_SB_SG_NS1_21upper_bound_search_opENSC_16wrapped_functionINS0_4lessIvEEbEEEE10hipError_tPvRmT1_T2_T3_mmT4_T5_P12ihipStream_tbEUlRKjE_EESN_SR_SS_mST_SW_bEUlT_E_NS1_11comp_targetILNS1_3genE10ELNS1_11target_archE1201ELNS1_3gpuE5ELNS1_3repE0EEENS1_30default_config_static_selectorELNS0_4arch9wavefront6targetE0EEEvSQ_
                                        ; -- End function
	.set _ZN7rocprim17ROCPRIM_400000_NS6detail17trampoline_kernelINS0_14default_configENS1_27upper_bound_config_selectorIjjEEZNS1_14transform_implILb0ES3_S5_N6thrust23THRUST_200600_302600_NS17counting_iteratorIjNS8_11use_defaultESA_SA_EENS8_6detail15normal_iteratorINS8_10device_ptrIjEEEEZNS1_13binary_searchIS3_S5_SG_SB_SG_NS1_21upper_bound_search_opENSC_16wrapped_functionINS0_4lessIvEEbEEEE10hipError_tPvRmT1_T2_T3_mmT4_T5_P12ihipStream_tbEUlRKjE_EESN_SR_SS_mST_SW_bEUlT_E_NS1_11comp_targetILNS1_3genE10ELNS1_11target_archE1201ELNS1_3gpuE5ELNS1_3repE0EEENS1_30default_config_static_selectorELNS0_4arch9wavefront6targetE0EEEvSQ_.num_vgpr, 0
	.set _ZN7rocprim17ROCPRIM_400000_NS6detail17trampoline_kernelINS0_14default_configENS1_27upper_bound_config_selectorIjjEEZNS1_14transform_implILb0ES3_S5_N6thrust23THRUST_200600_302600_NS17counting_iteratorIjNS8_11use_defaultESA_SA_EENS8_6detail15normal_iteratorINS8_10device_ptrIjEEEEZNS1_13binary_searchIS3_S5_SG_SB_SG_NS1_21upper_bound_search_opENSC_16wrapped_functionINS0_4lessIvEEbEEEE10hipError_tPvRmT1_T2_T3_mmT4_T5_P12ihipStream_tbEUlRKjE_EESN_SR_SS_mST_SW_bEUlT_E_NS1_11comp_targetILNS1_3genE10ELNS1_11target_archE1201ELNS1_3gpuE5ELNS1_3repE0EEENS1_30default_config_static_selectorELNS0_4arch9wavefront6targetE0EEEvSQ_.num_agpr, 0
	.set _ZN7rocprim17ROCPRIM_400000_NS6detail17trampoline_kernelINS0_14default_configENS1_27upper_bound_config_selectorIjjEEZNS1_14transform_implILb0ES3_S5_N6thrust23THRUST_200600_302600_NS17counting_iteratorIjNS8_11use_defaultESA_SA_EENS8_6detail15normal_iteratorINS8_10device_ptrIjEEEEZNS1_13binary_searchIS3_S5_SG_SB_SG_NS1_21upper_bound_search_opENSC_16wrapped_functionINS0_4lessIvEEbEEEE10hipError_tPvRmT1_T2_T3_mmT4_T5_P12ihipStream_tbEUlRKjE_EESN_SR_SS_mST_SW_bEUlT_E_NS1_11comp_targetILNS1_3genE10ELNS1_11target_archE1201ELNS1_3gpuE5ELNS1_3repE0EEENS1_30default_config_static_selectorELNS0_4arch9wavefront6targetE0EEEvSQ_.numbered_sgpr, 0
	.set _ZN7rocprim17ROCPRIM_400000_NS6detail17trampoline_kernelINS0_14default_configENS1_27upper_bound_config_selectorIjjEEZNS1_14transform_implILb0ES3_S5_N6thrust23THRUST_200600_302600_NS17counting_iteratorIjNS8_11use_defaultESA_SA_EENS8_6detail15normal_iteratorINS8_10device_ptrIjEEEEZNS1_13binary_searchIS3_S5_SG_SB_SG_NS1_21upper_bound_search_opENSC_16wrapped_functionINS0_4lessIvEEbEEEE10hipError_tPvRmT1_T2_T3_mmT4_T5_P12ihipStream_tbEUlRKjE_EESN_SR_SS_mST_SW_bEUlT_E_NS1_11comp_targetILNS1_3genE10ELNS1_11target_archE1201ELNS1_3gpuE5ELNS1_3repE0EEENS1_30default_config_static_selectorELNS0_4arch9wavefront6targetE0EEEvSQ_.num_named_barrier, 0
	.set _ZN7rocprim17ROCPRIM_400000_NS6detail17trampoline_kernelINS0_14default_configENS1_27upper_bound_config_selectorIjjEEZNS1_14transform_implILb0ES3_S5_N6thrust23THRUST_200600_302600_NS17counting_iteratorIjNS8_11use_defaultESA_SA_EENS8_6detail15normal_iteratorINS8_10device_ptrIjEEEEZNS1_13binary_searchIS3_S5_SG_SB_SG_NS1_21upper_bound_search_opENSC_16wrapped_functionINS0_4lessIvEEbEEEE10hipError_tPvRmT1_T2_T3_mmT4_T5_P12ihipStream_tbEUlRKjE_EESN_SR_SS_mST_SW_bEUlT_E_NS1_11comp_targetILNS1_3genE10ELNS1_11target_archE1201ELNS1_3gpuE5ELNS1_3repE0EEENS1_30default_config_static_selectorELNS0_4arch9wavefront6targetE0EEEvSQ_.private_seg_size, 0
	.set _ZN7rocprim17ROCPRIM_400000_NS6detail17trampoline_kernelINS0_14default_configENS1_27upper_bound_config_selectorIjjEEZNS1_14transform_implILb0ES3_S5_N6thrust23THRUST_200600_302600_NS17counting_iteratorIjNS8_11use_defaultESA_SA_EENS8_6detail15normal_iteratorINS8_10device_ptrIjEEEEZNS1_13binary_searchIS3_S5_SG_SB_SG_NS1_21upper_bound_search_opENSC_16wrapped_functionINS0_4lessIvEEbEEEE10hipError_tPvRmT1_T2_T3_mmT4_T5_P12ihipStream_tbEUlRKjE_EESN_SR_SS_mST_SW_bEUlT_E_NS1_11comp_targetILNS1_3genE10ELNS1_11target_archE1201ELNS1_3gpuE5ELNS1_3repE0EEENS1_30default_config_static_selectorELNS0_4arch9wavefront6targetE0EEEvSQ_.uses_vcc, 0
	.set _ZN7rocprim17ROCPRIM_400000_NS6detail17trampoline_kernelINS0_14default_configENS1_27upper_bound_config_selectorIjjEEZNS1_14transform_implILb0ES3_S5_N6thrust23THRUST_200600_302600_NS17counting_iteratorIjNS8_11use_defaultESA_SA_EENS8_6detail15normal_iteratorINS8_10device_ptrIjEEEEZNS1_13binary_searchIS3_S5_SG_SB_SG_NS1_21upper_bound_search_opENSC_16wrapped_functionINS0_4lessIvEEbEEEE10hipError_tPvRmT1_T2_T3_mmT4_T5_P12ihipStream_tbEUlRKjE_EESN_SR_SS_mST_SW_bEUlT_E_NS1_11comp_targetILNS1_3genE10ELNS1_11target_archE1201ELNS1_3gpuE5ELNS1_3repE0EEENS1_30default_config_static_selectorELNS0_4arch9wavefront6targetE0EEEvSQ_.uses_flat_scratch, 0
	.set _ZN7rocprim17ROCPRIM_400000_NS6detail17trampoline_kernelINS0_14default_configENS1_27upper_bound_config_selectorIjjEEZNS1_14transform_implILb0ES3_S5_N6thrust23THRUST_200600_302600_NS17counting_iteratorIjNS8_11use_defaultESA_SA_EENS8_6detail15normal_iteratorINS8_10device_ptrIjEEEEZNS1_13binary_searchIS3_S5_SG_SB_SG_NS1_21upper_bound_search_opENSC_16wrapped_functionINS0_4lessIvEEbEEEE10hipError_tPvRmT1_T2_T3_mmT4_T5_P12ihipStream_tbEUlRKjE_EESN_SR_SS_mST_SW_bEUlT_E_NS1_11comp_targetILNS1_3genE10ELNS1_11target_archE1201ELNS1_3gpuE5ELNS1_3repE0EEENS1_30default_config_static_selectorELNS0_4arch9wavefront6targetE0EEEvSQ_.has_dyn_sized_stack, 0
	.set _ZN7rocprim17ROCPRIM_400000_NS6detail17trampoline_kernelINS0_14default_configENS1_27upper_bound_config_selectorIjjEEZNS1_14transform_implILb0ES3_S5_N6thrust23THRUST_200600_302600_NS17counting_iteratorIjNS8_11use_defaultESA_SA_EENS8_6detail15normal_iteratorINS8_10device_ptrIjEEEEZNS1_13binary_searchIS3_S5_SG_SB_SG_NS1_21upper_bound_search_opENSC_16wrapped_functionINS0_4lessIvEEbEEEE10hipError_tPvRmT1_T2_T3_mmT4_T5_P12ihipStream_tbEUlRKjE_EESN_SR_SS_mST_SW_bEUlT_E_NS1_11comp_targetILNS1_3genE10ELNS1_11target_archE1201ELNS1_3gpuE5ELNS1_3repE0EEENS1_30default_config_static_selectorELNS0_4arch9wavefront6targetE0EEEvSQ_.has_recursion, 0
	.set _ZN7rocprim17ROCPRIM_400000_NS6detail17trampoline_kernelINS0_14default_configENS1_27upper_bound_config_selectorIjjEEZNS1_14transform_implILb0ES3_S5_N6thrust23THRUST_200600_302600_NS17counting_iteratorIjNS8_11use_defaultESA_SA_EENS8_6detail15normal_iteratorINS8_10device_ptrIjEEEEZNS1_13binary_searchIS3_S5_SG_SB_SG_NS1_21upper_bound_search_opENSC_16wrapped_functionINS0_4lessIvEEbEEEE10hipError_tPvRmT1_T2_T3_mmT4_T5_P12ihipStream_tbEUlRKjE_EESN_SR_SS_mST_SW_bEUlT_E_NS1_11comp_targetILNS1_3genE10ELNS1_11target_archE1201ELNS1_3gpuE5ELNS1_3repE0EEENS1_30default_config_static_selectorELNS0_4arch9wavefront6targetE0EEEvSQ_.has_indirect_call, 0
	.section	.AMDGPU.csdata,"",@progbits
; Kernel info:
; codeLenInByte = 0
; TotalNumSgprs: 0
; NumVgprs: 0
; ScratchSize: 0
; MemoryBound: 0
; FloatMode: 240
; IeeeMode: 1
; LDSByteSize: 0 bytes/workgroup (compile time only)
; SGPRBlocks: 0
; VGPRBlocks: 0
; NumSGPRsForWavesPerEU: 1
; NumVGPRsForWavesPerEU: 1
; NamedBarCnt: 0
; Occupancy: 16
; WaveLimiterHint : 0
; COMPUTE_PGM_RSRC2:SCRATCH_EN: 0
; COMPUTE_PGM_RSRC2:USER_SGPR: 2
; COMPUTE_PGM_RSRC2:TRAP_HANDLER: 0
; COMPUTE_PGM_RSRC2:TGID_X_EN: 1
; COMPUTE_PGM_RSRC2:TGID_Y_EN: 0
; COMPUTE_PGM_RSRC2:TGID_Z_EN: 0
; COMPUTE_PGM_RSRC2:TIDIG_COMP_CNT: 0
	.section	.text._ZN7rocprim17ROCPRIM_400000_NS6detail17trampoline_kernelINS0_14default_configENS1_27upper_bound_config_selectorIjjEEZNS1_14transform_implILb0ES3_S5_N6thrust23THRUST_200600_302600_NS17counting_iteratorIjNS8_11use_defaultESA_SA_EENS8_6detail15normal_iteratorINS8_10device_ptrIjEEEEZNS1_13binary_searchIS3_S5_SG_SB_SG_NS1_21upper_bound_search_opENSC_16wrapped_functionINS0_4lessIvEEbEEEE10hipError_tPvRmT1_T2_T3_mmT4_T5_P12ihipStream_tbEUlRKjE_EESN_SR_SS_mST_SW_bEUlT_E_NS1_11comp_targetILNS1_3genE10ELNS1_11target_archE1200ELNS1_3gpuE4ELNS1_3repE0EEENS1_30default_config_static_selectorELNS0_4arch9wavefront6targetE0EEEvSQ_,"axG",@progbits,_ZN7rocprim17ROCPRIM_400000_NS6detail17trampoline_kernelINS0_14default_configENS1_27upper_bound_config_selectorIjjEEZNS1_14transform_implILb0ES3_S5_N6thrust23THRUST_200600_302600_NS17counting_iteratorIjNS8_11use_defaultESA_SA_EENS8_6detail15normal_iteratorINS8_10device_ptrIjEEEEZNS1_13binary_searchIS3_S5_SG_SB_SG_NS1_21upper_bound_search_opENSC_16wrapped_functionINS0_4lessIvEEbEEEE10hipError_tPvRmT1_T2_T3_mmT4_T5_P12ihipStream_tbEUlRKjE_EESN_SR_SS_mST_SW_bEUlT_E_NS1_11comp_targetILNS1_3genE10ELNS1_11target_archE1200ELNS1_3gpuE4ELNS1_3repE0EEENS1_30default_config_static_selectorELNS0_4arch9wavefront6targetE0EEEvSQ_,comdat
	.protected	_ZN7rocprim17ROCPRIM_400000_NS6detail17trampoline_kernelINS0_14default_configENS1_27upper_bound_config_selectorIjjEEZNS1_14transform_implILb0ES3_S5_N6thrust23THRUST_200600_302600_NS17counting_iteratorIjNS8_11use_defaultESA_SA_EENS8_6detail15normal_iteratorINS8_10device_ptrIjEEEEZNS1_13binary_searchIS3_S5_SG_SB_SG_NS1_21upper_bound_search_opENSC_16wrapped_functionINS0_4lessIvEEbEEEE10hipError_tPvRmT1_T2_T3_mmT4_T5_P12ihipStream_tbEUlRKjE_EESN_SR_SS_mST_SW_bEUlT_E_NS1_11comp_targetILNS1_3genE10ELNS1_11target_archE1200ELNS1_3gpuE4ELNS1_3repE0EEENS1_30default_config_static_selectorELNS0_4arch9wavefront6targetE0EEEvSQ_ ; -- Begin function _ZN7rocprim17ROCPRIM_400000_NS6detail17trampoline_kernelINS0_14default_configENS1_27upper_bound_config_selectorIjjEEZNS1_14transform_implILb0ES3_S5_N6thrust23THRUST_200600_302600_NS17counting_iteratorIjNS8_11use_defaultESA_SA_EENS8_6detail15normal_iteratorINS8_10device_ptrIjEEEEZNS1_13binary_searchIS3_S5_SG_SB_SG_NS1_21upper_bound_search_opENSC_16wrapped_functionINS0_4lessIvEEbEEEE10hipError_tPvRmT1_T2_T3_mmT4_T5_P12ihipStream_tbEUlRKjE_EESN_SR_SS_mST_SW_bEUlT_E_NS1_11comp_targetILNS1_3genE10ELNS1_11target_archE1200ELNS1_3gpuE4ELNS1_3repE0EEENS1_30default_config_static_selectorELNS0_4arch9wavefront6targetE0EEEvSQ_
	.globl	_ZN7rocprim17ROCPRIM_400000_NS6detail17trampoline_kernelINS0_14default_configENS1_27upper_bound_config_selectorIjjEEZNS1_14transform_implILb0ES3_S5_N6thrust23THRUST_200600_302600_NS17counting_iteratorIjNS8_11use_defaultESA_SA_EENS8_6detail15normal_iteratorINS8_10device_ptrIjEEEEZNS1_13binary_searchIS3_S5_SG_SB_SG_NS1_21upper_bound_search_opENSC_16wrapped_functionINS0_4lessIvEEbEEEE10hipError_tPvRmT1_T2_T3_mmT4_T5_P12ihipStream_tbEUlRKjE_EESN_SR_SS_mST_SW_bEUlT_E_NS1_11comp_targetILNS1_3genE10ELNS1_11target_archE1200ELNS1_3gpuE4ELNS1_3repE0EEENS1_30default_config_static_selectorELNS0_4arch9wavefront6targetE0EEEvSQ_
	.p2align	8
	.type	_ZN7rocprim17ROCPRIM_400000_NS6detail17trampoline_kernelINS0_14default_configENS1_27upper_bound_config_selectorIjjEEZNS1_14transform_implILb0ES3_S5_N6thrust23THRUST_200600_302600_NS17counting_iteratorIjNS8_11use_defaultESA_SA_EENS8_6detail15normal_iteratorINS8_10device_ptrIjEEEEZNS1_13binary_searchIS3_S5_SG_SB_SG_NS1_21upper_bound_search_opENSC_16wrapped_functionINS0_4lessIvEEbEEEE10hipError_tPvRmT1_T2_T3_mmT4_T5_P12ihipStream_tbEUlRKjE_EESN_SR_SS_mST_SW_bEUlT_E_NS1_11comp_targetILNS1_3genE10ELNS1_11target_archE1200ELNS1_3gpuE4ELNS1_3repE0EEENS1_30default_config_static_selectorELNS0_4arch9wavefront6targetE0EEEvSQ_,@function
_ZN7rocprim17ROCPRIM_400000_NS6detail17trampoline_kernelINS0_14default_configENS1_27upper_bound_config_selectorIjjEEZNS1_14transform_implILb0ES3_S5_N6thrust23THRUST_200600_302600_NS17counting_iteratorIjNS8_11use_defaultESA_SA_EENS8_6detail15normal_iteratorINS8_10device_ptrIjEEEEZNS1_13binary_searchIS3_S5_SG_SB_SG_NS1_21upper_bound_search_opENSC_16wrapped_functionINS0_4lessIvEEbEEEE10hipError_tPvRmT1_T2_T3_mmT4_T5_P12ihipStream_tbEUlRKjE_EESN_SR_SS_mST_SW_bEUlT_E_NS1_11comp_targetILNS1_3genE10ELNS1_11target_archE1200ELNS1_3gpuE4ELNS1_3repE0EEENS1_30default_config_static_selectorELNS0_4arch9wavefront6targetE0EEEvSQ_: ; @_ZN7rocprim17ROCPRIM_400000_NS6detail17trampoline_kernelINS0_14default_configENS1_27upper_bound_config_selectorIjjEEZNS1_14transform_implILb0ES3_S5_N6thrust23THRUST_200600_302600_NS17counting_iteratorIjNS8_11use_defaultESA_SA_EENS8_6detail15normal_iteratorINS8_10device_ptrIjEEEEZNS1_13binary_searchIS3_S5_SG_SB_SG_NS1_21upper_bound_search_opENSC_16wrapped_functionINS0_4lessIvEEbEEEE10hipError_tPvRmT1_T2_T3_mmT4_T5_P12ihipStream_tbEUlRKjE_EESN_SR_SS_mST_SW_bEUlT_E_NS1_11comp_targetILNS1_3genE10ELNS1_11target_archE1200ELNS1_3gpuE4ELNS1_3repE0EEENS1_30default_config_static_selectorELNS0_4arch9wavefront6targetE0EEEvSQ_
; %bb.0:
	.section	.rodata,"a",@progbits
	.p2align	6, 0x0
	.amdhsa_kernel _ZN7rocprim17ROCPRIM_400000_NS6detail17trampoline_kernelINS0_14default_configENS1_27upper_bound_config_selectorIjjEEZNS1_14transform_implILb0ES3_S5_N6thrust23THRUST_200600_302600_NS17counting_iteratorIjNS8_11use_defaultESA_SA_EENS8_6detail15normal_iteratorINS8_10device_ptrIjEEEEZNS1_13binary_searchIS3_S5_SG_SB_SG_NS1_21upper_bound_search_opENSC_16wrapped_functionINS0_4lessIvEEbEEEE10hipError_tPvRmT1_T2_T3_mmT4_T5_P12ihipStream_tbEUlRKjE_EESN_SR_SS_mST_SW_bEUlT_E_NS1_11comp_targetILNS1_3genE10ELNS1_11target_archE1200ELNS1_3gpuE4ELNS1_3repE0EEENS1_30default_config_static_selectorELNS0_4arch9wavefront6targetE0EEEvSQ_
		.amdhsa_group_segment_fixed_size 0
		.amdhsa_private_segment_fixed_size 0
		.amdhsa_kernarg_size 56
		.amdhsa_user_sgpr_count 2
		.amdhsa_user_sgpr_dispatch_ptr 0
		.amdhsa_user_sgpr_queue_ptr 0
		.amdhsa_user_sgpr_kernarg_segment_ptr 1
		.amdhsa_user_sgpr_dispatch_id 0
		.amdhsa_user_sgpr_kernarg_preload_length 0
		.amdhsa_user_sgpr_kernarg_preload_offset 0
		.amdhsa_user_sgpr_private_segment_size 0
		.amdhsa_wavefront_size32 1
		.amdhsa_uses_dynamic_stack 0
		.amdhsa_enable_private_segment 0
		.amdhsa_system_sgpr_workgroup_id_x 1
		.amdhsa_system_sgpr_workgroup_id_y 0
		.amdhsa_system_sgpr_workgroup_id_z 0
		.amdhsa_system_sgpr_workgroup_info 0
		.amdhsa_system_vgpr_workitem_id 0
		.amdhsa_next_free_vgpr 1
		.amdhsa_next_free_sgpr 1
		.amdhsa_named_barrier_count 0
		.amdhsa_reserve_vcc 0
		.amdhsa_float_round_mode_32 0
		.amdhsa_float_round_mode_16_64 0
		.amdhsa_float_denorm_mode_32 3
		.amdhsa_float_denorm_mode_16_64 3
		.amdhsa_fp16_overflow 0
		.amdhsa_memory_ordered 1
		.amdhsa_forward_progress 1
		.amdhsa_inst_pref_size 0
		.amdhsa_round_robin_scheduling 0
		.amdhsa_exception_fp_ieee_invalid_op 0
		.amdhsa_exception_fp_denorm_src 0
		.amdhsa_exception_fp_ieee_div_zero 0
		.amdhsa_exception_fp_ieee_overflow 0
		.amdhsa_exception_fp_ieee_underflow 0
		.amdhsa_exception_fp_ieee_inexact 0
		.amdhsa_exception_int_div_zero 0
	.end_amdhsa_kernel
	.section	.text._ZN7rocprim17ROCPRIM_400000_NS6detail17trampoline_kernelINS0_14default_configENS1_27upper_bound_config_selectorIjjEEZNS1_14transform_implILb0ES3_S5_N6thrust23THRUST_200600_302600_NS17counting_iteratorIjNS8_11use_defaultESA_SA_EENS8_6detail15normal_iteratorINS8_10device_ptrIjEEEEZNS1_13binary_searchIS3_S5_SG_SB_SG_NS1_21upper_bound_search_opENSC_16wrapped_functionINS0_4lessIvEEbEEEE10hipError_tPvRmT1_T2_T3_mmT4_T5_P12ihipStream_tbEUlRKjE_EESN_SR_SS_mST_SW_bEUlT_E_NS1_11comp_targetILNS1_3genE10ELNS1_11target_archE1200ELNS1_3gpuE4ELNS1_3repE0EEENS1_30default_config_static_selectorELNS0_4arch9wavefront6targetE0EEEvSQ_,"axG",@progbits,_ZN7rocprim17ROCPRIM_400000_NS6detail17trampoline_kernelINS0_14default_configENS1_27upper_bound_config_selectorIjjEEZNS1_14transform_implILb0ES3_S5_N6thrust23THRUST_200600_302600_NS17counting_iteratorIjNS8_11use_defaultESA_SA_EENS8_6detail15normal_iteratorINS8_10device_ptrIjEEEEZNS1_13binary_searchIS3_S5_SG_SB_SG_NS1_21upper_bound_search_opENSC_16wrapped_functionINS0_4lessIvEEbEEEE10hipError_tPvRmT1_T2_T3_mmT4_T5_P12ihipStream_tbEUlRKjE_EESN_SR_SS_mST_SW_bEUlT_E_NS1_11comp_targetILNS1_3genE10ELNS1_11target_archE1200ELNS1_3gpuE4ELNS1_3repE0EEENS1_30default_config_static_selectorELNS0_4arch9wavefront6targetE0EEEvSQ_,comdat
.Lfunc_end245:
	.size	_ZN7rocprim17ROCPRIM_400000_NS6detail17trampoline_kernelINS0_14default_configENS1_27upper_bound_config_selectorIjjEEZNS1_14transform_implILb0ES3_S5_N6thrust23THRUST_200600_302600_NS17counting_iteratorIjNS8_11use_defaultESA_SA_EENS8_6detail15normal_iteratorINS8_10device_ptrIjEEEEZNS1_13binary_searchIS3_S5_SG_SB_SG_NS1_21upper_bound_search_opENSC_16wrapped_functionINS0_4lessIvEEbEEEE10hipError_tPvRmT1_T2_T3_mmT4_T5_P12ihipStream_tbEUlRKjE_EESN_SR_SS_mST_SW_bEUlT_E_NS1_11comp_targetILNS1_3genE10ELNS1_11target_archE1200ELNS1_3gpuE4ELNS1_3repE0EEENS1_30default_config_static_selectorELNS0_4arch9wavefront6targetE0EEEvSQ_, .Lfunc_end245-_ZN7rocprim17ROCPRIM_400000_NS6detail17trampoline_kernelINS0_14default_configENS1_27upper_bound_config_selectorIjjEEZNS1_14transform_implILb0ES3_S5_N6thrust23THRUST_200600_302600_NS17counting_iteratorIjNS8_11use_defaultESA_SA_EENS8_6detail15normal_iteratorINS8_10device_ptrIjEEEEZNS1_13binary_searchIS3_S5_SG_SB_SG_NS1_21upper_bound_search_opENSC_16wrapped_functionINS0_4lessIvEEbEEEE10hipError_tPvRmT1_T2_T3_mmT4_T5_P12ihipStream_tbEUlRKjE_EESN_SR_SS_mST_SW_bEUlT_E_NS1_11comp_targetILNS1_3genE10ELNS1_11target_archE1200ELNS1_3gpuE4ELNS1_3repE0EEENS1_30default_config_static_selectorELNS0_4arch9wavefront6targetE0EEEvSQ_
                                        ; -- End function
	.set _ZN7rocprim17ROCPRIM_400000_NS6detail17trampoline_kernelINS0_14default_configENS1_27upper_bound_config_selectorIjjEEZNS1_14transform_implILb0ES3_S5_N6thrust23THRUST_200600_302600_NS17counting_iteratorIjNS8_11use_defaultESA_SA_EENS8_6detail15normal_iteratorINS8_10device_ptrIjEEEEZNS1_13binary_searchIS3_S5_SG_SB_SG_NS1_21upper_bound_search_opENSC_16wrapped_functionINS0_4lessIvEEbEEEE10hipError_tPvRmT1_T2_T3_mmT4_T5_P12ihipStream_tbEUlRKjE_EESN_SR_SS_mST_SW_bEUlT_E_NS1_11comp_targetILNS1_3genE10ELNS1_11target_archE1200ELNS1_3gpuE4ELNS1_3repE0EEENS1_30default_config_static_selectorELNS0_4arch9wavefront6targetE0EEEvSQ_.num_vgpr, 0
	.set _ZN7rocprim17ROCPRIM_400000_NS6detail17trampoline_kernelINS0_14default_configENS1_27upper_bound_config_selectorIjjEEZNS1_14transform_implILb0ES3_S5_N6thrust23THRUST_200600_302600_NS17counting_iteratorIjNS8_11use_defaultESA_SA_EENS8_6detail15normal_iteratorINS8_10device_ptrIjEEEEZNS1_13binary_searchIS3_S5_SG_SB_SG_NS1_21upper_bound_search_opENSC_16wrapped_functionINS0_4lessIvEEbEEEE10hipError_tPvRmT1_T2_T3_mmT4_T5_P12ihipStream_tbEUlRKjE_EESN_SR_SS_mST_SW_bEUlT_E_NS1_11comp_targetILNS1_3genE10ELNS1_11target_archE1200ELNS1_3gpuE4ELNS1_3repE0EEENS1_30default_config_static_selectorELNS0_4arch9wavefront6targetE0EEEvSQ_.num_agpr, 0
	.set _ZN7rocprim17ROCPRIM_400000_NS6detail17trampoline_kernelINS0_14default_configENS1_27upper_bound_config_selectorIjjEEZNS1_14transform_implILb0ES3_S5_N6thrust23THRUST_200600_302600_NS17counting_iteratorIjNS8_11use_defaultESA_SA_EENS8_6detail15normal_iteratorINS8_10device_ptrIjEEEEZNS1_13binary_searchIS3_S5_SG_SB_SG_NS1_21upper_bound_search_opENSC_16wrapped_functionINS0_4lessIvEEbEEEE10hipError_tPvRmT1_T2_T3_mmT4_T5_P12ihipStream_tbEUlRKjE_EESN_SR_SS_mST_SW_bEUlT_E_NS1_11comp_targetILNS1_3genE10ELNS1_11target_archE1200ELNS1_3gpuE4ELNS1_3repE0EEENS1_30default_config_static_selectorELNS0_4arch9wavefront6targetE0EEEvSQ_.numbered_sgpr, 0
	.set _ZN7rocprim17ROCPRIM_400000_NS6detail17trampoline_kernelINS0_14default_configENS1_27upper_bound_config_selectorIjjEEZNS1_14transform_implILb0ES3_S5_N6thrust23THRUST_200600_302600_NS17counting_iteratorIjNS8_11use_defaultESA_SA_EENS8_6detail15normal_iteratorINS8_10device_ptrIjEEEEZNS1_13binary_searchIS3_S5_SG_SB_SG_NS1_21upper_bound_search_opENSC_16wrapped_functionINS0_4lessIvEEbEEEE10hipError_tPvRmT1_T2_T3_mmT4_T5_P12ihipStream_tbEUlRKjE_EESN_SR_SS_mST_SW_bEUlT_E_NS1_11comp_targetILNS1_3genE10ELNS1_11target_archE1200ELNS1_3gpuE4ELNS1_3repE0EEENS1_30default_config_static_selectorELNS0_4arch9wavefront6targetE0EEEvSQ_.num_named_barrier, 0
	.set _ZN7rocprim17ROCPRIM_400000_NS6detail17trampoline_kernelINS0_14default_configENS1_27upper_bound_config_selectorIjjEEZNS1_14transform_implILb0ES3_S5_N6thrust23THRUST_200600_302600_NS17counting_iteratorIjNS8_11use_defaultESA_SA_EENS8_6detail15normal_iteratorINS8_10device_ptrIjEEEEZNS1_13binary_searchIS3_S5_SG_SB_SG_NS1_21upper_bound_search_opENSC_16wrapped_functionINS0_4lessIvEEbEEEE10hipError_tPvRmT1_T2_T3_mmT4_T5_P12ihipStream_tbEUlRKjE_EESN_SR_SS_mST_SW_bEUlT_E_NS1_11comp_targetILNS1_3genE10ELNS1_11target_archE1200ELNS1_3gpuE4ELNS1_3repE0EEENS1_30default_config_static_selectorELNS0_4arch9wavefront6targetE0EEEvSQ_.private_seg_size, 0
	.set _ZN7rocprim17ROCPRIM_400000_NS6detail17trampoline_kernelINS0_14default_configENS1_27upper_bound_config_selectorIjjEEZNS1_14transform_implILb0ES3_S5_N6thrust23THRUST_200600_302600_NS17counting_iteratorIjNS8_11use_defaultESA_SA_EENS8_6detail15normal_iteratorINS8_10device_ptrIjEEEEZNS1_13binary_searchIS3_S5_SG_SB_SG_NS1_21upper_bound_search_opENSC_16wrapped_functionINS0_4lessIvEEbEEEE10hipError_tPvRmT1_T2_T3_mmT4_T5_P12ihipStream_tbEUlRKjE_EESN_SR_SS_mST_SW_bEUlT_E_NS1_11comp_targetILNS1_3genE10ELNS1_11target_archE1200ELNS1_3gpuE4ELNS1_3repE0EEENS1_30default_config_static_selectorELNS0_4arch9wavefront6targetE0EEEvSQ_.uses_vcc, 0
	.set _ZN7rocprim17ROCPRIM_400000_NS6detail17trampoline_kernelINS0_14default_configENS1_27upper_bound_config_selectorIjjEEZNS1_14transform_implILb0ES3_S5_N6thrust23THRUST_200600_302600_NS17counting_iteratorIjNS8_11use_defaultESA_SA_EENS8_6detail15normal_iteratorINS8_10device_ptrIjEEEEZNS1_13binary_searchIS3_S5_SG_SB_SG_NS1_21upper_bound_search_opENSC_16wrapped_functionINS0_4lessIvEEbEEEE10hipError_tPvRmT1_T2_T3_mmT4_T5_P12ihipStream_tbEUlRKjE_EESN_SR_SS_mST_SW_bEUlT_E_NS1_11comp_targetILNS1_3genE10ELNS1_11target_archE1200ELNS1_3gpuE4ELNS1_3repE0EEENS1_30default_config_static_selectorELNS0_4arch9wavefront6targetE0EEEvSQ_.uses_flat_scratch, 0
	.set _ZN7rocprim17ROCPRIM_400000_NS6detail17trampoline_kernelINS0_14default_configENS1_27upper_bound_config_selectorIjjEEZNS1_14transform_implILb0ES3_S5_N6thrust23THRUST_200600_302600_NS17counting_iteratorIjNS8_11use_defaultESA_SA_EENS8_6detail15normal_iteratorINS8_10device_ptrIjEEEEZNS1_13binary_searchIS3_S5_SG_SB_SG_NS1_21upper_bound_search_opENSC_16wrapped_functionINS0_4lessIvEEbEEEE10hipError_tPvRmT1_T2_T3_mmT4_T5_P12ihipStream_tbEUlRKjE_EESN_SR_SS_mST_SW_bEUlT_E_NS1_11comp_targetILNS1_3genE10ELNS1_11target_archE1200ELNS1_3gpuE4ELNS1_3repE0EEENS1_30default_config_static_selectorELNS0_4arch9wavefront6targetE0EEEvSQ_.has_dyn_sized_stack, 0
	.set _ZN7rocprim17ROCPRIM_400000_NS6detail17trampoline_kernelINS0_14default_configENS1_27upper_bound_config_selectorIjjEEZNS1_14transform_implILb0ES3_S5_N6thrust23THRUST_200600_302600_NS17counting_iteratorIjNS8_11use_defaultESA_SA_EENS8_6detail15normal_iteratorINS8_10device_ptrIjEEEEZNS1_13binary_searchIS3_S5_SG_SB_SG_NS1_21upper_bound_search_opENSC_16wrapped_functionINS0_4lessIvEEbEEEE10hipError_tPvRmT1_T2_T3_mmT4_T5_P12ihipStream_tbEUlRKjE_EESN_SR_SS_mST_SW_bEUlT_E_NS1_11comp_targetILNS1_3genE10ELNS1_11target_archE1200ELNS1_3gpuE4ELNS1_3repE0EEENS1_30default_config_static_selectorELNS0_4arch9wavefront6targetE0EEEvSQ_.has_recursion, 0
	.set _ZN7rocprim17ROCPRIM_400000_NS6detail17trampoline_kernelINS0_14default_configENS1_27upper_bound_config_selectorIjjEEZNS1_14transform_implILb0ES3_S5_N6thrust23THRUST_200600_302600_NS17counting_iteratorIjNS8_11use_defaultESA_SA_EENS8_6detail15normal_iteratorINS8_10device_ptrIjEEEEZNS1_13binary_searchIS3_S5_SG_SB_SG_NS1_21upper_bound_search_opENSC_16wrapped_functionINS0_4lessIvEEbEEEE10hipError_tPvRmT1_T2_T3_mmT4_T5_P12ihipStream_tbEUlRKjE_EESN_SR_SS_mST_SW_bEUlT_E_NS1_11comp_targetILNS1_3genE10ELNS1_11target_archE1200ELNS1_3gpuE4ELNS1_3repE0EEENS1_30default_config_static_selectorELNS0_4arch9wavefront6targetE0EEEvSQ_.has_indirect_call, 0
	.section	.AMDGPU.csdata,"",@progbits
; Kernel info:
; codeLenInByte = 0
; TotalNumSgprs: 0
; NumVgprs: 0
; ScratchSize: 0
; MemoryBound: 0
; FloatMode: 240
; IeeeMode: 1
; LDSByteSize: 0 bytes/workgroup (compile time only)
; SGPRBlocks: 0
; VGPRBlocks: 0
; NumSGPRsForWavesPerEU: 1
; NumVGPRsForWavesPerEU: 1
; NamedBarCnt: 0
; Occupancy: 16
; WaveLimiterHint : 0
; COMPUTE_PGM_RSRC2:SCRATCH_EN: 0
; COMPUTE_PGM_RSRC2:USER_SGPR: 2
; COMPUTE_PGM_RSRC2:TRAP_HANDLER: 0
; COMPUTE_PGM_RSRC2:TGID_X_EN: 1
; COMPUTE_PGM_RSRC2:TGID_Y_EN: 0
; COMPUTE_PGM_RSRC2:TGID_Z_EN: 0
; COMPUTE_PGM_RSRC2:TIDIG_COMP_CNT: 0
	.section	.text._ZN7rocprim17ROCPRIM_400000_NS6detail17trampoline_kernelINS0_14default_configENS1_27upper_bound_config_selectorIjjEEZNS1_14transform_implILb0ES3_S5_N6thrust23THRUST_200600_302600_NS17counting_iteratorIjNS8_11use_defaultESA_SA_EENS8_6detail15normal_iteratorINS8_10device_ptrIjEEEEZNS1_13binary_searchIS3_S5_SG_SB_SG_NS1_21upper_bound_search_opENSC_16wrapped_functionINS0_4lessIvEEbEEEE10hipError_tPvRmT1_T2_T3_mmT4_T5_P12ihipStream_tbEUlRKjE_EESN_SR_SS_mST_SW_bEUlT_E_NS1_11comp_targetILNS1_3genE9ELNS1_11target_archE1100ELNS1_3gpuE3ELNS1_3repE0EEENS1_30default_config_static_selectorELNS0_4arch9wavefront6targetE0EEEvSQ_,"axG",@progbits,_ZN7rocprim17ROCPRIM_400000_NS6detail17trampoline_kernelINS0_14default_configENS1_27upper_bound_config_selectorIjjEEZNS1_14transform_implILb0ES3_S5_N6thrust23THRUST_200600_302600_NS17counting_iteratorIjNS8_11use_defaultESA_SA_EENS8_6detail15normal_iteratorINS8_10device_ptrIjEEEEZNS1_13binary_searchIS3_S5_SG_SB_SG_NS1_21upper_bound_search_opENSC_16wrapped_functionINS0_4lessIvEEbEEEE10hipError_tPvRmT1_T2_T3_mmT4_T5_P12ihipStream_tbEUlRKjE_EESN_SR_SS_mST_SW_bEUlT_E_NS1_11comp_targetILNS1_3genE9ELNS1_11target_archE1100ELNS1_3gpuE3ELNS1_3repE0EEENS1_30default_config_static_selectorELNS0_4arch9wavefront6targetE0EEEvSQ_,comdat
	.protected	_ZN7rocprim17ROCPRIM_400000_NS6detail17trampoline_kernelINS0_14default_configENS1_27upper_bound_config_selectorIjjEEZNS1_14transform_implILb0ES3_S5_N6thrust23THRUST_200600_302600_NS17counting_iteratorIjNS8_11use_defaultESA_SA_EENS8_6detail15normal_iteratorINS8_10device_ptrIjEEEEZNS1_13binary_searchIS3_S5_SG_SB_SG_NS1_21upper_bound_search_opENSC_16wrapped_functionINS0_4lessIvEEbEEEE10hipError_tPvRmT1_T2_T3_mmT4_T5_P12ihipStream_tbEUlRKjE_EESN_SR_SS_mST_SW_bEUlT_E_NS1_11comp_targetILNS1_3genE9ELNS1_11target_archE1100ELNS1_3gpuE3ELNS1_3repE0EEENS1_30default_config_static_selectorELNS0_4arch9wavefront6targetE0EEEvSQ_ ; -- Begin function _ZN7rocprim17ROCPRIM_400000_NS6detail17trampoline_kernelINS0_14default_configENS1_27upper_bound_config_selectorIjjEEZNS1_14transform_implILb0ES3_S5_N6thrust23THRUST_200600_302600_NS17counting_iteratorIjNS8_11use_defaultESA_SA_EENS8_6detail15normal_iteratorINS8_10device_ptrIjEEEEZNS1_13binary_searchIS3_S5_SG_SB_SG_NS1_21upper_bound_search_opENSC_16wrapped_functionINS0_4lessIvEEbEEEE10hipError_tPvRmT1_T2_T3_mmT4_T5_P12ihipStream_tbEUlRKjE_EESN_SR_SS_mST_SW_bEUlT_E_NS1_11comp_targetILNS1_3genE9ELNS1_11target_archE1100ELNS1_3gpuE3ELNS1_3repE0EEENS1_30default_config_static_selectorELNS0_4arch9wavefront6targetE0EEEvSQ_
	.globl	_ZN7rocprim17ROCPRIM_400000_NS6detail17trampoline_kernelINS0_14default_configENS1_27upper_bound_config_selectorIjjEEZNS1_14transform_implILb0ES3_S5_N6thrust23THRUST_200600_302600_NS17counting_iteratorIjNS8_11use_defaultESA_SA_EENS8_6detail15normal_iteratorINS8_10device_ptrIjEEEEZNS1_13binary_searchIS3_S5_SG_SB_SG_NS1_21upper_bound_search_opENSC_16wrapped_functionINS0_4lessIvEEbEEEE10hipError_tPvRmT1_T2_T3_mmT4_T5_P12ihipStream_tbEUlRKjE_EESN_SR_SS_mST_SW_bEUlT_E_NS1_11comp_targetILNS1_3genE9ELNS1_11target_archE1100ELNS1_3gpuE3ELNS1_3repE0EEENS1_30default_config_static_selectorELNS0_4arch9wavefront6targetE0EEEvSQ_
	.p2align	8
	.type	_ZN7rocprim17ROCPRIM_400000_NS6detail17trampoline_kernelINS0_14default_configENS1_27upper_bound_config_selectorIjjEEZNS1_14transform_implILb0ES3_S5_N6thrust23THRUST_200600_302600_NS17counting_iteratorIjNS8_11use_defaultESA_SA_EENS8_6detail15normal_iteratorINS8_10device_ptrIjEEEEZNS1_13binary_searchIS3_S5_SG_SB_SG_NS1_21upper_bound_search_opENSC_16wrapped_functionINS0_4lessIvEEbEEEE10hipError_tPvRmT1_T2_T3_mmT4_T5_P12ihipStream_tbEUlRKjE_EESN_SR_SS_mST_SW_bEUlT_E_NS1_11comp_targetILNS1_3genE9ELNS1_11target_archE1100ELNS1_3gpuE3ELNS1_3repE0EEENS1_30default_config_static_selectorELNS0_4arch9wavefront6targetE0EEEvSQ_,@function
_ZN7rocprim17ROCPRIM_400000_NS6detail17trampoline_kernelINS0_14default_configENS1_27upper_bound_config_selectorIjjEEZNS1_14transform_implILb0ES3_S5_N6thrust23THRUST_200600_302600_NS17counting_iteratorIjNS8_11use_defaultESA_SA_EENS8_6detail15normal_iteratorINS8_10device_ptrIjEEEEZNS1_13binary_searchIS3_S5_SG_SB_SG_NS1_21upper_bound_search_opENSC_16wrapped_functionINS0_4lessIvEEbEEEE10hipError_tPvRmT1_T2_T3_mmT4_T5_P12ihipStream_tbEUlRKjE_EESN_SR_SS_mST_SW_bEUlT_E_NS1_11comp_targetILNS1_3genE9ELNS1_11target_archE1100ELNS1_3gpuE3ELNS1_3repE0EEENS1_30default_config_static_selectorELNS0_4arch9wavefront6targetE0EEEvSQ_: ; @_ZN7rocprim17ROCPRIM_400000_NS6detail17trampoline_kernelINS0_14default_configENS1_27upper_bound_config_selectorIjjEEZNS1_14transform_implILb0ES3_S5_N6thrust23THRUST_200600_302600_NS17counting_iteratorIjNS8_11use_defaultESA_SA_EENS8_6detail15normal_iteratorINS8_10device_ptrIjEEEEZNS1_13binary_searchIS3_S5_SG_SB_SG_NS1_21upper_bound_search_opENSC_16wrapped_functionINS0_4lessIvEEbEEEE10hipError_tPvRmT1_T2_T3_mmT4_T5_P12ihipStream_tbEUlRKjE_EESN_SR_SS_mST_SW_bEUlT_E_NS1_11comp_targetILNS1_3genE9ELNS1_11target_archE1100ELNS1_3gpuE3ELNS1_3repE0EEENS1_30default_config_static_selectorELNS0_4arch9wavefront6targetE0EEEvSQ_
; %bb.0:
	.section	.rodata,"a",@progbits
	.p2align	6, 0x0
	.amdhsa_kernel _ZN7rocprim17ROCPRIM_400000_NS6detail17trampoline_kernelINS0_14default_configENS1_27upper_bound_config_selectorIjjEEZNS1_14transform_implILb0ES3_S5_N6thrust23THRUST_200600_302600_NS17counting_iteratorIjNS8_11use_defaultESA_SA_EENS8_6detail15normal_iteratorINS8_10device_ptrIjEEEEZNS1_13binary_searchIS3_S5_SG_SB_SG_NS1_21upper_bound_search_opENSC_16wrapped_functionINS0_4lessIvEEbEEEE10hipError_tPvRmT1_T2_T3_mmT4_T5_P12ihipStream_tbEUlRKjE_EESN_SR_SS_mST_SW_bEUlT_E_NS1_11comp_targetILNS1_3genE9ELNS1_11target_archE1100ELNS1_3gpuE3ELNS1_3repE0EEENS1_30default_config_static_selectorELNS0_4arch9wavefront6targetE0EEEvSQ_
		.amdhsa_group_segment_fixed_size 0
		.amdhsa_private_segment_fixed_size 0
		.amdhsa_kernarg_size 56
		.amdhsa_user_sgpr_count 2
		.amdhsa_user_sgpr_dispatch_ptr 0
		.amdhsa_user_sgpr_queue_ptr 0
		.amdhsa_user_sgpr_kernarg_segment_ptr 1
		.amdhsa_user_sgpr_dispatch_id 0
		.amdhsa_user_sgpr_kernarg_preload_length 0
		.amdhsa_user_sgpr_kernarg_preload_offset 0
		.amdhsa_user_sgpr_private_segment_size 0
		.amdhsa_wavefront_size32 1
		.amdhsa_uses_dynamic_stack 0
		.amdhsa_enable_private_segment 0
		.amdhsa_system_sgpr_workgroup_id_x 1
		.amdhsa_system_sgpr_workgroup_id_y 0
		.amdhsa_system_sgpr_workgroup_id_z 0
		.amdhsa_system_sgpr_workgroup_info 0
		.amdhsa_system_vgpr_workitem_id 0
		.amdhsa_next_free_vgpr 1
		.amdhsa_next_free_sgpr 1
		.amdhsa_named_barrier_count 0
		.amdhsa_reserve_vcc 0
		.amdhsa_float_round_mode_32 0
		.amdhsa_float_round_mode_16_64 0
		.amdhsa_float_denorm_mode_32 3
		.amdhsa_float_denorm_mode_16_64 3
		.amdhsa_fp16_overflow 0
		.amdhsa_memory_ordered 1
		.amdhsa_forward_progress 1
		.amdhsa_inst_pref_size 0
		.amdhsa_round_robin_scheduling 0
		.amdhsa_exception_fp_ieee_invalid_op 0
		.amdhsa_exception_fp_denorm_src 0
		.amdhsa_exception_fp_ieee_div_zero 0
		.amdhsa_exception_fp_ieee_overflow 0
		.amdhsa_exception_fp_ieee_underflow 0
		.amdhsa_exception_fp_ieee_inexact 0
		.amdhsa_exception_int_div_zero 0
	.end_amdhsa_kernel
	.section	.text._ZN7rocprim17ROCPRIM_400000_NS6detail17trampoline_kernelINS0_14default_configENS1_27upper_bound_config_selectorIjjEEZNS1_14transform_implILb0ES3_S5_N6thrust23THRUST_200600_302600_NS17counting_iteratorIjNS8_11use_defaultESA_SA_EENS8_6detail15normal_iteratorINS8_10device_ptrIjEEEEZNS1_13binary_searchIS3_S5_SG_SB_SG_NS1_21upper_bound_search_opENSC_16wrapped_functionINS0_4lessIvEEbEEEE10hipError_tPvRmT1_T2_T3_mmT4_T5_P12ihipStream_tbEUlRKjE_EESN_SR_SS_mST_SW_bEUlT_E_NS1_11comp_targetILNS1_3genE9ELNS1_11target_archE1100ELNS1_3gpuE3ELNS1_3repE0EEENS1_30default_config_static_selectorELNS0_4arch9wavefront6targetE0EEEvSQ_,"axG",@progbits,_ZN7rocprim17ROCPRIM_400000_NS6detail17trampoline_kernelINS0_14default_configENS1_27upper_bound_config_selectorIjjEEZNS1_14transform_implILb0ES3_S5_N6thrust23THRUST_200600_302600_NS17counting_iteratorIjNS8_11use_defaultESA_SA_EENS8_6detail15normal_iteratorINS8_10device_ptrIjEEEEZNS1_13binary_searchIS3_S5_SG_SB_SG_NS1_21upper_bound_search_opENSC_16wrapped_functionINS0_4lessIvEEbEEEE10hipError_tPvRmT1_T2_T3_mmT4_T5_P12ihipStream_tbEUlRKjE_EESN_SR_SS_mST_SW_bEUlT_E_NS1_11comp_targetILNS1_3genE9ELNS1_11target_archE1100ELNS1_3gpuE3ELNS1_3repE0EEENS1_30default_config_static_selectorELNS0_4arch9wavefront6targetE0EEEvSQ_,comdat
.Lfunc_end246:
	.size	_ZN7rocprim17ROCPRIM_400000_NS6detail17trampoline_kernelINS0_14default_configENS1_27upper_bound_config_selectorIjjEEZNS1_14transform_implILb0ES3_S5_N6thrust23THRUST_200600_302600_NS17counting_iteratorIjNS8_11use_defaultESA_SA_EENS8_6detail15normal_iteratorINS8_10device_ptrIjEEEEZNS1_13binary_searchIS3_S5_SG_SB_SG_NS1_21upper_bound_search_opENSC_16wrapped_functionINS0_4lessIvEEbEEEE10hipError_tPvRmT1_T2_T3_mmT4_T5_P12ihipStream_tbEUlRKjE_EESN_SR_SS_mST_SW_bEUlT_E_NS1_11comp_targetILNS1_3genE9ELNS1_11target_archE1100ELNS1_3gpuE3ELNS1_3repE0EEENS1_30default_config_static_selectorELNS0_4arch9wavefront6targetE0EEEvSQ_, .Lfunc_end246-_ZN7rocprim17ROCPRIM_400000_NS6detail17trampoline_kernelINS0_14default_configENS1_27upper_bound_config_selectorIjjEEZNS1_14transform_implILb0ES3_S5_N6thrust23THRUST_200600_302600_NS17counting_iteratorIjNS8_11use_defaultESA_SA_EENS8_6detail15normal_iteratorINS8_10device_ptrIjEEEEZNS1_13binary_searchIS3_S5_SG_SB_SG_NS1_21upper_bound_search_opENSC_16wrapped_functionINS0_4lessIvEEbEEEE10hipError_tPvRmT1_T2_T3_mmT4_T5_P12ihipStream_tbEUlRKjE_EESN_SR_SS_mST_SW_bEUlT_E_NS1_11comp_targetILNS1_3genE9ELNS1_11target_archE1100ELNS1_3gpuE3ELNS1_3repE0EEENS1_30default_config_static_selectorELNS0_4arch9wavefront6targetE0EEEvSQ_
                                        ; -- End function
	.set _ZN7rocprim17ROCPRIM_400000_NS6detail17trampoline_kernelINS0_14default_configENS1_27upper_bound_config_selectorIjjEEZNS1_14transform_implILb0ES3_S5_N6thrust23THRUST_200600_302600_NS17counting_iteratorIjNS8_11use_defaultESA_SA_EENS8_6detail15normal_iteratorINS8_10device_ptrIjEEEEZNS1_13binary_searchIS3_S5_SG_SB_SG_NS1_21upper_bound_search_opENSC_16wrapped_functionINS0_4lessIvEEbEEEE10hipError_tPvRmT1_T2_T3_mmT4_T5_P12ihipStream_tbEUlRKjE_EESN_SR_SS_mST_SW_bEUlT_E_NS1_11comp_targetILNS1_3genE9ELNS1_11target_archE1100ELNS1_3gpuE3ELNS1_3repE0EEENS1_30default_config_static_selectorELNS0_4arch9wavefront6targetE0EEEvSQ_.num_vgpr, 0
	.set _ZN7rocprim17ROCPRIM_400000_NS6detail17trampoline_kernelINS0_14default_configENS1_27upper_bound_config_selectorIjjEEZNS1_14transform_implILb0ES3_S5_N6thrust23THRUST_200600_302600_NS17counting_iteratorIjNS8_11use_defaultESA_SA_EENS8_6detail15normal_iteratorINS8_10device_ptrIjEEEEZNS1_13binary_searchIS3_S5_SG_SB_SG_NS1_21upper_bound_search_opENSC_16wrapped_functionINS0_4lessIvEEbEEEE10hipError_tPvRmT1_T2_T3_mmT4_T5_P12ihipStream_tbEUlRKjE_EESN_SR_SS_mST_SW_bEUlT_E_NS1_11comp_targetILNS1_3genE9ELNS1_11target_archE1100ELNS1_3gpuE3ELNS1_3repE0EEENS1_30default_config_static_selectorELNS0_4arch9wavefront6targetE0EEEvSQ_.num_agpr, 0
	.set _ZN7rocprim17ROCPRIM_400000_NS6detail17trampoline_kernelINS0_14default_configENS1_27upper_bound_config_selectorIjjEEZNS1_14transform_implILb0ES3_S5_N6thrust23THRUST_200600_302600_NS17counting_iteratorIjNS8_11use_defaultESA_SA_EENS8_6detail15normal_iteratorINS8_10device_ptrIjEEEEZNS1_13binary_searchIS3_S5_SG_SB_SG_NS1_21upper_bound_search_opENSC_16wrapped_functionINS0_4lessIvEEbEEEE10hipError_tPvRmT1_T2_T3_mmT4_T5_P12ihipStream_tbEUlRKjE_EESN_SR_SS_mST_SW_bEUlT_E_NS1_11comp_targetILNS1_3genE9ELNS1_11target_archE1100ELNS1_3gpuE3ELNS1_3repE0EEENS1_30default_config_static_selectorELNS0_4arch9wavefront6targetE0EEEvSQ_.numbered_sgpr, 0
	.set _ZN7rocprim17ROCPRIM_400000_NS6detail17trampoline_kernelINS0_14default_configENS1_27upper_bound_config_selectorIjjEEZNS1_14transform_implILb0ES3_S5_N6thrust23THRUST_200600_302600_NS17counting_iteratorIjNS8_11use_defaultESA_SA_EENS8_6detail15normal_iteratorINS8_10device_ptrIjEEEEZNS1_13binary_searchIS3_S5_SG_SB_SG_NS1_21upper_bound_search_opENSC_16wrapped_functionINS0_4lessIvEEbEEEE10hipError_tPvRmT1_T2_T3_mmT4_T5_P12ihipStream_tbEUlRKjE_EESN_SR_SS_mST_SW_bEUlT_E_NS1_11comp_targetILNS1_3genE9ELNS1_11target_archE1100ELNS1_3gpuE3ELNS1_3repE0EEENS1_30default_config_static_selectorELNS0_4arch9wavefront6targetE0EEEvSQ_.num_named_barrier, 0
	.set _ZN7rocprim17ROCPRIM_400000_NS6detail17trampoline_kernelINS0_14default_configENS1_27upper_bound_config_selectorIjjEEZNS1_14transform_implILb0ES3_S5_N6thrust23THRUST_200600_302600_NS17counting_iteratorIjNS8_11use_defaultESA_SA_EENS8_6detail15normal_iteratorINS8_10device_ptrIjEEEEZNS1_13binary_searchIS3_S5_SG_SB_SG_NS1_21upper_bound_search_opENSC_16wrapped_functionINS0_4lessIvEEbEEEE10hipError_tPvRmT1_T2_T3_mmT4_T5_P12ihipStream_tbEUlRKjE_EESN_SR_SS_mST_SW_bEUlT_E_NS1_11comp_targetILNS1_3genE9ELNS1_11target_archE1100ELNS1_3gpuE3ELNS1_3repE0EEENS1_30default_config_static_selectorELNS0_4arch9wavefront6targetE0EEEvSQ_.private_seg_size, 0
	.set _ZN7rocprim17ROCPRIM_400000_NS6detail17trampoline_kernelINS0_14default_configENS1_27upper_bound_config_selectorIjjEEZNS1_14transform_implILb0ES3_S5_N6thrust23THRUST_200600_302600_NS17counting_iteratorIjNS8_11use_defaultESA_SA_EENS8_6detail15normal_iteratorINS8_10device_ptrIjEEEEZNS1_13binary_searchIS3_S5_SG_SB_SG_NS1_21upper_bound_search_opENSC_16wrapped_functionINS0_4lessIvEEbEEEE10hipError_tPvRmT1_T2_T3_mmT4_T5_P12ihipStream_tbEUlRKjE_EESN_SR_SS_mST_SW_bEUlT_E_NS1_11comp_targetILNS1_3genE9ELNS1_11target_archE1100ELNS1_3gpuE3ELNS1_3repE0EEENS1_30default_config_static_selectorELNS0_4arch9wavefront6targetE0EEEvSQ_.uses_vcc, 0
	.set _ZN7rocprim17ROCPRIM_400000_NS6detail17trampoline_kernelINS0_14default_configENS1_27upper_bound_config_selectorIjjEEZNS1_14transform_implILb0ES3_S5_N6thrust23THRUST_200600_302600_NS17counting_iteratorIjNS8_11use_defaultESA_SA_EENS8_6detail15normal_iteratorINS8_10device_ptrIjEEEEZNS1_13binary_searchIS3_S5_SG_SB_SG_NS1_21upper_bound_search_opENSC_16wrapped_functionINS0_4lessIvEEbEEEE10hipError_tPvRmT1_T2_T3_mmT4_T5_P12ihipStream_tbEUlRKjE_EESN_SR_SS_mST_SW_bEUlT_E_NS1_11comp_targetILNS1_3genE9ELNS1_11target_archE1100ELNS1_3gpuE3ELNS1_3repE0EEENS1_30default_config_static_selectorELNS0_4arch9wavefront6targetE0EEEvSQ_.uses_flat_scratch, 0
	.set _ZN7rocprim17ROCPRIM_400000_NS6detail17trampoline_kernelINS0_14default_configENS1_27upper_bound_config_selectorIjjEEZNS1_14transform_implILb0ES3_S5_N6thrust23THRUST_200600_302600_NS17counting_iteratorIjNS8_11use_defaultESA_SA_EENS8_6detail15normal_iteratorINS8_10device_ptrIjEEEEZNS1_13binary_searchIS3_S5_SG_SB_SG_NS1_21upper_bound_search_opENSC_16wrapped_functionINS0_4lessIvEEbEEEE10hipError_tPvRmT1_T2_T3_mmT4_T5_P12ihipStream_tbEUlRKjE_EESN_SR_SS_mST_SW_bEUlT_E_NS1_11comp_targetILNS1_3genE9ELNS1_11target_archE1100ELNS1_3gpuE3ELNS1_3repE0EEENS1_30default_config_static_selectorELNS0_4arch9wavefront6targetE0EEEvSQ_.has_dyn_sized_stack, 0
	.set _ZN7rocprim17ROCPRIM_400000_NS6detail17trampoline_kernelINS0_14default_configENS1_27upper_bound_config_selectorIjjEEZNS1_14transform_implILb0ES3_S5_N6thrust23THRUST_200600_302600_NS17counting_iteratorIjNS8_11use_defaultESA_SA_EENS8_6detail15normal_iteratorINS8_10device_ptrIjEEEEZNS1_13binary_searchIS3_S5_SG_SB_SG_NS1_21upper_bound_search_opENSC_16wrapped_functionINS0_4lessIvEEbEEEE10hipError_tPvRmT1_T2_T3_mmT4_T5_P12ihipStream_tbEUlRKjE_EESN_SR_SS_mST_SW_bEUlT_E_NS1_11comp_targetILNS1_3genE9ELNS1_11target_archE1100ELNS1_3gpuE3ELNS1_3repE0EEENS1_30default_config_static_selectorELNS0_4arch9wavefront6targetE0EEEvSQ_.has_recursion, 0
	.set _ZN7rocprim17ROCPRIM_400000_NS6detail17trampoline_kernelINS0_14default_configENS1_27upper_bound_config_selectorIjjEEZNS1_14transform_implILb0ES3_S5_N6thrust23THRUST_200600_302600_NS17counting_iteratorIjNS8_11use_defaultESA_SA_EENS8_6detail15normal_iteratorINS8_10device_ptrIjEEEEZNS1_13binary_searchIS3_S5_SG_SB_SG_NS1_21upper_bound_search_opENSC_16wrapped_functionINS0_4lessIvEEbEEEE10hipError_tPvRmT1_T2_T3_mmT4_T5_P12ihipStream_tbEUlRKjE_EESN_SR_SS_mST_SW_bEUlT_E_NS1_11comp_targetILNS1_3genE9ELNS1_11target_archE1100ELNS1_3gpuE3ELNS1_3repE0EEENS1_30default_config_static_selectorELNS0_4arch9wavefront6targetE0EEEvSQ_.has_indirect_call, 0
	.section	.AMDGPU.csdata,"",@progbits
; Kernel info:
; codeLenInByte = 0
; TotalNumSgprs: 0
; NumVgprs: 0
; ScratchSize: 0
; MemoryBound: 0
; FloatMode: 240
; IeeeMode: 1
; LDSByteSize: 0 bytes/workgroup (compile time only)
; SGPRBlocks: 0
; VGPRBlocks: 0
; NumSGPRsForWavesPerEU: 1
; NumVGPRsForWavesPerEU: 1
; NamedBarCnt: 0
; Occupancy: 16
; WaveLimiterHint : 0
; COMPUTE_PGM_RSRC2:SCRATCH_EN: 0
; COMPUTE_PGM_RSRC2:USER_SGPR: 2
; COMPUTE_PGM_RSRC2:TRAP_HANDLER: 0
; COMPUTE_PGM_RSRC2:TGID_X_EN: 1
; COMPUTE_PGM_RSRC2:TGID_Y_EN: 0
; COMPUTE_PGM_RSRC2:TGID_Z_EN: 0
; COMPUTE_PGM_RSRC2:TIDIG_COMP_CNT: 0
	.section	.text._ZN7rocprim17ROCPRIM_400000_NS6detail17trampoline_kernelINS0_14default_configENS1_27upper_bound_config_selectorIjjEEZNS1_14transform_implILb0ES3_S5_N6thrust23THRUST_200600_302600_NS17counting_iteratorIjNS8_11use_defaultESA_SA_EENS8_6detail15normal_iteratorINS8_10device_ptrIjEEEEZNS1_13binary_searchIS3_S5_SG_SB_SG_NS1_21upper_bound_search_opENSC_16wrapped_functionINS0_4lessIvEEbEEEE10hipError_tPvRmT1_T2_T3_mmT4_T5_P12ihipStream_tbEUlRKjE_EESN_SR_SS_mST_SW_bEUlT_E_NS1_11comp_targetILNS1_3genE8ELNS1_11target_archE1030ELNS1_3gpuE2ELNS1_3repE0EEENS1_30default_config_static_selectorELNS0_4arch9wavefront6targetE0EEEvSQ_,"axG",@progbits,_ZN7rocprim17ROCPRIM_400000_NS6detail17trampoline_kernelINS0_14default_configENS1_27upper_bound_config_selectorIjjEEZNS1_14transform_implILb0ES3_S5_N6thrust23THRUST_200600_302600_NS17counting_iteratorIjNS8_11use_defaultESA_SA_EENS8_6detail15normal_iteratorINS8_10device_ptrIjEEEEZNS1_13binary_searchIS3_S5_SG_SB_SG_NS1_21upper_bound_search_opENSC_16wrapped_functionINS0_4lessIvEEbEEEE10hipError_tPvRmT1_T2_T3_mmT4_T5_P12ihipStream_tbEUlRKjE_EESN_SR_SS_mST_SW_bEUlT_E_NS1_11comp_targetILNS1_3genE8ELNS1_11target_archE1030ELNS1_3gpuE2ELNS1_3repE0EEENS1_30default_config_static_selectorELNS0_4arch9wavefront6targetE0EEEvSQ_,comdat
	.protected	_ZN7rocprim17ROCPRIM_400000_NS6detail17trampoline_kernelINS0_14default_configENS1_27upper_bound_config_selectorIjjEEZNS1_14transform_implILb0ES3_S5_N6thrust23THRUST_200600_302600_NS17counting_iteratorIjNS8_11use_defaultESA_SA_EENS8_6detail15normal_iteratorINS8_10device_ptrIjEEEEZNS1_13binary_searchIS3_S5_SG_SB_SG_NS1_21upper_bound_search_opENSC_16wrapped_functionINS0_4lessIvEEbEEEE10hipError_tPvRmT1_T2_T3_mmT4_T5_P12ihipStream_tbEUlRKjE_EESN_SR_SS_mST_SW_bEUlT_E_NS1_11comp_targetILNS1_3genE8ELNS1_11target_archE1030ELNS1_3gpuE2ELNS1_3repE0EEENS1_30default_config_static_selectorELNS0_4arch9wavefront6targetE0EEEvSQ_ ; -- Begin function _ZN7rocprim17ROCPRIM_400000_NS6detail17trampoline_kernelINS0_14default_configENS1_27upper_bound_config_selectorIjjEEZNS1_14transform_implILb0ES3_S5_N6thrust23THRUST_200600_302600_NS17counting_iteratorIjNS8_11use_defaultESA_SA_EENS8_6detail15normal_iteratorINS8_10device_ptrIjEEEEZNS1_13binary_searchIS3_S5_SG_SB_SG_NS1_21upper_bound_search_opENSC_16wrapped_functionINS0_4lessIvEEbEEEE10hipError_tPvRmT1_T2_T3_mmT4_T5_P12ihipStream_tbEUlRKjE_EESN_SR_SS_mST_SW_bEUlT_E_NS1_11comp_targetILNS1_3genE8ELNS1_11target_archE1030ELNS1_3gpuE2ELNS1_3repE0EEENS1_30default_config_static_selectorELNS0_4arch9wavefront6targetE0EEEvSQ_
	.globl	_ZN7rocprim17ROCPRIM_400000_NS6detail17trampoline_kernelINS0_14default_configENS1_27upper_bound_config_selectorIjjEEZNS1_14transform_implILb0ES3_S5_N6thrust23THRUST_200600_302600_NS17counting_iteratorIjNS8_11use_defaultESA_SA_EENS8_6detail15normal_iteratorINS8_10device_ptrIjEEEEZNS1_13binary_searchIS3_S5_SG_SB_SG_NS1_21upper_bound_search_opENSC_16wrapped_functionINS0_4lessIvEEbEEEE10hipError_tPvRmT1_T2_T3_mmT4_T5_P12ihipStream_tbEUlRKjE_EESN_SR_SS_mST_SW_bEUlT_E_NS1_11comp_targetILNS1_3genE8ELNS1_11target_archE1030ELNS1_3gpuE2ELNS1_3repE0EEENS1_30default_config_static_selectorELNS0_4arch9wavefront6targetE0EEEvSQ_
	.p2align	8
	.type	_ZN7rocprim17ROCPRIM_400000_NS6detail17trampoline_kernelINS0_14default_configENS1_27upper_bound_config_selectorIjjEEZNS1_14transform_implILb0ES3_S5_N6thrust23THRUST_200600_302600_NS17counting_iteratorIjNS8_11use_defaultESA_SA_EENS8_6detail15normal_iteratorINS8_10device_ptrIjEEEEZNS1_13binary_searchIS3_S5_SG_SB_SG_NS1_21upper_bound_search_opENSC_16wrapped_functionINS0_4lessIvEEbEEEE10hipError_tPvRmT1_T2_T3_mmT4_T5_P12ihipStream_tbEUlRKjE_EESN_SR_SS_mST_SW_bEUlT_E_NS1_11comp_targetILNS1_3genE8ELNS1_11target_archE1030ELNS1_3gpuE2ELNS1_3repE0EEENS1_30default_config_static_selectorELNS0_4arch9wavefront6targetE0EEEvSQ_,@function
_ZN7rocprim17ROCPRIM_400000_NS6detail17trampoline_kernelINS0_14default_configENS1_27upper_bound_config_selectorIjjEEZNS1_14transform_implILb0ES3_S5_N6thrust23THRUST_200600_302600_NS17counting_iteratorIjNS8_11use_defaultESA_SA_EENS8_6detail15normal_iteratorINS8_10device_ptrIjEEEEZNS1_13binary_searchIS3_S5_SG_SB_SG_NS1_21upper_bound_search_opENSC_16wrapped_functionINS0_4lessIvEEbEEEE10hipError_tPvRmT1_T2_T3_mmT4_T5_P12ihipStream_tbEUlRKjE_EESN_SR_SS_mST_SW_bEUlT_E_NS1_11comp_targetILNS1_3genE8ELNS1_11target_archE1030ELNS1_3gpuE2ELNS1_3repE0EEENS1_30default_config_static_selectorELNS0_4arch9wavefront6targetE0EEEvSQ_: ; @_ZN7rocprim17ROCPRIM_400000_NS6detail17trampoline_kernelINS0_14default_configENS1_27upper_bound_config_selectorIjjEEZNS1_14transform_implILb0ES3_S5_N6thrust23THRUST_200600_302600_NS17counting_iteratorIjNS8_11use_defaultESA_SA_EENS8_6detail15normal_iteratorINS8_10device_ptrIjEEEEZNS1_13binary_searchIS3_S5_SG_SB_SG_NS1_21upper_bound_search_opENSC_16wrapped_functionINS0_4lessIvEEbEEEE10hipError_tPvRmT1_T2_T3_mmT4_T5_P12ihipStream_tbEUlRKjE_EESN_SR_SS_mST_SW_bEUlT_E_NS1_11comp_targetILNS1_3genE8ELNS1_11target_archE1030ELNS1_3gpuE2ELNS1_3repE0EEENS1_30default_config_static_selectorELNS0_4arch9wavefront6targetE0EEEvSQ_
; %bb.0:
	.section	.rodata,"a",@progbits
	.p2align	6, 0x0
	.amdhsa_kernel _ZN7rocprim17ROCPRIM_400000_NS6detail17trampoline_kernelINS0_14default_configENS1_27upper_bound_config_selectorIjjEEZNS1_14transform_implILb0ES3_S5_N6thrust23THRUST_200600_302600_NS17counting_iteratorIjNS8_11use_defaultESA_SA_EENS8_6detail15normal_iteratorINS8_10device_ptrIjEEEEZNS1_13binary_searchIS3_S5_SG_SB_SG_NS1_21upper_bound_search_opENSC_16wrapped_functionINS0_4lessIvEEbEEEE10hipError_tPvRmT1_T2_T3_mmT4_T5_P12ihipStream_tbEUlRKjE_EESN_SR_SS_mST_SW_bEUlT_E_NS1_11comp_targetILNS1_3genE8ELNS1_11target_archE1030ELNS1_3gpuE2ELNS1_3repE0EEENS1_30default_config_static_selectorELNS0_4arch9wavefront6targetE0EEEvSQ_
		.amdhsa_group_segment_fixed_size 0
		.amdhsa_private_segment_fixed_size 0
		.amdhsa_kernarg_size 56
		.amdhsa_user_sgpr_count 2
		.amdhsa_user_sgpr_dispatch_ptr 0
		.amdhsa_user_sgpr_queue_ptr 0
		.amdhsa_user_sgpr_kernarg_segment_ptr 1
		.amdhsa_user_sgpr_dispatch_id 0
		.amdhsa_user_sgpr_kernarg_preload_length 0
		.amdhsa_user_sgpr_kernarg_preload_offset 0
		.amdhsa_user_sgpr_private_segment_size 0
		.amdhsa_wavefront_size32 1
		.amdhsa_uses_dynamic_stack 0
		.amdhsa_enable_private_segment 0
		.amdhsa_system_sgpr_workgroup_id_x 1
		.amdhsa_system_sgpr_workgroup_id_y 0
		.amdhsa_system_sgpr_workgroup_id_z 0
		.amdhsa_system_sgpr_workgroup_info 0
		.amdhsa_system_vgpr_workitem_id 0
		.amdhsa_next_free_vgpr 1
		.amdhsa_next_free_sgpr 1
		.amdhsa_named_barrier_count 0
		.amdhsa_reserve_vcc 0
		.amdhsa_float_round_mode_32 0
		.amdhsa_float_round_mode_16_64 0
		.amdhsa_float_denorm_mode_32 3
		.amdhsa_float_denorm_mode_16_64 3
		.amdhsa_fp16_overflow 0
		.amdhsa_memory_ordered 1
		.amdhsa_forward_progress 1
		.amdhsa_inst_pref_size 0
		.amdhsa_round_robin_scheduling 0
		.amdhsa_exception_fp_ieee_invalid_op 0
		.amdhsa_exception_fp_denorm_src 0
		.amdhsa_exception_fp_ieee_div_zero 0
		.amdhsa_exception_fp_ieee_overflow 0
		.amdhsa_exception_fp_ieee_underflow 0
		.amdhsa_exception_fp_ieee_inexact 0
		.amdhsa_exception_int_div_zero 0
	.end_amdhsa_kernel
	.section	.text._ZN7rocprim17ROCPRIM_400000_NS6detail17trampoline_kernelINS0_14default_configENS1_27upper_bound_config_selectorIjjEEZNS1_14transform_implILb0ES3_S5_N6thrust23THRUST_200600_302600_NS17counting_iteratorIjNS8_11use_defaultESA_SA_EENS8_6detail15normal_iteratorINS8_10device_ptrIjEEEEZNS1_13binary_searchIS3_S5_SG_SB_SG_NS1_21upper_bound_search_opENSC_16wrapped_functionINS0_4lessIvEEbEEEE10hipError_tPvRmT1_T2_T3_mmT4_T5_P12ihipStream_tbEUlRKjE_EESN_SR_SS_mST_SW_bEUlT_E_NS1_11comp_targetILNS1_3genE8ELNS1_11target_archE1030ELNS1_3gpuE2ELNS1_3repE0EEENS1_30default_config_static_selectorELNS0_4arch9wavefront6targetE0EEEvSQ_,"axG",@progbits,_ZN7rocprim17ROCPRIM_400000_NS6detail17trampoline_kernelINS0_14default_configENS1_27upper_bound_config_selectorIjjEEZNS1_14transform_implILb0ES3_S5_N6thrust23THRUST_200600_302600_NS17counting_iteratorIjNS8_11use_defaultESA_SA_EENS8_6detail15normal_iteratorINS8_10device_ptrIjEEEEZNS1_13binary_searchIS3_S5_SG_SB_SG_NS1_21upper_bound_search_opENSC_16wrapped_functionINS0_4lessIvEEbEEEE10hipError_tPvRmT1_T2_T3_mmT4_T5_P12ihipStream_tbEUlRKjE_EESN_SR_SS_mST_SW_bEUlT_E_NS1_11comp_targetILNS1_3genE8ELNS1_11target_archE1030ELNS1_3gpuE2ELNS1_3repE0EEENS1_30default_config_static_selectorELNS0_4arch9wavefront6targetE0EEEvSQ_,comdat
.Lfunc_end247:
	.size	_ZN7rocprim17ROCPRIM_400000_NS6detail17trampoline_kernelINS0_14default_configENS1_27upper_bound_config_selectorIjjEEZNS1_14transform_implILb0ES3_S5_N6thrust23THRUST_200600_302600_NS17counting_iteratorIjNS8_11use_defaultESA_SA_EENS8_6detail15normal_iteratorINS8_10device_ptrIjEEEEZNS1_13binary_searchIS3_S5_SG_SB_SG_NS1_21upper_bound_search_opENSC_16wrapped_functionINS0_4lessIvEEbEEEE10hipError_tPvRmT1_T2_T3_mmT4_T5_P12ihipStream_tbEUlRKjE_EESN_SR_SS_mST_SW_bEUlT_E_NS1_11comp_targetILNS1_3genE8ELNS1_11target_archE1030ELNS1_3gpuE2ELNS1_3repE0EEENS1_30default_config_static_selectorELNS0_4arch9wavefront6targetE0EEEvSQ_, .Lfunc_end247-_ZN7rocprim17ROCPRIM_400000_NS6detail17trampoline_kernelINS0_14default_configENS1_27upper_bound_config_selectorIjjEEZNS1_14transform_implILb0ES3_S5_N6thrust23THRUST_200600_302600_NS17counting_iteratorIjNS8_11use_defaultESA_SA_EENS8_6detail15normal_iteratorINS8_10device_ptrIjEEEEZNS1_13binary_searchIS3_S5_SG_SB_SG_NS1_21upper_bound_search_opENSC_16wrapped_functionINS0_4lessIvEEbEEEE10hipError_tPvRmT1_T2_T3_mmT4_T5_P12ihipStream_tbEUlRKjE_EESN_SR_SS_mST_SW_bEUlT_E_NS1_11comp_targetILNS1_3genE8ELNS1_11target_archE1030ELNS1_3gpuE2ELNS1_3repE0EEENS1_30default_config_static_selectorELNS0_4arch9wavefront6targetE0EEEvSQ_
                                        ; -- End function
	.set _ZN7rocprim17ROCPRIM_400000_NS6detail17trampoline_kernelINS0_14default_configENS1_27upper_bound_config_selectorIjjEEZNS1_14transform_implILb0ES3_S5_N6thrust23THRUST_200600_302600_NS17counting_iteratorIjNS8_11use_defaultESA_SA_EENS8_6detail15normal_iteratorINS8_10device_ptrIjEEEEZNS1_13binary_searchIS3_S5_SG_SB_SG_NS1_21upper_bound_search_opENSC_16wrapped_functionINS0_4lessIvEEbEEEE10hipError_tPvRmT1_T2_T3_mmT4_T5_P12ihipStream_tbEUlRKjE_EESN_SR_SS_mST_SW_bEUlT_E_NS1_11comp_targetILNS1_3genE8ELNS1_11target_archE1030ELNS1_3gpuE2ELNS1_3repE0EEENS1_30default_config_static_selectorELNS0_4arch9wavefront6targetE0EEEvSQ_.num_vgpr, 0
	.set _ZN7rocprim17ROCPRIM_400000_NS6detail17trampoline_kernelINS0_14default_configENS1_27upper_bound_config_selectorIjjEEZNS1_14transform_implILb0ES3_S5_N6thrust23THRUST_200600_302600_NS17counting_iteratorIjNS8_11use_defaultESA_SA_EENS8_6detail15normal_iteratorINS8_10device_ptrIjEEEEZNS1_13binary_searchIS3_S5_SG_SB_SG_NS1_21upper_bound_search_opENSC_16wrapped_functionINS0_4lessIvEEbEEEE10hipError_tPvRmT1_T2_T3_mmT4_T5_P12ihipStream_tbEUlRKjE_EESN_SR_SS_mST_SW_bEUlT_E_NS1_11comp_targetILNS1_3genE8ELNS1_11target_archE1030ELNS1_3gpuE2ELNS1_3repE0EEENS1_30default_config_static_selectorELNS0_4arch9wavefront6targetE0EEEvSQ_.num_agpr, 0
	.set _ZN7rocprim17ROCPRIM_400000_NS6detail17trampoline_kernelINS0_14default_configENS1_27upper_bound_config_selectorIjjEEZNS1_14transform_implILb0ES3_S5_N6thrust23THRUST_200600_302600_NS17counting_iteratorIjNS8_11use_defaultESA_SA_EENS8_6detail15normal_iteratorINS8_10device_ptrIjEEEEZNS1_13binary_searchIS3_S5_SG_SB_SG_NS1_21upper_bound_search_opENSC_16wrapped_functionINS0_4lessIvEEbEEEE10hipError_tPvRmT1_T2_T3_mmT4_T5_P12ihipStream_tbEUlRKjE_EESN_SR_SS_mST_SW_bEUlT_E_NS1_11comp_targetILNS1_3genE8ELNS1_11target_archE1030ELNS1_3gpuE2ELNS1_3repE0EEENS1_30default_config_static_selectorELNS0_4arch9wavefront6targetE0EEEvSQ_.numbered_sgpr, 0
	.set _ZN7rocprim17ROCPRIM_400000_NS6detail17trampoline_kernelINS0_14default_configENS1_27upper_bound_config_selectorIjjEEZNS1_14transform_implILb0ES3_S5_N6thrust23THRUST_200600_302600_NS17counting_iteratorIjNS8_11use_defaultESA_SA_EENS8_6detail15normal_iteratorINS8_10device_ptrIjEEEEZNS1_13binary_searchIS3_S5_SG_SB_SG_NS1_21upper_bound_search_opENSC_16wrapped_functionINS0_4lessIvEEbEEEE10hipError_tPvRmT1_T2_T3_mmT4_T5_P12ihipStream_tbEUlRKjE_EESN_SR_SS_mST_SW_bEUlT_E_NS1_11comp_targetILNS1_3genE8ELNS1_11target_archE1030ELNS1_3gpuE2ELNS1_3repE0EEENS1_30default_config_static_selectorELNS0_4arch9wavefront6targetE0EEEvSQ_.num_named_barrier, 0
	.set _ZN7rocprim17ROCPRIM_400000_NS6detail17trampoline_kernelINS0_14default_configENS1_27upper_bound_config_selectorIjjEEZNS1_14transform_implILb0ES3_S5_N6thrust23THRUST_200600_302600_NS17counting_iteratorIjNS8_11use_defaultESA_SA_EENS8_6detail15normal_iteratorINS8_10device_ptrIjEEEEZNS1_13binary_searchIS3_S5_SG_SB_SG_NS1_21upper_bound_search_opENSC_16wrapped_functionINS0_4lessIvEEbEEEE10hipError_tPvRmT1_T2_T3_mmT4_T5_P12ihipStream_tbEUlRKjE_EESN_SR_SS_mST_SW_bEUlT_E_NS1_11comp_targetILNS1_3genE8ELNS1_11target_archE1030ELNS1_3gpuE2ELNS1_3repE0EEENS1_30default_config_static_selectorELNS0_4arch9wavefront6targetE0EEEvSQ_.private_seg_size, 0
	.set _ZN7rocprim17ROCPRIM_400000_NS6detail17trampoline_kernelINS0_14default_configENS1_27upper_bound_config_selectorIjjEEZNS1_14transform_implILb0ES3_S5_N6thrust23THRUST_200600_302600_NS17counting_iteratorIjNS8_11use_defaultESA_SA_EENS8_6detail15normal_iteratorINS8_10device_ptrIjEEEEZNS1_13binary_searchIS3_S5_SG_SB_SG_NS1_21upper_bound_search_opENSC_16wrapped_functionINS0_4lessIvEEbEEEE10hipError_tPvRmT1_T2_T3_mmT4_T5_P12ihipStream_tbEUlRKjE_EESN_SR_SS_mST_SW_bEUlT_E_NS1_11comp_targetILNS1_3genE8ELNS1_11target_archE1030ELNS1_3gpuE2ELNS1_3repE0EEENS1_30default_config_static_selectorELNS0_4arch9wavefront6targetE0EEEvSQ_.uses_vcc, 0
	.set _ZN7rocprim17ROCPRIM_400000_NS6detail17trampoline_kernelINS0_14default_configENS1_27upper_bound_config_selectorIjjEEZNS1_14transform_implILb0ES3_S5_N6thrust23THRUST_200600_302600_NS17counting_iteratorIjNS8_11use_defaultESA_SA_EENS8_6detail15normal_iteratorINS8_10device_ptrIjEEEEZNS1_13binary_searchIS3_S5_SG_SB_SG_NS1_21upper_bound_search_opENSC_16wrapped_functionINS0_4lessIvEEbEEEE10hipError_tPvRmT1_T2_T3_mmT4_T5_P12ihipStream_tbEUlRKjE_EESN_SR_SS_mST_SW_bEUlT_E_NS1_11comp_targetILNS1_3genE8ELNS1_11target_archE1030ELNS1_3gpuE2ELNS1_3repE0EEENS1_30default_config_static_selectorELNS0_4arch9wavefront6targetE0EEEvSQ_.uses_flat_scratch, 0
	.set _ZN7rocprim17ROCPRIM_400000_NS6detail17trampoline_kernelINS0_14default_configENS1_27upper_bound_config_selectorIjjEEZNS1_14transform_implILb0ES3_S5_N6thrust23THRUST_200600_302600_NS17counting_iteratorIjNS8_11use_defaultESA_SA_EENS8_6detail15normal_iteratorINS8_10device_ptrIjEEEEZNS1_13binary_searchIS3_S5_SG_SB_SG_NS1_21upper_bound_search_opENSC_16wrapped_functionINS0_4lessIvEEbEEEE10hipError_tPvRmT1_T2_T3_mmT4_T5_P12ihipStream_tbEUlRKjE_EESN_SR_SS_mST_SW_bEUlT_E_NS1_11comp_targetILNS1_3genE8ELNS1_11target_archE1030ELNS1_3gpuE2ELNS1_3repE0EEENS1_30default_config_static_selectorELNS0_4arch9wavefront6targetE0EEEvSQ_.has_dyn_sized_stack, 0
	.set _ZN7rocprim17ROCPRIM_400000_NS6detail17trampoline_kernelINS0_14default_configENS1_27upper_bound_config_selectorIjjEEZNS1_14transform_implILb0ES3_S5_N6thrust23THRUST_200600_302600_NS17counting_iteratorIjNS8_11use_defaultESA_SA_EENS8_6detail15normal_iteratorINS8_10device_ptrIjEEEEZNS1_13binary_searchIS3_S5_SG_SB_SG_NS1_21upper_bound_search_opENSC_16wrapped_functionINS0_4lessIvEEbEEEE10hipError_tPvRmT1_T2_T3_mmT4_T5_P12ihipStream_tbEUlRKjE_EESN_SR_SS_mST_SW_bEUlT_E_NS1_11comp_targetILNS1_3genE8ELNS1_11target_archE1030ELNS1_3gpuE2ELNS1_3repE0EEENS1_30default_config_static_selectorELNS0_4arch9wavefront6targetE0EEEvSQ_.has_recursion, 0
	.set _ZN7rocprim17ROCPRIM_400000_NS6detail17trampoline_kernelINS0_14default_configENS1_27upper_bound_config_selectorIjjEEZNS1_14transform_implILb0ES3_S5_N6thrust23THRUST_200600_302600_NS17counting_iteratorIjNS8_11use_defaultESA_SA_EENS8_6detail15normal_iteratorINS8_10device_ptrIjEEEEZNS1_13binary_searchIS3_S5_SG_SB_SG_NS1_21upper_bound_search_opENSC_16wrapped_functionINS0_4lessIvEEbEEEE10hipError_tPvRmT1_T2_T3_mmT4_T5_P12ihipStream_tbEUlRKjE_EESN_SR_SS_mST_SW_bEUlT_E_NS1_11comp_targetILNS1_3genE8ELNS1_11target_archE1030ELNS1_3gpuE2ELNS1_3repE0EEENS1_30default_config_static_selectorELNS0_4arch9wavefront6targetE0EEEvSQ_.has_indirect_call, 0
	.section	.AMDGPU.csdata,"",@progbits
; Kernel info:
; codeLenInByte = 0
; TotalNumSgprs: 0
; NumVgprs: 0
; ScratchSize: 0
; MemoryBound: 0
; FloatMode: 240
; IeeeMode: 1
; LDSByteSize: 0 bytes/workgroup (compile time only)
; SGPRBlocks: 0
; VGPRBlocks: 0
; NumSGPRsForWavesPerEU: 1
; NumVGPRsForWavesPerEU: 1
; NamedBarCnt: 0
; Occupancy: 16
; WaveLimiterHint : 0
; COMPUTE_PGM_RSRC2:SCRATCH_EN: 0
; COMPUTE_PGM_RSRC2:USER_SGPR: 2
; COMPUTE_PGM_RSRC2:TRAP_HANDLER: 0
; COMPUTE_PGM_RSRC2:TGID_X_EN: 1
; COMPUTE_PGM_RSRC2:TGID_Y_EN: 0
; COMPUTE_PGM_RSRC2:TGID_Z_EN: 0
; COMPUTE_PGM_RSRC2:TIDIG_COMP_CNT: 0
	.section	.text._ZN6thrust23THRUST_200600_302600_NS11hip_rocprim14__parallel_for6kernelILj256ENS1_20__uninitialized_copy7functorINS0_10device_ptrINS0_5tupleIffNS0_9null_typeES8_S8_S8_S8_S8_S8_S8_EEEENS0_7pointerIS9_NS1_3tagENS0_11use_defaultESD_EEEEmLj1EEEvT0_T1_SH_,"axG",@progbits,_ZN6thrust23THRUST_200600_302600_NS11hip_rocprim14__parallel_for6kernelILj256ENS1_20__uninitialized_copy7functorINS0_10device_ptrINS0_5tupleIffNS0_9null_typeES8_S8_S8_S8_S8_S8_S8_EEEENS0_7pointerIS9_NS1_3tagENS0_11use_defaultESD_EEEEmLj1EEEvT0_T1_SH_,comdat
	.protected	_ZN6thrust23THRUST_200600_302600_NS11hip_rocprim14__parallel_for6kernelILj256ENS1_20__uninitialized_copy7functorINS0_10device_ptrINS0_5tupleIffNS0_9null_typeES8_S8_S8_S8_S8_S8_S8_EEEENS0_7pointerIS9_NS1_3tagENS0_11use_defaultESD_EEEEmLj1EEEvT0_T1_SH_ ; -- Begin function _ZN6thrust23THRUST_200600_302600_NS11hip_rocprim14__parallel_for6kernelILj256ENS1_20__uninitialized_copy7functorINS0_10device_ptrINS0_5tupleIffNS0_9null_typeES8_S8_S8_S8_S8_S8_S8_EEEENS0_7pointerIS9_NS1_3tagENS0_11use_defaultESD_EEEEmLj1EEEvT0_T1_SH_
	.globl	_ZN6thrust23THRUST_200600_302600_NS11hip_rocprim14__parallel_for6kernelILj256ENS1_20__uninitialized_copy7functorINS0_10device_ptrINS0_5tupleIffNS0_9null_typeES8_S8_S8_S8_S8_S8_S8_EEEENS0_7pointerIS9_NS1_3tagENS0_11use_defaultESD_EEEEmLj1EEEvT0_T1_SH_
	.p2align	8
	.type	_ZN6thrust23THRUST_200600_302600_NS11hip_rocprim14__parallel_for6kernelILj256ENS1_20__uninitialized_copy7functorINS0_10device_ptrINS0_5tupleIffNS0_9null_typeES8_S8_S8_S8_S8_S8_S8_EEEENS0_7pointerIS9_NS1_3tagENS0_11use_defaultESD_EEEEmLj1EEEvT0_T1_SH_,@function
_ZN6thrust23THRUST_200600_302600_NS11hip_rocprim14__parallel_for6kernelILj256ENS1_20__uninitialized_copy7functorINS0_10device_ptrINS0_5tupleIffNS0_9null_typeES8_S8_S8_S8_S8_S8_S8_EEEENS0_7pointerIS9_NS1_3tagENS0_11use_defaultESD_EEEEmLj1EEEvT0_T1_SH_: ; @_ZN6thrust23THRUST_200600_302600_NS11hip_rocprim14__parallel_for6kernelILj256ENS1_20__uninitialized_copy7functorINS0_10device_ptrINS0_5tupleIffNS0_9null_typeES8_S8_S8_S8_S8_S8_S8_EEEENS0_7pointerIS9_NS1_3tagENS0_11use_defaultESD_EEEEmLj1EEEvT0_T1_SH_
; %bb.0:
	s_load_b256 s[4:11], s[0:1], 0x0
	s_wait_xcnt 0x0
	s_bfe_u32 s0, ttmp6, 0x4000c
	s_and_b32 s1, ttmp6, 15
	s_add_co_i32 s0, s0, 1
	s_getreg_b32 s2, hwreg(HW_REG_IB_STS2, 6, 4)
	s_mul_i32 s0, ttmp9, s0
	s_delay_alu instid0(SALU_CYCLE_1)
	s_add_co_i32 s1, s1, s0
	s_cmp_eq_u32 s2, 0
	s_cselect_b32 s0, ttmp9, s1
	s_mov_b32 s1, 0
	s_lshl_b32 s0, s0, 8
	s_wait_kmcnt 0x0
	s_add_nc_u64 s[0:1], s[10:11], s[0:1]
	s_delay_alu instid0(SALU_CYCLE_1) | instskip(NEXT) | instid1(SALU_CYCLE_1)
	s_sub_nc_u64 s[2:3], s[8:9], s[0:1]
	v_cmp_lt_u64_e64 s3, 0xff, s[2:3]
	s_and_b32 vcc_lo, exec_lo, s3
	s_mov_b32 s3, -1
	s_cbranch_vccz .LBB248_3
; %bb.1:
	s_and_not1_b32 vcc_lo, exec_lo, s3
	s_cbranch_vccz .LBB248_6
.LBB248_2:
	s_endpgm
.LBB248_3:
	v_cmp_gt_u32_e32 vcc_lo, s2, v0
	s_and_saveexec_b32 s2, vcc_lo
	s_cbranch_execz .LBB248_5
; %bb.4:
	v_mov_b32_e32 v1, 0
	s_delay_alu instid0(VALU_DEP_1) | instskip(NEXT) | instid1(VALU_DEP_1)
	v_add_nc_u64_e32 v[2:3], s[0:1], v[0:1]
	v_lshlrev_b64_e32 v[2:3], 3, v[2:3]
	s_delay_alu instid0(VALU_DEP_1)
	v_add_nc_u64_e32 v[4:5], s[4:5], v[2:3]
	v_add_nc_u64_e32 v[2:3], s[6:7], v[2:3]
	flat_load_b64 v[4:5], v[4:5]
	s_wait_loadcnt_dscnt 0x0
	flat_store_b64 v[2:3], v[4:5]
.LBB248_5:
	s_wait_xcnt 0x0
	s_or_b32 exec_lo, exec_lo, s2
	s_cbranch_execnz .LBB248_2
.LBB248_6:
	v_mov_b32_e32 v1, 0
	s_delay_alu instid0(VALU_DEP_1) | instskip(NEXT) | instid1(VALU_DEP_1)
	v_add_nc_u64_e32 v[0:1], s[0:1], v[0:1]
	v_lshlrev_b64_e32 v[0:1], 3, v[0:1]
	s_delay_alu instid0(VALU_DEP_1)
	v_add_nc_u64_e32 v[2:3], s[4:5], v[0:1]
	v_add_nc_u64_e32 v[0:1], s[6:7], v[0:1]
	flat_load_b64 v[2:3], v[2:3]
	s_wait_loadcnt_dscnt 0x0
	flat_store_b64 v[0:1], v[2:3]
	s_endpgm
	.section	.rodata,"a",@progbits
	.p2align	6, 0x0
	.amdhsa_kernel _ZN6thrust23THRUST_200600_302600_NS11hip_rocprim14__parallel_for6kernelILj256ENS1_20__uninitialized_copy7functorINS0_10device_ptrINS0_5tupleIffNS0_9null_typeES8_S8_S8_S8_S8_S8_S8_EEEENS0_7pointerIS9_NS1_3tagENS0_11use_defaultESD_EEEEmLj1EEEvT0_T1_SH_
		.amdhsa_group_segment_fixed_size 0
		.amdhsa_private_segment_fixed_size 0
		.amdhsa_kernarg_size 32
		.amdhsa_user_sgpr_count 2
		.amdhsa_user_sgpr_dispatch_ptr 0
		.amdhsa_user_sgpr_queue_ptr 0
		.amdhsa_user_sgpr_kernarg_segment_ptr 1
		.amdhsa_user_sgpr_dispatch_id 0
		.amdhsa_user_sgpr_kernarg_preload_length 0
		.amdhsa_user_sgpr_kernarg_preload_offset 0
		.amdhsa_user_sgpr_private_segment_size 0
		.amdhsa_wavefront_size32 1
		.amdhsa_uses_dynamic_stack 0
		.amdhsa_enable_private_segment 0
		.amdhsa_system_sgpr_workgroup_id_x 1
		.amdhsa_system_sgpr_workgroup_id_y 0
		.amdhsa_system_sgpr_workgroup_id_z 0
		.amdhsa_system_sgpr_workgroup_info 0
		.amdhsa_system_vgpr_workitem_id 0
		.amdhsa_next_free_vgpr 6
		.amdhsa_next_free_sgpr 12
		.amdhsa_named_barrier_count 0
		.amdhsa_reserve_vcc 1
		.amdhsa_float_round_mode_32 0
		.amdhsa_float_round_mode_16_64 0
		.amdhsa_float_denorm_mode_32 3
		.amdhsa_float_denorm_mode_16_64 3
		.amdhsa_fp16_overflow 0
		.amdhsa_memory_ordered 1
		.amdhsa_forward_progress 1
		.amdhsa_inst_pref_size 2
		.amdhsa_round_robin_scheduling 0
		.amdhsa_exception_fp_ieee_invalid_op 0
		.amdhsa_exception_fp_denorm_src 0
		.amdhsa_exception_fp_ieee_div_zero 0
		.amdhsa_exception_fp_ieee_overflow 0
		.amdhsa_exception_fp_ieee_underflow 0
		.amdhsa_exception_fp_ieee_inexact 0
		.amdhsa_exception_int_div_zero 0
	.end_amdhsa_kernel
	.section	.text._ZN6thrust23THRUST_200600_302600_NS11hip_rocprim14__parallel_for6kernelILj256ENS1_20__uninitialized_copy7functorINS0_10device_ptrINS0_5tupleIffNS0_9null_typeES8_S8_S8_S8_S8_S8_S8_EEEENS0_7pointerIS9_NS1_3tagENS0_11use_defaultESD_EEEEmLj1EEEvT0_T1_SH_,"axG",@progbits,_ZN6thrust23THRUST_200600_302600_NS11hip_rocprim14__parallel_for6kernelILj256ENS1_20__uninitialized_copy7functorINS0_10device_ptrINS0_5tupleIffNS0_9null_typeES8_S8_S8_S8_S8_S8_S8_EEEENS0_7pointerIS9_NS1_3tagENS0_11use_defaultESD_EEEEmLj1EEEvT0_T1_SH_,comdat
.Lfunc_end248:
	.size	_ZN6thrust23THRUST_200600_302600_NS11hip_rocprim14__parallel_for6kernelILj256ENS1_20__uninitialized_copy7functorINS0_10device_ptrINS0_5tupleIffNS0_9null_typeES8_S8_S8_S8_S8_S8_S8_EEEENS0_7pointerIS9_NS1_3tagENS0_11use_defaultESD_EEEEmLj1EEEvT0_T1_SH_, .Lfunc_end248-_ZN6thrust23THRUST_200600_302600_NS11hip_rocprim14__parallel_for6kernelILj256ENS1_20__uninitialized_copy7functorINS0_10device_ptrINS0_5tupleIffNS0_9null_typeES8_S8_S8_S8_S8_S8_S8_EEEENS0_7pointerIS9_NS1_3tagENS0_11use_defaultESD_EEEEmLj1EEEvT0_T1_SH_
                                        ; -- End function
	.set _ZN6thrust23THRUST_200600_302600_NS11hip_rocprim14__parallel_for6kernelILj256ENS1_20__uninitialized_copy7functorINS0_10device_ptrINS0_5tupleIffNS0_9null_typeES8_S8_S8_S8_S8_S8_S8_EEEENS0_7pointerIS9_NS1_3tagENS0_11use_defaultESD_EEEEmLj1EEEvT0_T1_SH_.num_vgpr, 6
	.set _ZN6thrust23THRUST_200600_302600_NS11hip_rocprim14__parallel_for6kernelILj256ENS1_20__uninitialized_copy7functorINS0_10device_ptrINS0_5tupleIffNS0_9null_typeES8_S8_S8_S8_S8_S8_S8_EEEENS0_7pointerIS9_NS1_3tagENS0_11use_defaultESD_EEEEmLj1EEEvT0_T1_SH_.num_agpr, 0
	.set _ZN6thrust23THRUST_200600_302600_NS11hip_rocprim14__parallel_for6kernelILj256ENS1_20__uninitialized_copy7functorINS0_10device_ptrINS0_5tupleIffNS0_9null_typeES8_S8_S8_S8_S8_S8_S8_EEEENS0_7pointerIS9_NS1_3tagENS0_11use_defaultESD_EEEEmLj1EEEvT0_T1_SH_.numbered_sgpr, 12
	.set _ZN6thrust23THRUST_200600_302600_NS11hip_rocprim14__parallel_for6kernelILj256ENS1_20__uninitialized_copy7functorINS0_10device_ptrINS0_5tupleIffNS0_9null_typeES8_S8_S8_S8_S8_S8_S8_EEEENS0_7pointerIS9_NS1_3tagENS0_11use_defaultESD_EEEEmLj1EEEvT0_T1_SH_.num_named_barrier, 0
	.set _ZN6thrust23THRUST_200600_302600_NS11hip_rocprim14__parallel_for6kernelILj256ENS1_20__uninitialized_copy7functorINS0_10device_ptrINS0_5tupleIffNS0_9null_typeES8_S8_S8_S8_S8_S8_S8_EEEENS0_7pointerIS9_NS1_3tagENS0_11use_defaultESD_EEEEmLj1EEEvT0_T1_SH_.private_seg_size, 0
	.set _ZN6thrust23THRUST_200600_302600_NS11hip_rocprim14__parallel_for6kernelILj256ENS1_20__uninitialized_copy7functorINS0_10device_ptrINS0_5tupleIffNS0_9null_typeES8_S8_S8_S8_S8_S8_S8_EEEENS0_7pointerIS9_NS1_3tagENS0_11use_defaultESD_EEEEmLj1EEEvT0_T1_SH_.uses_vcc, 1
	.set _ZN6thrust23THRUST_200600_302600_NS11hip_rocprim14__parallel_for6kernelILj256ENS1_20__uninitialized_copy7functorINS0_10device_ptrINS0_5tupleIffNS0_9null_typeES8_S8_S8_S8_S8_S8_S8_EEEENS0_7pointerIS9_NS1_3tagENS0_11use_defaultESD_EEEEmLj1EEEvT0_T1_SH_.uses_flat_scratch, 0
	.set _ZN6thrust23THRUST_200600_302600_NS11hip_rocprim14__parallel_for6kernelILj256ENS1_20__uninitialized_copy7functorINS0_10device_ptrINS0_5tupleIffNS0_9null_typeES8_S8_S8_S8_S8_S8_S8_EEEENS0_7pointerIS9_NS1_3tagENS0_11use_defaultESD_EEEEmLj1EEEvT0_T1_SH_.has_dyn_sized_stack, 0
	.set _ZN6thrust23THRUST_200600_302600_NS11hip_rocprim14__parallel_for6kernelILj256ENS1_20__uninitialized_copy7functorINS0_10device_ptrINS0_5tupleIffNS0_9null_typeES8_S8_S8_S8_S8_S8_S8_EEEENS0_7pointerIS9_NS1_3tagENS0_11use_defaultESD_EEEEmLj1EEEvT0_T1_SH_.has_recursion, 0
	.set _ZN6thrust23THRUST_200600_302600_NS11hip_rocprim14__parallel_for6kernelILj256ENS1_20__uninitialized_copy7functorINS0_10device_ptrINS0_5tupleIffNS0_9null_typeES8_S8_S8_S8_S8_S8_S8_EEEENS0_7pointerIS9_NS1_3tagENS0_11use_defaultESD_EEEEmLj1EEEvT0_T1_SH_.has_indirect_call, 0
	.section	.AMDGPU.csdata,"",@progbits
; Kernel info:
; codeLenInByte = 252
; TotalNumSgprs: 14
; NumVgprs: 6
; ScratchSize: 0
; MemoryBound: 0
; FloatMode: 240
; IeeeMode: 1
; LDSByteSize: 0 bytes/workgroup (compile time only)
; SGPRBlocks: 0
; VGPRBlocks: 0
; NumSGPRsForWavesPerEU: 14
; NumVGPRsForWavesPerEU: 6
; NamedBarCnt: 0
; Occupancy: 16
; WaveLimiterHint : 0
; COMPUTE_PGM_RSRC2:SCRATCH_EN: 0
; COMPUTE_PGM_RSRC2:USER_SGPR: 2
; COMPUTE_PGM_RSRC2:TRAP_HANDLER: 0
; COMPUTE_PGM_RSRC2:TGID_X_EN: 1
; COMPUTE_PGM_RSRC2:TGID_Y_EN: 0
; COMPUTE_PGM_RSRC2:TGID_Z_EN: 0
; COMPUTE_PGM_RSRC2:TIDIG_COMP_CNT: 0
	.section	.AMDGPU.gpr_maximums,"",@progbits
	.set amdgpu.max_num_vgpr, 0
	.set amdgpu.max_num_agpr, 0
	.set amdgpu.max_num_sgpr, 0
	.section	.AMDGPU.csdata,"",@progbits
	.protected	_ZN7rocprim17ROCPRIM_400000_NS16block_radix_sortIjLj256ELj4EN6thrust23THRUST_200600_302600_NS5tupleIffNS3_9null_typeES5_S5_S5_S5_S5_S5_S5_EELj1ELj1ELj0ELNS0_26block_radix_rank_algorithmE1ELNS0_18block_padding_hintE2ELNS0_4arch9wavefront6targetE0EE19radix_bits_per_passE ; @_ZN7rocprim17ROCPRIM_400000_NS16block_radix_sortIjLj256ELj4EN6thrust23THRUST_200600_302600_NS5tupleIffNS3_9null_typeES5_S5_S5_S5_S5_S5_S5_EELj1ELj1ELj0ELNS0_26block_radix_rank_algorithmE1ELNS0_18block_padding_hintE2ELNS0_4arch9wavefront6targetE0EE19radix_bits_per_passE
	.type	_ZN7rocprim17ROCPRIM_400000_NS16block_radix_sortIjLj256ELj4EN6thrust23THRUST_200600_302600_NS5tupleIffNS3_9null_typeES5_S5_S5_S5_S5_S5_S5_EELj1ELj1ELj0ELNS0_26block_radix_rank_algorithmE1ELNS0_18block_padding_hintE2ELNS0_4arch9wavefront6targetE0EE19radix_bits_per_passE,@object
	.section	.rodata._ZN7rocprim17ROCPRIM_400000_NS16block_radix_sortIjLj256ELj4EN6thrust23THRUST_200600_302600_NS5tupleIffNS3_9null_typeES5_S5_S5_S5_S5_S5_S5_EELj1ELj1ELj0ELNS0_26block_radix_rank_algorithmE1ELNS0_18block_padding_hintE2ELNS0_4arch9wavefront6targetE0EE19radix_bits_per_passE,"aG",@progbits,_ZN7rocprim17ROCPRIM_400000_NS16block_radix_sortIjLj256ELj4EN6thrust23THRUST_200600_302600_NS5tupleIffNS3_9null_typeES5_S5_S5_S5_S5_S5_S5_EELj1ELj1ELj0ELNS0_26block_radix_rank_algorithmE1ELNS0_18block_padding_hintE2ELNS0_4arch9wavefront6targetE0EE19radix_bits_per_passE,comdat
	.weak	_ZN7rocprim17ROCPRIM_400000_NS16block_radix_sortIjLj256ELj4EN6thrust23THRUST_200600_302600_NS5tupleIffNS3_9null_typeES5_S5_S5_S5_S5_S5_S5_EELj1ELj1ELj0ELNS0_26block_radix_rank_algorithmE1ELNS0_18block_padding_hintE2ELNS0_4arch9wavefront6targetE0EE19radix_bits_per_passE
	.p2align	2, 0x0
_ZN7rocprim17ROCPRIM_400000_NS16block_radix_sortIjLj256ELj4EN6thrust23THRUST_200600_302600_NS5tupleIffNS3_9null_typeES5_S5_S5_S5_S5_S5_S5_EELj1ELj1ELj0ELNS0_26block_radix_rank_algorithmE1ELNS0_18block_padding_hintE2ELNS0_4arch9wavefront6targetE0EE19radix_bits_per_passE:
	.long	8                               ; 0x8
	.size	_ZN7rocprim17ROCPRIM_400000_NS16block_radix_sortIjLj256ELj4EN6thrust23THRUST_200600_302600_NS5tupleIffNS3_9null_typeES5_S5_S5_S5_S5_S5_S5_EELj1ELj1ELj0ELNS0_26block_radix_rank_algorithmE1ELNS0_18block_padding_hintE2ELNS0_4arch9wavefront6targetE0EE19radix_bits_per_passE, 4

	.type	__hip_cuid_64402bae5e903b8d,@object ; @__hip_cuid_64402bae5e903b8d
	.section	.bss,"aw",@nobits
	.globl	__hip_cuid_64402bae5e903b8d
__hip_cuid_64402bae5e903b8d:
	.byte	0                               ; 0x0
	.size	__hip_cuid_64402bae5e903b8d, 1

	.ident	"AMD clang version 22.0.0git (https://github.com/RadeonOpenCompute/llvm-project roc-7.2.4 26084 f58b06dce1f9c15707c5f808fd002e18c2accf7e)"
	.section	".note.GNU-stack","",@progbits
	.addrsig
	.addrsig_sym __hip_cuid_64402bae5e903b8d
	.amdgpu_metadata
---
amdhsa.kernels:
  - .args:
      - .offset:         0
        .size:           16
        .value_kind:     by_value
      - .offset:         16
        .size:           8
        .value_kind:     by_value
      - .offset:         24
        .size:           8
        .value_kind:     by_value
    .group_segment_fixed_size: 0
    .kernarg_segment_align: 8
    .kernarg_segment_size: 32
    .language:       OpenCL C
    .language_version:
      - 2
      - 0
    .max_flat_workgroup_size: 256
    .name:           _ZN6thrust23THRUST_200600_302600_NS11hip_rocprim14__parallel_for6kernelILj256ENS1_10for_each_fINS0_7pointerINS0_5tupleIffNS0_9null_typeES7_S7_S7_S7_S7_S7_S7_EENS1_3tagENS0_11use_defaultESA_EENS0_6detail16wrapped_functionINSC_23allocator_traits_detail24construct1_via_allocatorINSC_18no_throw_allocatorINSC_19temporary_allocatorIS8_S9_EEEEEEvEEEEmLj1EEEvT0_T1_SO_
    .private_segment_fixed_size: 0
    .sgpr_count:     11
    .sgpr_spill_count: 0
    .symbol:         _ZN6thrust23THRUST_200600_302600_NS11hip_rocprim14__parallel_for6kernelILj256ENS1_10for_each_fINS0_7pointerINS0_5tupleIffNS0_9null_typeES7_S7_S7_S7_S7_S7_S7_EENS1_3tagENS0_11use_defaultESA_EENS0_6detail16wrapped_functionINSC_23allocator_traits_detail24construct1_via_allocatorINSC_18no_throw_allocatorINSC_19temporary_allocatorIS8_S9_EEEEEEvEEEEmLj1EEEvT0_T1_SO_.kd
    .uniform_work_group_size: 1
    .uses_dynamic_stack: false
    .vgpr_count:     4
    .vgpr_spill_count: 0
    .wavefront_size: 32
  - .args:
      - .offset:         0
        .size:           16
        .value_kind:     by_value
      - .offset:         16
        .size:           8
        .value_kind:     by_value
      - .offset:         24
        .size:           8
        .value_kind:     by_value
    .group_segment_fixed_size: 0
    .kernarg_segment_align: 8
    .kernarg_segment_size: 32
    .language:       OpenCL C
    .language_version:
      - 2
      - 0
    .max_flat_workgroup_size: 256
    .name:           _ZN6thrust23THRUST_200600_302600_NS11hip_rocprim14__parallel_for6kernelILj256ENS1_10for_each_fINS0_7pointerINS0_5tupleIffNS0_9null_typeES7_S7_S7_S7_S7_S7_S7_EENS1_3tagENS0_11use_defaultESA_EENS0_6detail16wrapped_functionINSC_23allocator_traits_detail5gozerEvEEEElLj1EEEvT0_T1_SJ_
    .private_segment_fixed_size: 0
    .sgpr_count:     0
    .sgpr_spill_count: 0
    .symbol:         _ZN6thrust23THRUST_200600_302600_NS11hip_rocprim14__parallel_for6kernelILj256ENS1_10for_each_fINS0_7pointerINS0_5tupleIffNS0_9null_typeES7_S7_S7_S7_S7_S7_S7_EENS1_3tagENS0_11use_defaultESA_EENS0_6detail16wrapped_functionINSC_23allocator_traits_detail5gozerEvEEEElLj1EEEvT0_T1_SJ_.kd
    .uniform_work_group_size: 1
    .uses_dynamic_stack: false
    .vgpr_count:     0
    .vgpr_spill_count: 0
    .wavefront_size: 32
  - .args:
      - .offset:         0
        .size:           24
        .value_kind:     by_value
      - .offset:         24
        .size:           8
        .value_kind:     by_value
      - .offset:         32
        .size:           8
        .value_kind:     by_value
    .group_segment_fixed_size: 0
    .kernarg_segment_align: 8
    .kernarg_segment_size: 40
    .language:       OpenCL C
    .language_version:
      - 2
      - 0
    .max_flat_workgroup_size: 256
    .name:           _ZN6thrust23THRUST_200600_302600_NS11hip_rocprim14__parallel_for6kernelILj256ENS1_11__transform17unary_transform_fINS0_7pointerINS0_5tupleIffNS0_9null_typeES8_S8_S8_S8_S8_S8_S8_EENS1_3tagENS0_11use_defaultESB_EENS0_10device_ptrIS9_EENS4_14no_stencil_tagENS0_8identityIS9_EENS4_21always_true_predicateEEElLj1EEEvT0_T1_SL_
    .private_segment_fixed_size: 0
    .sgpr_count:     11
    .sgpr_spill_count: 0
    .symbol:         _ZN6thrust23THRUST_200600_302600_NS11hip_rocprim14__parallel_for6kernelILj256ENS1_11__transform17unary_transform_fINS0_7pointerINS0_5tupleIffNS0_9null_typeES8_S8_S8_S8_S8_S8_S8_EENS1_3tagENS0_11use_defaultESB_EENS0_10device_ptrIS9_EENS4_14no_stencil_tagENS0_8identityIS9_EENS4_21always_true_predicateEEElLj1EEEvT0_T1_SL_.kd
    .uniform_work_group_size: 1
    .uses_dynamic_stack: false
    .vgpr_count:     6
    .vgpr_spill_count: 0
    .wavefront_size: 32
  - .args:
      - .offset:         0
        .size:           16
        .value_kind:     by_value
      - .offset:         16
        .size:           8
        .value_kind:     by_value
      - .offset:         24
        .size:           8
        .value_kind:     by_value
    .group_segment_fixed_size: 0
    .kernarg_segment_align: 8
    .kernarg_segment_size: 32
    .language:       OpenCL C
    .language_version:
      - 2
      - 0
    .max_flat_workgroup_size: 256
    .name:           _ZN6thrust23THRUST_200600_302600_NS11hip_rocprim14__parallel_for6kernelILj256ENS1_20__uninitialized_copy7functorINS0_7pointerINS0_5tupleIffNS0_9null_typeES8_S8_S8_S8_S8_S8_S8_EENS1_3tagENS0_11use_defaultESB_EESC_EEmLj1EEEvT0_T1_SF_
    .private_segment_fixed_size: 0
    .sgpr_count:     14
    .sgpr_spill_count: 0
    .symbol:         _ZN6thrust23THRUST_200600_302600_NS11hip_rocprim14__parallel_for6kernelILj256ENS1_20__uninitialized_copy7functorINS0_7pointerINS0_5tupleIffNS0_9null_typeES8_S8_S8_S8_S8_S8_S8_EENS1_3tagENS0_11use_defaultESB_EESC_EEmLj1EEEvT0_T1_SF_.kd
    .uniform_work_group_size: 1
    .uses_dynamic_stack: false
    .vgpr_count:     6
    .vgpr_spill_count: 0
    .wavefront_size: 32
  - .args:
      - .offset:         0
        .size:           16
        .value_kind:     by_value
      - .offset:         16
        .size:           8
        .value_kind:     by_value
      - .offset:         24
        .size:           8
        .value_kind:     by_value
    .group_segment_fixed_size: 0
    .kernarg_segment_align: 8
    .kernarg_segment_size: 32
    .language:       OpenCL C
    .language_version:
      - 2
      - 0
    .max_flat_workgroup_size: 256
    .name:           _ZN6thrust23THRUST_200600_302600_NS11hip_rocprim14__parallel_for6kernelILj256ENS1_10for_each_fINS0_10device_ptrINS0_5tupleIffNS0_9null_typeES7_S7_S7_S7_S7_S7_S7_EEEENS0_6detail16wrapped_functionINSA_23allocator_traits_detail5gozerEvEEEElLj1EEEvT0_T1_SH_
    .private_segment_fixed_size: 0
    .sgpr_count:     0
    .sgpr_spill_count: 0
    .symbol:         _ZN6thrust23THRUST_200600_302600_NS11hip_rocprim14__parallel_for6kernelILj256ENS1_10for_each_fINS0_10device_ptrINS0_5tupleIffNS0_9null_typeES7_S7_S7_S7_S7_S7_S7_EEEENS0_6detail16wrapped_functionINSA_23allocator_traits_detail5gozerEvEEEElLj1EEEvT0_T1_SH_.kd
    .uniform_work_group_size: 1
    .uses_dynamic_stack: false
    .vgpr_count:     0
    .vgpr_spill_count: 0
    .wavefront_size: 32
  - .args:
      - .offset:         0
        .size:           16
        .value_kind:     by_value
      - .offset:         16
        .size:           8
        .value_kind:     by_value
      - .offset:         24
        .size:           8
        .value_kind:     by_value
    .group_segment_fixed_size: 0
    .kernarg_segment_align: 8
    .kernarg_segment_size: 32
    .language:       OpenCL C
    .language_version:
      - 2
      - 0
    .max_flat_workgroup_size: 256
    .name:           _ZN6thrust23THRUST_200600_302600_NS11hip_rocprim14__parallel_for6kernelILj256ENS1_20__uninitialized_fill7functorINS0_10device_ptrIjEEjEEmLj1EEEvT0_T1_SA_
    .private_segment_fixed_size: 0
    .sgpr_count:     14
    .sgpr_spill_count: 0
    .symbol:         _ZN6thrust23THRUST_200600_302600_NS11hip_rocprim14__parallel_for6kernelILj256ENS1_20__uninitialized_fill7functorINS0_10device_ptrIjEEjEEmLj1EEEvT0_T1_SA_.kd
    .uniform_work_group_size: 1
    .uses_dynamic_stack: false
    .vgpr_count:     2
    .vgpr_spill_count: 0
    .wavefront_size: 32
  - .args:
      - .offset:         0
        .size:           32
        .value_kind:     by_value
      - .offset:         32
        .size:           8
        .value_kind:     by_value
      - .offset:         40
        .size:           8
        .value_kind:     by_value
    .group_segment_fixed_size: 0
    .kernarg_segment_align: 8
    .kernarg_segment_size: 48
    .language:       OpenCL C
    .language_version:
      - 2
      - 0
    .max_flat_workgroup_size: 256
    .name:           _ZN6thrust23THRUST_200600_302600_NS11hip_rocprim14__parallel_for6kernelILj256ENS1_11__transform17unary_transform_fINS0_6detail15normal_iteratorINS0_10device_ptrINS0_5tupleIffNS0_9null_typeESA_SA_SA_SA_SA_SA_SA_EEEEEENS7_INS8_IjEEEENS4_14no_stencil_tagE21point_to_bucket_indexNS4_21always_true_predicateEEElLj1EEEvT0_T1_SL_
    .private_segment_fixed_size: 0
    .sgpr_count:     13
    .sgpr_spill_count: 0
    .symbol:         _ZN6thrust23THRUST_200600_302600_NS11hip_rocprim14__parallel_for6kernelILj256ENS1_11__transform17unary_transform_fINS0_6detail15normal_iteratorINS0_10device_ptrINS0_5tupleIffNS0_9null_typeESA_SA_SA_SA_SA_SA_SA_EEEEEENS7_INS8_IjEEEENS4_14no_stencil_tagE21point_to_bucket_indexNS4_21always_true_predicateEEElLj1EEEvT0_T1_SL_.kd
    .uniform_work_group_size: 1
    .uses_dynamic_stack: false
    .vgpr_count:     6
    .vgpr_spill_count: 0
    .wavefront_size: 32
  - .args:
      - .offset:         0
        .size:           48
        .value_kind:     by_value
      - .offset:         48
        .size:           4
        .value_kind:     hidden_block_count_x
      - .offset:         52
        .size:           4
        .value_kind:     hidden_block_count_y
      - .offset:         56
        .size:           4
        .value_kind:     hidden_block_count_z
      - .offset:         60
        .size:           2
        .value_kind:     hidden_group_size_x
      - .offset:         62
        .size:           2
        .value_kind:     hidden_group_size_y
      - .offset:         64
        .size:           2
        .value_kind:     hidden_group_size_z
      - .offset:         66
        .size:           2
        .value_kind:     hidden_remainder_x
      - .offset:         68
        .size:           2
        .value_kind:     hidden_remainder_y
      - .offset:         70
        .size:           2
        .value_kind:     hidden_remainder_z
      - .offset:         88
        .size:           8
        .value_kind:     hidden_global_offset_x
      - .offset:         96
        .size:           8
        .value_kind:     hidden_global_offset_y
      - .offset:         104
        .size:           8
        .value_kind:     hidden_global_offset_z
      - .offset:         112
        .size:           2
        .value_kind:     hidden_grid_dims
    .group_segment_fixed_size: 8224
    .kernarg_segment_align: 8
    .kernarg_segment_size: 304
    .language:       OpenCL C
    .language_version:
      - 2
      - 0
    .max_flat_workgroup_size: 256
    .name:           _ZN7rocprim17ROCPRIM_400000_NS6detail17trampoline_kernelINS0_13kernel_configILj256ELj4ELj4294967295EEENS1_37radix_sort_block_sort_config_selectorIjN6thrust23THRUST_200600_302600_NS5tupleIffNS7_9null_typeES9_S9_S9_S9_S9_S9_S9_EEEEZNS1_21radix_sort_block_sortIS4_Lb0ENS7_6detail15normal_iteratorINS7_10device_ptrIjEEEESH_NSE_INSF_ISA_EEEESJ_NS0_19identity_decomposerEEE10hipError_tT1_T2_T3_T4_jRjT5_jjP12ihipStream_tbEUlT_E_NS1_11comp_targetILNS1_3genE0ELNS1_11target_archE4294967295ELNS1_3gpuE0ELNS1_3repE0EEENS1_44radix_sort_block_sort_config_static_selectorELNS0_4arch9wavefront6targetE0EEEvSM_
    .private_segment_fixed_size: 0
    .sgpr_count:     36
    .sgpr_spill_count: 0
    .symbol:         _ZN7rocprim17ROCPRIM_400000_NS6detail17trampoline_kernelINS0_13kernel_configILj256ELj4ELj4294967295EEENS1_37radix_sort_block_sort_config_selectorIjN6thrust23THRUST_200600_302600_NS5tupleIffNS7_9null_typeES9_S9_S9_S9_S9_S9_S9_EEEEZNS1_21radix_sort_block_sortIS4_Lb0ENS7_6detail15normal_iteratorINS7_10device_ptrIjEEEESH_NSE_INSF_ISA_EEEESJ_NS0_19identity_decomposerEEE10hipError_tT1_T2_T3_T4_jRjT5_jjP12ihipStream_tbEUlT_E_NS1_11comp_targetILNS1_3genE0ELNS1_11target_archE4294967295ELNS1_3gpuE0ELNS1_3repE0EEENS1_44radix_sort_block_sort_config_static_selectorELNS0_4arch9wavefront6targetE0EEEvSM_.kd
    .uniform_work_group_size: 1
    .uses_dynamic_stack: false
    .vgpr_count:     48
    .vgpr_spill_count: 0
    .wavefront_size: 32
  - .args:
      - .offset:         0
        .size:           48
        .value_kind:     by_value
    .group_segment_fixed_size: 0
    .kernarg_segment_align: 8
    .kernarg_segment_size: 48
    .language:       OpenCL C
    .language_version:
      - 2
      - 0
    .max_flat_workgroup_size: 256
    .name:           _ZN7rocprim17ROCPRIM_400000_NS6detail17trampoline_kernelINS0_13kernel_configILj256ELj4ELj4294967295EEENS1_37radix_sort_block_sort_config_selectorIjN6thrust23THRUST_200600_302600_NS5tupleIffNS7_9null_typeES9_S9_S9_S9_S9_S9_S9_EEEEZNS1_21radix_sort_block_sortIS4_Lb0ENS7_6detail15normal_iteratorINS7_10device_ptrIjEEEESH_NSE_INSF_ISA_EEEESJ_NS0_19identity_decomposerEEE10hipError_tT1_T2_T3_T4_jRjT5_jjP12ihipStream_tbEUlT_E_NS1_11comp_targetILNS1_3genE5ELNS1_11target_archE942ELNS1_3gpuE9ELNS1_3repE0EEENS1_44radix_sort_block_sort_config_static_selectorELNS0_4arch9wavefront6targetE0EEEvSM_
    .private_segment_fixed_size: 0
    .sgpr_count:     0
    .sgpr_spill_count: 0
    .symbol:         _ZN7rocprim17ROCPRIM_400000_NS6detail17trampoline_kernelINS0_13kernel_configILj256ELj4ELj4294967295EEENS1_37radix_sort_block_sort_config_selectorIjN6thrust23THRUST_200600_302600_NS5tupleIffNS7_9null_typeES9_S9_S9_S9_S9_S9_S9_EEEEZNS1_21radix_sort_block_sortIS4_Lb0ENS7_6detail15normal_iteratorINS7_10device_ptrIjEEEESH_NSE_INSF_ISA_EEEESJ_NS0_19identity_decomposerEEE10hipError_tT1_T2_T3_T4_jRjT5_jjP12ihipStream_tbEUlT_E_NS1_11comp_targetILNS1_3genE5ELNS1_11target_archE942ELNS1_3gpuE9ELNS1_3repE0EEENS1_44radix_sort_block_sort_config_static_selectorELNS0_4arch9wavefront6targetE0EEEvSM_.kd
    .uniform_work_group_size: 1
    .uses_dynamic_stack: false
    .vgpr_count:     0
    .vgpr_spill_count: 0
    .wavefront_size: 32
  - .args:
      - .offset:         0
        .size:           48
        .value_kind:     by_value
    .group_segment_fixed_size: 0
    .kernarg_segment_align: 8
    .kernarg_segment_size: 48
    .language:       OpenCL C
    .language_version:
      - 2
      - 0
    .max_flat_workgroup_size: 256
    .name:           _ZN7rocprim17ROCPRIM_400000_NS6detail17trampoline_kernelINS0_13kernel_configILj256ELj4ELj4294967295EEENS1_37radix_sort_block_sort_config_selectorIjN6thrust23THRUST_200600_302600_NS5tupleIffNS7_9null_typeES9_S9_S9_S9_S9_S9_S9_EEEEZNS1_21radix_sort_block_sortIS4_Lb0ENS7_6detail15normal_iteratorINS7_10device_ptrIjEEEESH_NSE_INSF_ISA_EEEESJ_NS0_19identity_decomposerEEE10hipError_tT1_T2_T3_T4_jRjT5_jjP12ihipStream_tbEUlT_E_NS1_11comp_targetILNS1_3genE4ELNS1_11target_archE910ELNS1_3gpuE8ELNS1_3repE0EEENS1_44radix_sort_block_sort_config_static_selectorELNS0_4arch9wavefront6targetE0EEEvSM_
    .private_segment_fixed_size: 0
    .sgpr_count:     0
    .sgpr_spill_count: 0
    .symbol:         _ZN7rocprim17ROCPRIM_400000_NS6detail17trampoline_kernelINS0_13kernel_configILj256ELj4ELj4294967295EEENS1_37radix_sort_block_sort_config_selectorIjN6thrust23THRUST_200600_302600_NS5tupleIffNS7_9null_typeES9_S9_S9_S9_S9_S9_S9_EEEEZNS1_21radix_sort_block_sortIS4_Lb0ENS7_6detail15normal_iteratorINS7_10device_ptrIjEEEESH_NSE_INSF_ISA_EEEESJ_NS0_19identity_decomposerEEE10hipError_tT1_T2_T3_T4_jRjT5_jjP12ihipStream_tbEUlT_E_NS1_11comp_targetILNS1_3genE4ELNS1_11target_archE910ELNS1_3gpuE8ELNS1_3repE0EEENS1_44radix_sort_block_sort_config_static_selectorELNS0_4arch9wavefront6targetE0EEEvSM_.kd
    .uniform_work_group_size: 1
    .uses_dynamic_stack: false
    .vgpr_count:     0
    .vgpr_spill_count: 0
    .wavefront_size: 32
  - .args:
      - .offset:         0
        .size:           48
        .value_kind:     by_value
    .group_segment_fixed_size: 0
    .kernarg_segment_align: 8
    .kernarg_segment_size: 48
    .language:       OpenCL C
    .language_version:
      - 2
      - 0
    .max_flat_workgroup_size: 256
    .name:           _ZN7rocprim17ROCPRIM_400000_NS6detail17trampoline_kernelINS0_13kernel_configILj256ELj4ELj4294967295EEENS1_37radix_sort_block_sort_config_selectorIjN6thrust23THRUST_200600_302600_NS5tupleIffNS7_9null_typeES9_S9_S9_S9_S9_S9_S9_EEEEZNS1_21radix_sort_block_sortIS4_Lb0ENS7_6detail15normal_iteratorINS7_10device_ptrIjEEEESH_NSE_INSF_ISA_EEEESJ_NS0_19identity_decomposerEEE10hipError_tT1_T2_T3_T4_jRjT5_jjP12ihipStream_tbEUlT_E_NS1_11comp_targetILNS1_3genE3ELNS1_11target_archE908ELNS1_3gpuE7ELNS1_3repE0EEENS1_44radix_sort_block_sort_config_static_selectorELNS0_4arch9wavefront6targetE0EEEvSM_
    .private_segment_fixed_size: 0
    .sgpr_count:     0
    .sgpr_spill_count: 0
    .symbol:         _ZN7rocprim17ROCPRIM_400000_NS6detail17trampoline_kernelINS0_13kernel_configILj256ELj4ELj4294967295EEENS1_37radix_sort_block_sort_config_selectorIjN6thrust23THRUST_200600_302600_NS5tupleIffNS7_9null_typeES9_S9_S9_S9_S9_S9_S9_EEEEZNS1_21radix_sort_block_sortIS4_Lb0ENS7_6detail15normal_iteratorINS7_10device_ptrIjEEEESH_NSE_INSF_ISA_EEEESJ_NS0_19identity_decomposerEEE10hipError_tT1_T2_T3_T4_jRjT5_jjP12ihipStream_tbEUlT_E_NS1_11comp_targetILNS1_3genE3ELNS1_11target_archE908ELNS1_3gpuE7ELNS1_3repE0EEENS1_44radix_sort_block_sort_config_static_selectorELNS0_4arch9wavefront6targetE0EEEvSM_.kd
    .uniform_work_group_size: 1
    .uses_dynamic_stack: false
    .vgpr_count:     0
    .vgpr_spill_count: 0
    .wavefront_size: 32
  - .args:
      - .offset:         0
        .size:           48
        .value_kind:     by_value
    .group_segment_fixed_size: 0
    .kernarg_segment_align: 8
    .kernarg_segment_size: 48
    .language:       OpenCL C
    .language_version:
      - 2
      - 0
    .max_flat_workgroup_size: 256
    .name:           _ZN7rocprim17ROCPRIM_400000_NS6detail17trampoline_kernelINS0_13kernel_configILj256ELj4ELj4294967295EEENS1_37radix_sort_block_sort_config_selectorIjN6thrust23THRUST_200600_302600_NS5tupleIffNS7_9null_typeES9_S9_S9_S9_S9_S9_S9_EEEEZNS1_21radix_sort_block_sortIS4_Lb0ENS7_6detail15normal_iteratorINS7_10device_ptrIjEEEESH_NSE_INSF_ISA_EEEESJ_NS0_19identity_decomposerEEE10hipError_tT1_T2_T3_T4_jRjT5_jjP12ihipStream_tbEUlT_E_NS1_11comp_targetILNS1_3genE2ELNS1_11target_archE906ELNS1_3gpuE6ELNS1_3repE0EEENS1_44radix_sort_block_sort_config_static_selectorELNS0_4arch9wavefront6targetE0EEEvSM_
    .private_segment_fixed_size: 0
    .sgpr_count:     0
    .sgpr_spill_count: 0
    .symbol:         _ZN7rocprim17ROCPRIM_400000_NS6detail17trampoline_kernelINS0_13kernel_configILj256ELj4ELj4294967295EEENS1_37radix_sort_block_sort_config_selectorIjN6thrust23THRUST_200600_302600_NS5tupleIffNS7_9null_typeES9_S9_S9_S9_S9_S9_S9_EEEEZNS1_21radix_sort_block_sortIS4_Lb0ENS7_6detail15normal_iteratorINS7_10device_ptrIjEEEESH_NSE_INSF_ISA_EEEESJ_NS0_19identity_decomposerEEE10hipError_tT1_T2_T3_T4_jRjT5_jjP12ihipStream_tbEUlT_E_NS1_11comp_targetILNS1_3genE2ELNS1_11target_archE906ELNS1_3gpuE6ELNS1_3repE0EEENS1_44radix_sort_block_sort_config_static_selectorELNS0_4arch9wavefront6targetE0EEEvSM_.kd
    .uniform_work_group_size: 1
    .uses_dynamic_stack: false
    .vgpr_count:     0
    .vgpr_spill_count: 0
    .wavefront_size: 32
  - .args:
      - .offset:         0
        .size:           48
        .value_kind:     by_value
    .group_segment_fixed_size: 0
    .kernarg_segment_align: 8
    .kernarg_segment_size: 48
    .language:       OpenCL C
    .language_version:
      - 2
      - 0
    .max_flat_workgroup_size: 256
    .name:           _ZN7rocprim17ROCPRIM_400000_NS6detail17trampoline_kernelINS0_13kernel_configILj256ELj4ELj4294967295EEENS1_37radix_sort_block_sort_config_selectorIjN6thrust23THRUST_200600_302600_NS5tupleIffNS7_9null_typeES9_S9_S9_S9_S9_S9_S9_EEEEZNS1_21radix_sort_block_sortIS4_Lb0ENS7_6detail15normal_iteratorINS7_10device_ptrIjEEEESH_NSE_INSF_ISA_EEEESJ_NS0_19identity_decomposerEEE10hipError_tT1_T2_T3_T4_jRjT5_jjP12ihipStream_tbEUlT_E_NS1_11comp_targetILNS1_3genE10ELNS1_11target_archE1201ELNS1_3gpuE5ELNS1_3repE0EEENS1_44radix_sort_block_sort_config_static_selectorELNS0_4arch9wavefront6targetE0EEEvSM_
    .private_segment_fixed_size: 0
    .sgpr_count:     0
    .sgpr_spill_count: 0
    .symbol:         _ZN7rocprim17ROCPRIM_400000_NS6detail17trampoline_kernelINS0_13kernel_configILj256ELj4ELj4294967295EEENS1_37radix_sort_block_sort_config_selectorIjN6thrust23THRUST_200600_302600_NS5tupleIffNS7_9null_typeES9_S9_S9_S9_S9_S9_S9_EEEEZNS1_21radix_sort_block_sortIS4_Lb0ENS7_6detail15normal_iteratorINS7_10device_ptrIjEEEESH_NSE_INSF_ISA_EEEESJ_NS0_19identity_decomposerEEE10hipError_tT1_T2_T3_T4_jRjT5_jjP12ihipStream_tbEUlT_E_NS1_11comp_targetILNS1_3genE10ELNS1_11target_archE1201ELNS1_3gpuE5ELNS1_3repE0EEENS1_44radix_sort_block_sort_config_static_selectorELNS0_4arch9wavefront6targetE0EEEvSM_.kd
    .uniform_work_group_size: 1
    .uses_dynamic_stack: false
    .vgpr_count:     0
    .vgpr_spill_count: 0
    .wavefront_size: 32
  - .args:
      - .offset:         0
        .size:           48
        .value_kind:     by_value
    .group_segment_fixed_size: 0
    .kernarg_segment_align: 8
    .kernarg_segment_size: 48
    .language:       OpenCL C
    .language_version:
      - 2
      - 0
    .max_flat_workgroup_size: 256
    .name:           _ZN7rocprim17ROCPRIM_400000_NS6detail17trampoline_kernelINS0_13kernel_configILj256ELj4ELj4294967295EEENS1_37radix_sort_block_sort_config_selectorIjN6thrust23THRUST_200600_302600_NS5tupleIffNS7_9null_typeES9_S9_S9_S9_S9_S9_S9_EEEEZNS1_21radix_sort_block_sortIS4_Lb0ENS7_6detail15normal_iteratorINS7_10device_ptrIjEEEESH_NSE_INSF_ISA_EEEESJ_NS0_19identity_decomposerEEE10hipError_tT1_T2_T3_T4_jRjT5_jjP12ihipStream_tbEUlT_E_NS1_11comp_targetILNS1_3genE10ELNS1_11target_archE1200ELNS1_3gpuE4ELNS1_3repE0EEENS1_44radix_sort_block_sort_config_static_selectorELNS0_4arch9wavefront6targetE0EEEvSM_
    .private_segment_fixed_size: 0
    .sgpr_count:     0
    .sgpr_spill_count: 0
    .symbol:         _ZN7rocprim17ROCPRIM_400000_NS6detail17trampoline_kernelINS0_13kernel_configILj256ELj4ELj4294967295EEENS1_37radix_sort_block_sort_config_selectorIjN6thrust23THRUST_200600_302600_NS5tupleIffNS7_9null_typeES9_S9_S9_S9_S9_S9_S9_EEEEZNS1_21radix_sort_block_sortIS4_Lb0ENS7_6detail15normal_iteratorINS7_10device_ptrIjEEEESH_NSE_INSF_ISA_EEEESJ_NS0_19identity_decomposerEEE10hipError_tT1_T2_T3_T4_jRjT5_jjP12ihipStream_tbEUlT_E_NS1_11comp_targetILNS1_3genE10ELNS1_11target_archE1200ELNS1_3gpuE4ELNS1_3repE0EEENS1_44radix_sort_block_sort_config_static_selectorELNS0_4arch9wavefront6targetE0EEEvSM_.kd
    .uniform_work_group_size: 1
    .uses_dynamic_stack: false
    .vgpr_count:     0
    .vgpr_spill_count: 0
    .wavefront_size: 32
  - .args:
      - .offset:         0
        .size:           48
        .value_kind:     by_value
    .group_segment_fixed_size: 0
    .kernarg_segment_align: 8
    .kernarg_segment_size: 48
    .language:       OpenCL C
    .language_version:
      - 2
      - 0
    .max_flat_workgroup_size: 256
    .name:           _ZN7rocprim17ROCPRIM_400000_NS6detail17trampoline_kernelINS0_13kernel_configILj256ELj4ELj4294967295EEENS1_37radix_sort_block_sort_config_selectorIjN6thrust23THRUST_200600_302600_NS5tupleIffNS7_9null_typeES9_S9_S9_S9_S9_S9_S9_EEEEZNS1_21radix_sort_block_sortIS4_Lb0ENS7_6detail15normal_iteratorINS7_10device_ptrIjEEEESH_NSE_INSF_ISA_EEEESJ_NS0_19identity_decomposerEEE10hipError_tT1_T2_T3_T4_jRjT5_jjP12ihipStream_tbEUlT_E_NS1_11comp_targetILNS1_3genE9ELNS1_11target_archE1100ELNS1_3gpuE3ELNS1_3repE0EEENS1_44radix_sort_block_sort_config_static_selectorELNS0_4arch9wavefront6targetE0EEEvSM_
    .private_segment_fixed_size: 0
    .sgpr_count:     0
    .sgpr_spill_count: 0
    .symbol:         _ZN7rocprim17ROCPRIM_400000_NS6detail17trampoline_kernelINS0_13kernel_configILj256ELj4ELj4294967295EEENS1_37radix_sort_block_sort_config_selectorIjN6thrust23THRUST_200600_302600_NS5tupleIffNS7_9null_typeES9_S9_S9_S9_S9_S9_S9_EEEEZNS1_21radix_sort_block_sortIS4_Lb0ENS7_6detail15normal_iteratorINS7_10device_ptrIjEEEESH_NSE_INSF_ISA_EEEESJ_NS0_19identity_decomposerEEE10hipError_tT1_T2_T3_T4_jRjT5_jjP12ihipStream_tbEUlT_E_NS1_11comp_targetILNS1_3genE9ELNS1_11target_archE1100ELNS1_3gpuE3ELNS1_3repE0EEENS1_44radix_sort_block_sort_config_static_selectorELNS0_4arch9wavefront6targetE0EEEvSM_.kd
    .uniform_work_group_size: 1
    .uses_dynamic_stack: false
    .vgpr_count:     0
    .vgpr_spill_count: 0
    .wavefront_size: 32
  - .args:
      - .offset:         0
        .size:           48
        .value_kind:     by_value
    .group_segment_fixed_size: 0
    .kernarg_segment_align: 8
    .kernarg_segment_size: 48
    .language:       OpenCL C
    .language_version:
      - 2
      - 0
    .max_flat_workgroup_size: 256
    .name:           _ZN7rocprim17ROCPRIM_400000_NS6detail17trampoline_kernelINS0_13kernel_configILj256ELj4ELj4294967295EEENS1_37radix_sort_block_sort_config_selectorIjN6thrust23THRUST_200600_302600_NS5tupleIffNS7_9null_typeES9_S9_S9_S9_S9_S9_S9_EEEEZNS1_21radix_sort_block_sortIS4_Lb0ENS7_6detail15normal_iteratorINS7_10device_ptrIjEEEESH_NSE_INSF_ISA_EEEESJ_NS0_19identity_decomposerEEE10hipError_tT1_T2_T3_T4_jRjT5_jjP12ihipStream_tbEUlT_E_NS1_11comp_targetILNS1_3genE8ELNS1_11target_archE1030ELNS1_3gpuE2ELNS1_3repE0EEENS1_44radix_sort_block_sort_config_static_selectorELNS0_4arch9wavefront6targetE0EEEvSM_
    .private_segment_fixed_size: 0
    .sgpr_count:     0
    .sgpr_spill_count: 0
    .symbol:         _ZN7rocprim17ROCPRIM_400000_NS6detail17trampoline_kernelINS0_13kernel_configILj256ELj4ELj4294967295EEENS1_37radix_sort_block_sort_config_selectorIjN6thrust23THRUST_200600_302600_NS5tupleIffNS7_9null_typeES9_S9_S9_S9_S9_S9_S9_EEEEZNS1_21radix_sort_block_sortIS4_Lb0ENS7_6detail15normal_iteratorINS7_10device_ptrIjEEEESH_NSE_INSF_ISA_EEEESJ_NS0_19identity_decomposerEEE10hipError_tT1_T2_T3_T4_jRjT5_jjP12ihipStream_tbEUlT_E_NS1_11comp_targetILNS1_3genE8ELNS1_11target_archE1030ELNS1_3gpuE2ELNS1_3repE0EEENS1_44radix_sort_block_sort_config_static_selectorELNS0_4arch9wavefront6targetE0EEEvSM_.kd
    .uniform_work_group_size: 1
    .uses_dynamic_stack: false
    .vgpr_count:     0
    .vgpr_spill_count: 0
    .wavefront_size: 32
  - .args:           []
    .group_segment_fixed_size: 0
    .kernarg_segment_align: 4
    .kernarg_segment_size: 0
    .language:       OpenCL C
    .language_version:
      - 2
      - 0
    .max_flat_workgroup_size: 1024
    .name:           _ZN7rocprim17ROCPRIM_400000_NS6detail44device_merge_sort_compile_time_verifier_archINS1_11comp_targetILNS1_3genE0ELNS1_11target_archE4294967295ELNS1_3gpuE0ELNS1_3repE0EEES8_NS1_28merge_sort_block_sort_configILj256ELj4ELNS0_20block_sort_algorithmE0EEENS0_14default_configENS1_37merge_sort_block_sort_config_selectorIjN6thrust23THRUST_200600_302600_NS5tupleIffNSF_9null_typeESH_SH_SH_SH_SH_SH_SH_EEEENS1_38merge_sort_block_merge_config_selectorIjSI_EEEEvv
    .private_segment_fixed_size: 0
    .sgpr_count:     0
    .sgpr_spill_count: 0
    .symbol:         _ZN7rocprim17ROCPRIM_400000_NS6detail44device_merge_sort_compile_time_verifier_archINS1_11comp_targetILNS1_3genE0ELNS1_11target_archE4294967295ELNS1_3gpuE0ELNS1_3repE0EEES8_NS1_28merge_sort_block_sort_configILj256ELj4ELNS0_20block_sort_algorithmE0EEENS0_14default_configENS1_37merge_sort_block_sort_config_selectorIjN6thrust23THRUST_200600_302600_NS5tupleIffNSF_9null_typeESH_SH_SH_SH_SH_SH_SH_EEEENS1_38merge_sort_block_merge_config_selectorIjSI_EEEEvv.kd
    .uniform_work_group_size: 1
    .uses_dynamic_stack: false
    .vgpr_count:     0
    .vgpr_spill_count: 0
    .wavefront_size: 32
  - .args:           []
    .group_segment_fixed_size: 0
    .kernarg_segment_align: 4
    .kernarg_segment_size: 0
    .language:       OpenCL C
    .language_version:
      - 2
      - 0
    .max_flat_workgroup_size: 1024
    .name:           _ZN7rocprim17ROCPRIM_400000_NS6detail44device_merge_sort_compile_time_verifier_archINS1_11comp_targetILNS1_3genE5ELNS1_11target_archE942ELNS1_3gpuE9ELNS1_3repE0EEES8_NS1_28merge_sort_block_sort_configILj256ELj4ELNS0_20block_sort_algorithmE0EEENS0_14default_configENS1_37merge_sort_block_sort_config_selectorIjN6thrust23THRUST_200600_302600_NS5tupleIffNSF_9null_typeESH_SH_SH_SH_SH_SH_SH_EEEENS1_38merge_sort_block_merge_config_selectorIjSI_EEEEvv
    .private_segment_fixed_size: 0
    .sgpr_count:     0
    .sgpr_spill_count: 0
    .symbol:         _ZN7rocprim17ROCPRIM_400000_NS6detail44device_merge_sort_compile_time_verifier_archINS1_11comp_targetILNS1_3genE5ELNS1_11target_archE942ELNS1_3gpuE9ELNS1_3repE0EEES8_NS1_28merge_sort_block_sort_configILj256ELj4ELNS0_20block_sort_algorithmE0EEENS0_14default_configENS1_37merge_sort_block_sort_config_selectorIjN6thrust23THRUST_200600_302600_NS5tupleIffNSF_9null_typeESH_SH_SH_SH_SH_SH_SH_EEEENS1_38merge_sort_block_merge_config_selectorIjSI_EEEEvv.kd
    .uniform_work_group_size: 1
    .uses_dynamic_stack: false
    .vgpr_count:     0
    .vgpr_spill_count: 0
    .wavefront_size: 32
  - .args:           []
    .group_segment_fixed_size: 0
    .kernarg_segment_align: 4
    .kernarg_segment_size: 0
    .language:       OpenCL C
    .language_version:
      - 2
      - 0
    .max_flat_workgroup_size: 1024
    .name:           _ZN7rocprim17ROCPRIM_400000_NS6detail44device_merge_sort_compile_time_verifier_archINS1_11comp_targetILNS1_3genE4ELNS1_11target_archE910ELNS1_3gpuE8ELNS1_3repE0EEES8_NS1_28merge_sort_block_sort_configILj256ELj4ELNS0_20block_sort_algorithmE0EEENS0_14default_configENS1_37merge_sort_block_sort_config_selectorIjN6thrust23THRUST_200600_302600_NS5tupleIffNSF_9null_typeESH_SH_SH_SH_SH_SH_SH_EEEENS1_38merge_sort_block_merge_config_selectorIjSI_EEEEvv
    .private_segment_fixed_size: 0
    .sgpr_count:     0
    .sgpr_spill_count: 0
    .symbol:         _ZN7rocprim17ROCPRIM_400000_NS6detail44device_merge_sort_compile_time_verifier_archINS1_11comp_targetILNS1_3genE4ELNS1_11target_archE910ELNS1_3gpuE8ELNS1_3repE0EEES8_NS1_28merge_sort_block_sort_configILj256ELj4ELNS0_20block_sort_algorithmE0EEENS0_14default_configENS1_37merge_sort_block_sort_config_selectorIjN6thrust23THRUST_200600_302600_NS5tupleIffNSF_9null_typeESH_SH_SH_SH_SH_SH_SH_EEEENS1_38merge_sort_block_merge_config_selectorIjSI_EEEEvv.kd
    .uniform_work_group_size: 1
    .uses_dynamic_stack: false
    .vgpr_count:     0
    .vgpr_spill_count: 0
    .wavefront_size: 32
  - .args:           []
    .group_segment_fixed_size: 0
    .kernarg_segment_align: 4
    .kernarg_segment_size: 0
    .language:       OpenCL C
    .language_version:
      - 2
      - 0
    .max_flat_workgroup_size: 1024
    .name:           _ZN7rocprim17ROCPRIM_400000_NS6detail44device_merge_sort_compile_time_verifier_archINS1_11comp_targetILNS1_3genE3ELNS1_11target_archE908ELNS1_3gpuE7ELNS1_3repE0EEES8_NS1_28merge_sort_block_sort_configILj256ELj4ELNS0_20block_sort_algorithmE0EEENS0_14default_configENS1_37merge_sort_block_sort_config_selectorIjN6thrust23THRUST_200600_302600_NS5tupleIffNSF_9null_typeESH_SH_SH_SH_SH_SH_SH_EEEENS1_38merge_sort_block_merge_config_selectorIjSI_EEEEvv
    .private_segment_fixed_size: 0
    .sgpr_count:     0
    .sgpr_spill_count: 0
    .symbol:         _ZN7rocprim17ROCPRIM_400000_NS6detail44device_merge_sort_compile_time_verifier_archINS1_11comp_targetILNS1_3genE3ELNS1_11target_archE908ELNS1_3gpuE7ELNS1_3repE0EEES8_NS1_28merge_sort_block_sort_configILj256ELj4ELNS0_20block_sort_algorithmE0EEENS0_14default_configENS1_37merge_sort_block_sort_config_selectorIjN6thrust23THRUST_200600_302600_NS5tupleIffNSF_9null_typeESH_SH_SH_SH_SH_SH_SH_EEEENS1_38merge_sort_block_merge_config_selectorIjSI_EEEEvv.kd
    .uniform_work_group_size: 1
    .uses_dynamic_stack: false
    .vgpr_count:     0
    .vgpr_spill_count: 0
    .wavefront_size: 32
  - .args:           []
    .group_segment_fixed_size: 0
    .kernarg_segment_align: 4
    .kernarg_segment_size: 0
    .language:       OpenCL C
    .language_version:
      - 2
      - 0
    .max_flat_workgroup_size: 1024
    .name:           _ZN7rocprim17ROCPRIM_400000_NS6detail44device_merge_sort_compile_time_verifier_archINS1_11comp_targetILNS1_3genE2ELNS1_11target_archE906ELNS1_3gpuE6ELNS1_3repE0EEES8_NS1_28merge_sort_block_sort_configILj256ELj4ELNS0_20block_sort_algorithmE0EEENS0_14default_configENS1_37merge_sort_block_sort_config_selectorIjN6thrust23THRUST_200600_302600_NS5tupleIffNSF_9null_typeESH_SH_SH_SH_SH_SH_SH_EEEENS1_38merge_sort_block_merge_config_selectorIjSI_EEEEvv
    .private_segment_fixed_size: 0
    .sgpr_count:     0
    .sgpr_spill_count: 0
    .symbol:         _ZN7rocprim17ROCPRIM_400000_NS6detail44device_merge_sort_compile_time_verifier_archINS1_11comp_targetILNS1_3genE2ELNS1_11target_archE906ELNS1_3gpuE6ELNS1_3repE0EEES8_NS1_28merge_sort_block_sort_configILj256ELj4ELNS0_20block_sort_algorithmE0EEENS0_14default_configENS1_37merge_sort_block_sort_config_selectorIjN6thrust23THRUST_200600_302600_NS5tupleIffNSF_9null_typeESH_SH_SH_SH_SH_SH_SH_EEEENS1_38merge_sort_block_merge_config_selectorIjSI_EEEEvv.kd
    .uniform_work_group_size: 1
    .uses_dynamic_stack: false
    .vgpr_count:     0
    .vgpr_spill_count: 0
    .wavefront_size: 32
  - .args:           []
    .group_segment_fixed_size: 0
    .kernarg_segment_align: 4
    .kernarg_segment_size: 0
    .language:       OpenCL C
    .language_version:
      - 2
      - 0
    .max_flat_workgroup_size: 1024
    .name:           _ZN7rocprim17ROCPRIM_400000_NS6detail44device_merge_sort_compile_time_verifier_archINS1_11comp_targetILNS1_3genE10ELNS1_11target_archE1201ELNS1_3gpuE5ELNS1_3repE0EEES8_NS1_28merge_sort_block_sort_configILj256ELj4ELNS0_20block_sort_algorithmE0EEENS0_14default_configENS1_37merge_sort_block_sort_config_selectorIjN6thrust23THRUST_200600_302600_NS5tupleIffNSF_9null_typeESH_SH_SH_SH_SH_SH_SH_EEEENS1_38merge_sort_block_merge_config_selectorIjSI_EEEEvv
    .private_segment_fixed_size: 0
    .sgpr_count:     0
    .sgpr_spill_count: 0
    .symbol:         _ZN7rocprim17ROCPRIM_400000_NS6detail44device_merge_sort_compile_time_verifier_archINS1_11comp_targetILNS1_3genE10ELNS1_11target_archE1201ELNS1_3gpuE5ELNS1_3repE0EEES8_NS1_28merge_sort_block_sort_configILj256ELj4ELNS0_20block_sort_algorithmE0EEENS0_14default_configENS1_37merge_sort_block_sort_config_selectorIjN6thrust23THRUST_200600_302600_NS5tupleIffNSF_9null_typeESH_SH_SH_SH_SH_SH_SH_EEEENS1_38merge_sort_block_merge_config_selectorIjSI_EEEEvv.kd
    .uniform_work_group_size: 1
    .uses_dynamic_stack: false
    .vgpr_count:     0
    .vgpr_spill_count: 0
    .wavefront_size: 32
  - .args:           []
    .group_segment_fixed_size: 0
    .kernarg_segment_align: 4
    .kernarg_segment_size: 0
    .language:       OpenCL C
    .language_version:
      - 2
      - 0
    .max_flat_workgroup_size: 1024
    .name:           _ZN7rocprim17ROCPRIM_400000_NS6detail44device_merge_sort_compile_time_verifier_archINS1_11comp_targetILNS1_3genE10ELNS1_11target_archE1200ELNS1_3gpuE4ELNS1_3repE0EEENS3_ILS4_10ELS5_1201ELS6_5ELS7_0EEENS1_28merge_sort_block_sort_configILj256ELj4ELNS0_20block_sort_algorithmE0EEENS0_14default_configENS1_37merge_sort_block_sort_config_selectorIjN6thrust23THRUST_200600_302600_NS5tupleIffNSG_9null_typeESI_SI_SI_SI_SI_SI_SI_EEEENS1_38merge_sort_block_merge_config_selectorIjSJ_EEEEvv
    .private_segment_fixed_size: 0
    .sgpr_count:     0
    .sgpr_spill_count: 0
    .symbol:         _ZN7rocprim17ROCPRIM_400000_NS6detail44device_merge_sort_compile_time_verifier_archINS1_11comp_targetILNS1_3genE10ELNS1_11target_archE1200ELNS1_3gpuE4ELNS1_3repE0EEENS3_ILS4_10ELS5_1201ELS6_5ELS7_0EEENS1_28merge_sort_block_sort_configILj256ELj4ELNS0_20block_sort_algorithmE0EEENS0_14default_configENS1_37merge_sort_block_sort_config_selectorIjN6thrust23THRUST_200600_302600_NS5tupleIffNSG_9null_typeESI_SI_SI_SI_SI_SI_SI_EEEENS1_38merge_sort_block_merge_config_selectorIjSJ_EEEEvv.kd
    .uniform_work_group_size: 1
    .uses_dynamic_stack: false
    .vgpr_count:     0
    .vgpr_spill_count: 0
    .wavefront_size: 32
  - .args:           []
    .group_segment_fixed_size: 0
    .kernarg_segment_align: 4
    .kernarg_segment_size: 0
    .language:       OpenCL C
    .language_version:
      - 2
      - 0
    .max_flat_workgroup_size: 1024
    .name:           _ZN7rocprim17ROCPRIM_400000_NS6detail44device_merge_sort_compile_time_verifier_archINS1_11comp_targetILNS1_3genE9ELNS1_11target_archE1100ELNS1_3gpuE3ELNS1_3repE0EEES8_NS1_28merge_sort_block_sort_configILj256ELj4ELNS0_20block_sort_algorithmE0EEENS0_14default_configENS1_37merge_sort_block_sort_config_selectorIjN6thrust23THRUST_200600_302600_NS5tupleIffNSF_9null_typeESH_SH_SH_SH_SH_SH_SH_EEEENS1_38merge_sort_block_merge_config_selectorIjSI_EEEEvv
    .private_segment_fixed_size: 0
    .sgpr_count:     0
    .sgpr_spill_count: 0
    .symbol:         _ZN7rocprim17ROCPRIM_400000_NS6detail44device_merge_sort_compile_time_verifier_archINS1_11comp_targetILNS1_3genE9ELNS1_11target_archE1100ELNS1_3gpuE3ELNS1_3repE0EEES8_NS1_28merge_sort_block_sort_configILj256ELj4ELNS0_20block_sort_algorithmE0EEENS0_14default_configENS1_37merge_sort_block_sort_config_selectorIjN6thrust23THRUST_200600_302600_NS5tupleIffNSF_9null_typeESH_SH_SH_SH_SH_SH_SH_EEEENS1_38merge_sort_block_merge_config_selectorIjSI_EEEEvv.kd
    .uniform_work_group_size: 1
    .uses_dynamic_stack: false
    .vgpr_count:     0
    .vgpr_spill_count: 0
    .wavefront_size: 32
  - .args:           []
    .group_segment_fixed_size: 0
    .kernarg_segment_align: 4
    .kernarg_segment_size: 0
    .language:       OpenCL C
    .language_version:
      - 2
      - 0
    .max_flat_workgroup_size: 1024
    .name:           _ZN7rocprim17ROCPRIM_400000_NS6detail44device_merge_sort_compile_time_verifier_archINS1_11comp_targetILNS1_3genE8ELNS1_11target_archE1030ELNS1_3gpuE2ELNS1_3repE0EEES8_NS1_28merge_sort_block_sort_configILj256ELj4ELNS0_20block_sort_algorithmE0EEENS0_14default_configENS1_37merge_sort_block_sort_config_selectorIjN6thrust23THRUST_200600_302600_NS5tupleIffNSF_9null_typeESH_SH_SH_SH_SH_SH_SH_EEEENS1_38merge_sort_block_merge_config_selectorIjSI_EEEEvv
    .private_segment_fixed_size: 0
    .sgpr_count:     0
    .sgpr_spill_count: 0
    .symbol:         _ZN7rocprim17ROCPRIM_400000_NS6detail44device_merge_sort_compile_time_verifier_archINS1_11comp_targetILNS1_3genE8ELNS1_11target_archE1030ELNS1_3gpuE2ELNS1_3repE0EEES8_NS1_28merge_sort_block_sort_configILj256ELj4ELNS0_20block_sort_algorithmE0EEENS0_14default_configENS1_37merge_sort_block_sort_config_selectorIjN6thrust23THRUST_200600_302600_NS5tupleIffNSF_9null_typeESH_SH_SH_SH_SH_SH_SH_EEEENS1_38merge_sort_block_merge_config_selectorIjSI_EEEEvv.kd
    .uniform_work_group_size: 1
    .uses_dynamic_stack: false
    .vgpr_count:     0
    .vgpr_spill_count: 0
    .wavefront_size: 32
  - .args:
      - .offset:         0
        .size:           40
        .value_kind:     by_value
    .group_segment_fixed_size: 0
    .kernarg_segment_align: 8
    .kernarg_segment_size: 40
    .language:       OpenCL C
    .language_version:
      - 2
      - 0
    .max_flat_workgroup_size: 128
    .name:           _ZN7rocprim17ROCPRIM_400000_NS6detail17trampoline_kernelINS0_14default_configENS1_38merge_sort_block_merge_config_selectorIjN6thrust23THRUST_200600_302600_NS5tupleIffNS6_9null_typeES8_S8_S8_S8_S8_S8_S8_EEEEZZNS1_27merge_sort_block_merge_implIS3_NS6_6detail15normal_iteratorINS6_10device_ptrIjEEEENSD_INSE_IS9_EEEEjNS1_19radix_merge_compareILb0ELb0EjNS0_19identity_decomposerEEEEE10hipError_tT0_T1_T2_jT3_P12ihipStream_tbPNSt15iterator_traitsISN_E10value_typeEPNST_ISO_E10value_typeEPSP_NS1_7vsmem_tEENKUlT_SN_SO_SP_E_clIPjSG_PS9_SI_EESM_S12_SN_SO_SP_EUlS12_E_NS1_11comp_targetILNS1_3genE0ELNS1_11target_archE4294967295ELNS1_3gpuE0ELNS1_3repE0EEENS1_48merge_mergepath_partition_config_static_selectorELNS0_4arch9wavefront6targetE0EEEvSO_
    .private_segment_fixed_size: 0
    .sgpr_count:     8
    .sgpr_spill_count: 0
    .symbol:         _ZN7rocprim17ROCPRIM_400000_NS6detail17trampoline_kernelINS0_14default_configENS1_38merge_sort_block_merge_config_selectorIjN6thrust23THRUST_200600_302600_NS5tupleIffNS6_9null_typeES8_S8_S8_S8_S8_S8_S8_EEEEZZNS1_27merge_sort_block_merge_implIS3_NS6_6detail15normal_iteratorINS6_10device_ptrIjEEEENSD_INSE_IS9_EEEEjNS1_19radix_merge_compareILb0ELb0EjNS0_19identity_decomposerEEEEE10hipError_tT0_T1_T2_jT3_P12ihipStream_tbPNSt15iterator_traitsISN_E10value_typeEPNST_ISO_E10value_typeEPSP_NS1_7vsmem_tEENKUlT_SN_SO_SP_E_clIPjSG_PS9_SI_EESM_S12_SN_SO_SP_EUlS12_E_NS1_11comp_targetILNS1_3genE0ELNS1_11target_archE4294967295ELNS1_3gpuE0ELNS1_3repE0EEENS1_48merge_mergepath_partition_config_static_selectorELNS0_4arch9wavefront6targetE0EEEvSO_.kd
    .uniform_work_group_size: 1
    .uses_dynamic_stack: false
    .vgpr_count:     17
    .vgpr_spill_count: 0
    .wavefront_size: 32
  - .args:
      - .offset:         0
        .size:           40
        .value_kind:     by_value
    .group_segment_fixed_size: 0
    .kernarg_segment_align: 8
    .kernarg_segment_size: 40
    .language:       OpenCL C
    .language_version:
      - 2
      - 0
    .max_flat_workgroup_size: 128
    .name:           _ZN7rocprim17ROCPRIM_400000_NS6detail17trampoline_kernelINS0_14default_configENS1_38merge_sort_block_merge_config_selectorIjN6thrust23THRUST_200600_302600_NS5tupleIffNS6_9null_typeES8_S8_S8_S8_S8_S8_S8_EEEEZZNS1_27merge_sort_block_merge_implIS3_NS6_6detail15normal_iteratorINS6_10device_ptrIjEEEENSD_INSE_IS9_EEEEjNS1_19radix_merge_compareILb0ELb0EjNS0_19identity_decomposerEEEEE10hipError_tT0_T1_T2_jT3_P12ihipStream_tbPNSt15iterator_traitsISN_E10value_typeEPNST_ISO_E10value_typeEPSP_NS1_7vsmem_tEENKUlT_SN_SO_SP_E_clIPjSG_PS9_SI_EESM_S12_SN_SO_SP_EUlS12_E_NS1_11comp_targetILNS1_3genE10ELNS1_11target_archE1201ELNS1_3gpuE5ELNS1_3repE0EEENS1_48merge_mergepath_partition_config_static_selectorELNS0_4arch9wavefront6targetE0EEEvSO_
    .private_segment_fixed_size: 0
    .sgpr_count:     0
    .sgpr_spill_count: 0
    .symbol:         _ZN7rocprim17ROCPRIM_400000_NS6detail17trampoline_kernelINS0_14default_configENS1_38merge_sort_block_merge_config_selectorIjN6thrust23THRUST_200600_302600_NS5tupleIffNS6_9null_typeES8_S8_S8_S8_S8_S8_S8_EEEEZZNS1_27merge_sort_block_merge_implIS3_NS6_6detail15normal_iteratorINS6_10device_ptrIjEEEENSD_INSE_IS9_EEEEjNS1_19radix_merge_compareILb0ELb0EjNS0_19identity_decomposerEEEEE10hipError_tT0_T1_T2_jT3_P12ihipStream_tbPNSt15iterator_traitsISN_E10value_typeEPNST_ISO_E10value_typeEPSP_NS1_7vsmem_tEENKUlT_SN_SO_SP_E_clIPjSG_PS9_SI_EESM_S12_SN_SO_SP_EUlS12_E_NS1_11comp_targetILNS1_3genE10ELNS1_11target_archE1201ELNS1_3gpuE5ELNS1_3repE0EEENS1_48merge_mergepath_partition_config_static_selectorELNS0_4arch9wavefront6targetE0EEEvSO_.kd
    .uniform_work_group_size: 1
    .uses_dynamic_stack: false
    .vgpr_count:     0
    .vgpr_spill_count: 0
    .wavefront_size: 32
  - .args:
      - .offset:         0
        .size:           40
        .value_kind:     by_value
    .group_segment_fixed_size: 0
    .kernarg_segment_align: 8
    .kernarg_segment_size: 40
    .language:       OpenCL C
    .language_version:
      - 2
      - 0
    .max_flat_workgroup_size: 128
    .name:           _ZN7rocprim17ROCPRIM_400000_NS6detail17trampoline_kernelINS0_14default_configENS1_38merge_sort_block_merge_config_selectorIjN6thrust23THRUST_200600_302600_NS5tupleIffNS6_9null_typeES8_S8_S8_S8_S8_S8_S8_EEEEZZNS1_27merge_sort_block_merge_implIS3_NS6_6detail15normal_iteratorINS6_10device_ptrIjEEEENSD_INSE_IS9_EEEEjNS1_19radix_merge_compareILb0ELb0EjNS0_19identity_decomposerEEEEE10hipError_tT0_T1_T2_jT3_P12ihipStream_tbPNSt15iterator_traitsISN_E10value_typeEPNST_ISO_E10value_typeEPSP_NS1_7vsmem_tEENKUlT_SN_SO_SP_E_clIPjSG_PS9_SI_EESM_S12_SN_SO_SP_EUlS12_E_NS1_11comp_targetILNS1_3genE5ELNS1_11target_archE942ELNS1_3gpuE9ELNS1_3repE0EEENS1_48merge_mergepath_partition_config_static_selectorELNS0_4arch9wavefront6targetE0EEEvSO_
    .private_segment_fixed_size: 0
    .sgpr_count:     0
    .sgpr_spill_count: 0
    .symbol:         _ZN7rocprim17ROCPRIM_400000_NS6detail17trampoline_kernelINS0_14default_configENS1_38merge_sort_block_merge_config_selectorIjN6thrust23THRUST_200600_302600_NS5tupleIffNS6_9null_typeES8_S8_S8_S8_S8_S8_S8_EEEEZZNS1_27merge_sort_block_merge_implIS3_NS6_6detail15normal_iteratorINS6_10device_ptrIjEEEENSD_INSE_IS9_EEEEjNS1_19radix_merge_compareILb0ELb0EjNS0_19identity_decomposerEEEEE10hipError_tT0_T1_T2_jT3_P12ihipStream_tbPNSt15iterator_traitsISN_E10value_typeEPNST_ISO_E10value_typeEPSP_NS1_7vsmem_tEENKUlT_SN_SO_SP_E_clIPjSG_PS9_SI_EESM_S12_SN_SO_SP_EUlS12_E_NS1_11comp_targetILNS1_3genE5ELNS1_11target_archE942ELNS1_3gpuE9ELNS1_3repE0EEENS1_48merge_mergepath_partition_config_static_selectorELNS0_4arch9wavefront6targetE0EEEvSO_.kd
    .uniform_work_group_size: 1
    .uses_dynamic_stack: false
    .vgpr_count:     0
    .vgpr_spill_count: 0
    .wavefront_size: 32
  - .args:
      - .offset:         0
        .size:           40
        .value_kind:     by_value
    .group_segment_fixed_size: 0
    .kernarg_segment_align: 8
    .kernarg_segment_size: 40
    .language:       OpenCL C
    .language_version:
      - 2
      - 0
    .max_flat_workgroup_size: 128
    .name:           _ZN7rocprim17ROCPRIM_400000_NS6detail17trampoline_kernelINS0_14default_configENS1_38merge_sort_block_merge_config_selectorIjN6thrust23THRUST_200600_302600_NS5tupleIffNS6_9null_typeES8_S8_S8_S8_S8_S8_S8_EEEEZZNS1_27merge_sort_block_merge_implIS3_NS6_6detail15normal_iteratorINS6_10device_ptrIjEEEENSD_INSE_IS9_EEEEjNS1_19radix_merge_compareILb0ELb0EjNS0_19identity_decomposerEEEEE10hipError_tT0_T1_T2_jT3_P12ihipStream_tbPNSt15iterator_traitsISN_E10value_typeEPNST_ISO_E10value_typeEPSP_NS1_7vsmem_tEENKUlT_SN_SO_SP_E_clIPjSG_PS9_SI_EESM_S12_SN_SO_SP_EUlS12_E_NS1_11comp_targetILNS1_3genE4ELNS1_11target_archE910ELNS1_3gpuE8ELNS1_3repE0EEENS1_48merge_mergepath_partition_config_static_selectorELNS0_4arch9wavefront6targetE0EEEvSO_
    .private_segment_fixed_size: 0
    .sgpr_count:     0
    .sgpr_spill_count: 0
    .symbol:         _ZN7rocprim17ROCPRIM_400000_NS6detail17trampoline_kernelINS0_14default_configENS1_38merge_sort_block_merge_config_selectorIjN6thrust23THRUST_200600_302600_NS5tupleIffNS6_9null_typeES8_S8_S8_S8_S8_S8_S8_EEEEZZNS1_27merge_sort_block_merge_implIS3_NS6_6detail15normal_iteratorINS6_10device_ptrIjEEEENSD_INSE_IS9_EEEEjNS1_19radix_merge_compareILb0ELb0EjNS0_19identity_decomposerEEEEE10hipError_tT0_T1_T2_jT3_P12ihipStream_tbPNSt15iterator_traitsISN_E10value_typeEPNST_ISO_E10value_typeEPSP_NS1_7vsmem_tEENKUlT_SN_SO_SP_E_clIPjSG_PS9_SI_EESM_S12_SN_SO_SP_EUlS12_E_NS1_11comp_targetILNS1_3genE4ELNS1_11target_archE910ELNS1_3gpuE8ELNS1_3repE0EEENS1_48merge_mergepath_partition_config_static_selectorELNS0_4arch9wavefront6targetE0EEEvSO_.kd
    .uniform_work_group_size: 1
    .uses_dynamic_stack: false
    .vgpr_count:     0
    .vgpr_spill_count: 0
    .wavefront_size: 32
  - .args:
      - .offset:         0
        .size:           40
        .value_kind:     by_value
    .group_segment_fixed_size: 0
    .kernarg_segment_align: 8
    .kernarg_segment_size: 40
    .language:       OpenCL C
    .language_version:
      - 2
      - 0
    .max_flat_workgroup_size: 128
    .name:           _ZN7rocprim17ROCPRIM_400000_NS6detail17trampoline_kernelINS0_14default_configENS1_38merge_sort_block_merge_config_selectorIjN6thrust23THRUST_200600_302600_NS5tupleIffNS6_9null_typeES8_S8_S8_S8_S8_S8_S8_EEEEZZNS1_27merge_sort_block_merge_implIS3_NS6_6detail15normal_iteratorINS6_10device_ptrIjEEEENSD_INSE_IS9_EEEEjNS1_19radix_merge_compareILb0ELb0EjNS0_19identity_decomposerEEEEE10hipError_tT0_T1_T2_jT3_P12ihipStream_tbPNSt15iterator_traitsISN_E10value_typeEPNST_ISO_E10value_typeEPSP_NS1_7vsmem_tEENKUlT_SN_SO_SP_E_clIPjSG_PS9_SI_EESM_S12_SN_SO_SP_EUlS12_E_NS1_11comp_targetILNS1_3genE3ELNS1_11target_archE908ELNS1_3gpuE7ELNS1_3repE0EEENS1_48merge_mergepath_partition_config_static_selectorELNS0_4arch9wavefront6targetE0EEEvSO_
    .private_segment_fixed_size: 0
    .sgpr_count:     0
    .sgpr_spill_count: 0
    .symbol:         _ZN7rocprim17ROCPRIM_400000_NS6detail17trampoline_kernelINS0_14default_configENS1_38merge_sort_block_merge_config_selectorIjN6thrust23THRUST_200600_302600_NS5tupleIffNS6_9null_typeES8_S8_S8_S8_S8_S8_S8_EEEEZZNS1_27merge_sort_block_merge_implIS3_NS6_6detail15normal_iteratorINS6_10device_ptrIjEEEENSD_INSE_IS9_EEEEjNS1_19radix_merge_compareILb0ELb0EjNS0_19identity_decomposerEEEEE10hipError_tT0_T1_T2_jT3_P12ihipStream_tbPNSt15iterator_traitsISN_E10value_typeEPNST_ISO_E10value_typeEPSP_NS1_7vsmem_tEENKUlT_SN_SO_SP_E_clIPjSG_PS9_SI_EESM_S12_SN_SO_SP_EUlS12_E_NS1_11comp_targetILNS1_3genE3ELNS1_11target_archE908ELNS1_3gpuE7ELNS1_3repE0EEENS1_48merge_mergepath_partition_config_static_selectorELNS0_4arch9wavefront6targetE0EEEvSO_.kd
    .uniform_work_group_size: 1
    .uses_dynamic_stack: false
    .vgpr_count:     0
    .vgpr_spill_count: 0
    .wavefront_size: 32
  - .args:
      - .offset:         0
        .size:           40
        .value_kind:     by_value
    .group_segment_fixed_size: 0
    .kernarg_segment_align: 8
    .kernarg_segment_size: 40
    .language:       OpenCL C
    .language_version:
      - 2
      - 0
    .max_flat_workgroup_size: 128
    .name:           _ZN7rocprim17ROCPRIM_400000_NS6detail17trampoline_kernelINS0_14default_configENS1_38merge_sort_block_merge_config_selectorIjN6thrust23THRUST_200600_302600_NS5tupleIffNS6_9null_typeES8_S8_S8_S8_S8_S8_S8_EEEEZZNS1_27merge_sort_block_merge_implIS3_NS6_6detail15normal_iteratorINS6_10device_ptrIjEEEENSD_INSE_IS9_EEEEjNS1_19radix_merge_compareILb0ELb0EjNS0_19identity_decomposerEEEEE10hipError_tT0_T1_T2_jT3_P12ihipStream_tbPNSt15iterator_traitsISN_E10value_typeEPNST_ISO_E10value_typeEPSP_NS1_7vsmem_tEENKUlT_SN_SO_SP_E_clIPjSG_PS9_SI_EESM_S12_SN_SO_SP_EUlS12_E_NS1_11comp_targetILNS1_3genE2ELNS1_11target_archE906ELNS1_3gpuE6ELNS1_3repE0EEENS1_48merge_mergepath_partition_config_static_selectorELNS0_4arch9wavefront6targetE0EEEvSO_
    .private_segment_fixed_size: 0
    .sgpr_count:     0
    .sgpr_spill_count: 0
    .symbol:         _ZN7rocprim17ROCPRIM_400000_NS6detail17trampoline_kernelINS0_14default_configENS1_38merge_sort_block_merge_config_selectorIjN6thrust23THRUST_200600_302600_NS5tupleIffNS6_9null_typeES8_S8_S8_S8_S8_S8_S8_EEEEZZNS1_27merge_sort_block_merge_implIS3_NS6_6detail15normal_iteratorINS6_10device_ptrIjEEEENSD_INSE_IS9_EEEEjNS1_19radix_merge_compareILb0ELb0EjNS0_19identity_decomposerEEEEE10hipError_tT0_T1_T2_jT3_P12ihipStream_tbPNSt15iterator_traitsISN_E10value_typeEPNST_ISO_E10value_typeEPSP_NS1_7vsmem_tEENKUlT_SN_SO_SP_E_clIPjSG_PS9_SI_EESM_S12_SN_SO_SP_EUlS12_E_NS1_11comp_targetILNS1_3genE2ELNS1_11target_archE906ELNS1_3gpuE6ELNS1_3repE0EEENS1_48merge_mergepath_partition_config_static_selectorELNS0_4arch9wavefront6targetE0EEEvSO_.kd
    .uniform_work_group_size: 1
    .uses_dynamic_stack: false
    .vgpr_count:     0
    .vgpr_spill_count: 0
    .wavefront_size: 32
  - .args:
      - .offset:         0
        .size:           40
        .value_kind:     by_value
    .group_segment_fixed_size: 0
    .kernarg_segment_align: 8
    .kernarg_segment_size: 40
    .language:       OpenCL C
    .language_version:
      - 2
      - 0
    .max_flat_workgroup_size: 128
    .name:           _ZN7rocprim17ROCPRIM_400000_NS6detail17trampoline_kernelINS0_14default_configENS1_38merge_sort_block_merge_config_selectorIjN6thrust23THRUST_200600_302600_NS5tupleIffNS6_9null_typeES8_S8_S8_S8_S8_S8_S8_EEEEZZNS1_27merge_sort_block_merge_implIS3_NS6_6detail15normal_iteratorINS6_10device_ptrIjEEEENSD_INSE_IS9_EEEEjNS1_19radix_merge_compareILb0ELb0EjNS0_19identity_decomposerEEEEE10hipError_tT0_T1_T2_jT3_P12ihipStream_tbPNSt15iterator_traitsISN_E10value_typeEPNST_ISO_E10value_typeEPSP_NS1_7vsmem_tEENKUlT_SN_SO_SP_E_clIPjSG_PS9_SI_EESM_S12_SN_SO_SP_EUlS12_E_NS1_11comp_targetILNS1_3genE9ELNS1_11target_archE1100ELNS1_3gpuE3ELNS1_3repE0EEENS1_48merge_mergepath_partition_config_static_selectorELNS0_4arch9wavefront6targetE0EEEvSO_
    .private_segment_fixed_size: 0
    .sgpr_count:     0
    .sgpr_spill_count: 0
    .symbol:         _ZN7rocprim17ROCPRIM_400000_NS6detail17trampoline_kernelINS0_14default_configENS1_38merge_sort_block_merge_config_selectorIjN6thrust23THRUST_200600_302600_NS5tupleIffNS6_9null_typeES8_S8_S8_S8_S8_S8_S8_EEEEZZNS1_27merge_sort_block_merge_implIS3_NS6_6detail15normal_iteratorINS6_10device_ptrIjEEEENSD_INSE_IS9_EEEEjNS1_19radix_merge_compareILb0ELb0EjNS0_19identity_decomposerEEEEE10hipError_tT0_T1_T2_jT3_P12ihipStream_tbPNSt15iterator_traitsISN_E10value_typeEPNST_ISO_E10value_typeEPSP_NS1_7vsmem_tEENKUlT_SN_SO_SP_E_clIPjSG_PS9_SI_EESM_S12_SN_SO_SP_EUlS12_E_NS1_11comp_targetILNS1_3genE9ELNS1_11target_archE1100ELNS1_3gpuE3ELNS1_3repE0EEENS1_48merge_mergepath_partition_config_static_selectorELNS0_4arch9wavefront6targetE0EEEvSO_.kd
    .uniform_work_group_size: 1
    .uses_dynamic_stack: false
    .vgpr_count:     0
    .vgpr_spill_count: 0
    .wavefront_size: 32
  - .args:
      - .offset:         0
        .size:           40
        .value_kind:     by_value
    .group_segment_fixed_size: 0
    .kernarg_segment_align: 8
    .kernarg_segment_size: 40
    .language:       OpenCL C
    .language_version:
      - 2
      - 0
    .max_flat_workgroup_size: 128
    .name:           _ZN7rocprim17ROCPRIM_400000_NS6detail17trampoline_kernelINS0_14default_configENS1_38merge_sort_block_merge_config_selectorIjN6thrust23THRUST_200600_302600_NS5tupleIffNS6_9null_typeES8_S8_S8_S8_S8_S8_S8_EEEEZZNS1_27merge_sort_block_merge_implIS3_NS6_6detail15normal_iteratorINS6_10device_ptrIjEEEENSD_INSE_IS9_EEEEjNS1_19radix_merge_compareILb0ELb0EjNS0_19identity_decomposerEEEEE10hipError_tT0_T1_T2_jT3_P12ihipStream_tbPNSt15iterator_traitsISN_E10value_typeEPNST_ISO_E10value_typeEPSP_NS1_7vsmem_tEENKUlT_SN_SO_SP_E_clIPjSG_PS9_SI_EESM_S12_SN_SO_SP_EUlS12_E_NS1_11comp_targetILNS1_3genE8ELNS1_11target_archE1030ELNS1_3gpuE2ELNS1_3repE0EEENS1_48merge_mergepath_partition_config_static_selectorELNS0_4arch9wavefront6targetE0EEEvSO_
    .private_segment_fixed_size: 0
    .sgpr_count:     0
    .sgpr_spill_count: 0
    .symbol:         _ZN7rocprim17ROCPRIM_400000_NS6detail17trampoline_kernelINS0_14default_configENS1_38merge_sort_block_merge_config_selectorIjN6thrust23THRUST_200600_302600_NS5tupleIffNS6_9null_typeES8_S8_S8_S8_S8_S8_S8_EEEEZZNS1_27merge_sort_block_merge_implIS3_NS6_6detail15normal_iteratorINS6_10device_ptrIjEEEENSD_INSE_IS9_EEEEjNS1_19radix_merge_compareILb0ELb0EjNS0_19identity_decomposerEEEEE10hipError_tT0_T1_T2_jT3_P12ihipStream_tbPNSt15iterator_traitsISN_E10value_typeEPNST_ISO_E10value_typeEPSP_NS1_7vsmem_tEENKUlT_SN_SO_SP_E_clIPjSG_PS9_SI_EESM_S12_SN_SO_SP_EUlS12_E_NS1_11comp_targetILNS1_3genE8ELNS1_11target_archE1030ELNS1_3gpuE2ELNS1_3repE0EEENS1_48merge_mergepath_partition_config_static_selectorELNS0_4arch9wavefront6targetE0EEEvSO_.kd
    .uniform_work_group_size: 1
    .uses_dynamic_stack: false
    .vgpr_count:     0
    .vgpr_spill_count: 0
    .wavefront_size: 32
  - .args:
      - .offset:         0
        .size:           64
        .value_kind:     by_value
      - .offset:         64
        .size:           4
        .value_kind:     hidden_block_count_x
      - .offset:         68
        .size:           4
        .value_kind:     hidden_block_count_y
      - .offset:         72
        .size:           4
        .value_kind:     hidden_block_count_z
      - .offset:         76
        .size:           2
        .value_kind:     hidden_group_size_x
      - .offset:         78
        .size:           2
        .value_kind:     hidden_group_size_y
      - .offset:         80
        .size:           2
        .value_kind:     hidden_group_size_z
      - .offset:         82
        .size:           2
        .value_kind:     hidden_remainder_x
      - .offset:         84
        .size:           2
        .value_kind:     hidden_remainder_y
      - .offset:         86
        .size:           2
        .value_kind:     hidden_remainder_z
      - .offset:         104
        .size:           8
        .value_kind:     hidden_global_offset_x
      - .offset:         112
        .size:           8
        .value_kind:     hidden_global_offset_y
      - .offset:         120
        .size:           8
        .value_kind:     hidden_global_offset_z
      - .offset:         128
        .size:           2
        .value_kind:     hidden_grid_dims
    .group_segment_fixed_size: 8448
    .kernarg_segment_align: 8
    .kernarg_segment_size: 320
    .language:       OpenCL C
    .language_version:
      - 2
      - 0
    .max_flat_workgroup_size: 512
    .name:           _ZN7rocprim17ROCPRIM_400000_NS6detail17trampoline_kernelINS0_14default_configENS1_38merge_sort_block_merge_config_selectorIjN6thrust23THRUST_200600_302600_NS5tupleIffNS6_9null_typeES8_S8_S8_S8_S8_S8_S8_EEEEZZNS1_27merge_sort_block_merge_implIS3_NS6_6detail15normal_iteratorINS6_10device_ptrIjEEEENSD_INSE_IS9_EEEEjNS1_19radix_merge_compareILb0ELb0EjNS0_19identity_decomposerEEEEE10hipError_tT0_T1_T2_jT3_P12ihipStream_tbPNSt15iterator_traitsISN_E10value_typeEPNST_ISO_E10value_typeEPSP_NS1_7vsmem_tEENKUlT_SN_SO_SP_E_clIPjSG_PS9_SI_EESM_S12_SN_SO_SP_EUlS12_E0_NS1_11comp_targetILNS1_3genE0ELNS1_11target_archE4294967295ELNS1_3gpuE0ELNS1_3repE0EEENS1_38merge_mergepath_config_static_selectorELNS0_4arch9wavefront6targetE0EEEvSO_
    .private_segment_fixed_size: 0
    .sgpr_count:     32
    .sgpr_spill_count: 0
    .symbol:         _ZN7rocprim17ROCPRIM_400000_NS6detail17trampoline_kernelINS0_14default_configENS1_38merge_sort_block_merge_config_selectorIjN6thrust23THRUST_200600_302600_NS5tupleIffNS6_9null_typeES8_S8_S8_S8_S8_S8_S8_EEEEZZNS1_27merge_sort_block_merge_implIS3_NS6_6detail15normal_iteratorINS6_10device_ptrIjEEEENSD_INSE_IS9_EEEEjNS1_19radix_merge_compareILb0ELb0EjNS0_19identity_decomposerEEEEE10hipError_tT0_T1_T2_jT3_P12ihipStream_tbPNSt15iterator_traitsISN_E10value_typeEPNST_ISO_E10value_typeEPSP_NS1_7vsmem_tEENKUlT_SN_SO_SP_E_clIPjSG_PS9_SI_EESM_S12_SN_SO_SP_EUlS12_E0_NS1_11comp_targetILNS1_3genE0ELNS1_11target_archE4294967295ELNS1_3gpuE0ELNS1_3repE0EEENS1_38merge_mergepath_config_static_selectorELNS0_4arch9wavefront6targetE0EEEvSO_.kd
    .uniform_work_group_size: 1
    .uses_dynamic_stack: false
    .vgpr_count:     18
    .vgpr_spill_count: 0
    .wavefront_size: 32
  - .args:
      - .offset:         0
        .size:           64
        .value_kind:     by_value
    .group_segment_fixed_size: 0
    .kernarg_segment_align: 8
    .kernarg_segment_size: 64
    .language:       OpenCL C
    .language_version:
      - 2
      - 0
    .max_flat_workgroup_size: 512
    .name:           _ZN7rocprim17ROCPRIM_400000_NS6detail17trampoline_kernelINS0_14default_configENS1_38merge_sort_block_merge_config_selectorIjN6thrust23THRUST_200600_302600_NS5tupleIffNS6_9null_typeES8_S8_S8_S8_S8_S8_S8_EEEEZZNS1_27merge_sort_block_merge_implIS3_NS6_6detail15normal_iteratorINS6_10device_ptrIjEEEENSD_INSE_IS9_EEEEjNS1_19radix_merge_compareILb0ELb0EjNS0_19identity_decomposerEEEEE10hipError_tT0_T1_T2_jT3_P12ihipStream_tbPNSt15iterator_traitsISN_E10value_typeEPNST_ISO_E10value_typeEPSP_NS1_7vsmem_tEENKUlT_SN_SO_SP_E_clIPjSG_PS9_SI_EESM_S12_SN_SO_SP_EUlS12_E0_NS1_11comp_targetILNS1_3genE10ELNS1_11target_archE1201ELNS1_3gpuE5ELNS1_3repE0EEENS1_38merge_mergepath_config_static_selectorELNS0_4arch9wavefront6targetE0EEEvSO_
    .private_segment_fixed_size: 0
    .sgpr_count:     0
    .sgpr_spill_count: 0
    .symbol:         _ZN7rocprim17ROCPRIM_400000_NS6detail17trampoline_kernelINS0_14default_configENS1_38merge_sort_block_merge_config_selectorIjN6thrust23THRUST_200600_302600_NS5tupleIffNS6_9null_typeES8_S8_S8_S8_S8_S8_S8_EEEEZZNS1_27merge_sort_block_merge_implIS3_NS6_6detail15normal_iteratorINS6_10device_ptrIjEEEENSD_INSE_IS9_EEEEjNS1_19radix_merge_compareILb0ELb0EjNS0_19identity_decomposerEEEEE10hipError_tT0_T1_T2_jT3_P12ihipStream_tbPNSt15iterator_traitsISN_E10value_typeEPNST_ISO_E10value_typeEPSP_NS1_7vsmem_tEENKUlT_SN_SO_SP_E_clIPjSG_PS9_SI_EESM_S12_SN_SO_SP_EUlS12_E0_NS1_11comp_targetILNS1_3genE10ELNS1_11target_archE1201ELNS1_3gpuE5ELNS1_3repE0EEENS1_38merge_mergepath_config_static_selectorELNS0_4arch9wavefront6targetE0EEEvSO_.kd
    .uniform_work_group_size: 1
    .uses_dynamic_stack: false
    .vgpr_count:     0
    .vgpr_spill_count: 0
    .wavefront_size: 32
  - .args:
      - .offset:         0
        .size:           64
        .value_kind:     by_value
    .group_segment_fixed_size: 0
    .kernarg_segment_align: 8
    .kernarg_segment_size: 64
    .language:       OpenCL C
    .language_version:
      - 2
      - 0
    .max_flat_workgroup_size: 256
    .name:           _ZN7rocprim17ROCPRIM_400000_NS6detail17trampoline_kernelINS0_14default_configENS1_38merge_sort_block_merge_config_selectorIjN6thrust23THRUST_200600_302600_NS5tupleIffNS6_9null_typeES8_S8_S8_S8_S8_S8_S8_EEEEZZNS1_27merge_sort_block_merge_implIS3_NS6_6detail15normal_iteratorINS6_10device_ptrIjEEEENSD_INSE_IS9_EEEEjNS1_19radix_merge_compareILb0ELb0EjNS0_19identity_decomposerEEEEE10hipError_tT0_T1_T2_jT3_P12ihipStream_tbPNSt15iterator_traitsISN_E10value_typeEPNST_ISO_E10value_typeEPSP_NS1_7vsmem_tEENKUlT_SN_SO_SP_E_clIPjSG_PS9_SI_EESM_S12_SN_SO_SP_EUlS12_E0_NS1_11comp_targetILNS1_3genE5ELNS1_11target_archE942ELNS1_3gpuE9ELNS1_3repE0EEENS1_38merge_mergepath_config_static_selectorELNS0_4arch9wavefront6targetE0EEEvSO_
    .private_segment_fixed_size: 0
    .sgpr_count:     0
    .sgpr_spill_count: 0
    .symbol:         _ZN7rocprim17ROCPRIM_400000_NS6detail17trampoline_kernelINS0_14default_configENS1_38merge_sort_block_merge_config_selectorIjN6thrust23THRUST_200600_302600_NS5tupleIffNS6_9null_typeES8_S8_S8_S8_S8_S8_S8_EEEEZZNS1_27merge_sort_block_merge_implIS3_NS6_6detail15normal_iteratorINS6_10device_ptrIjEEEENSD_INSE_IS9_EEEEjNS1_19radix_merge_compareILb0ELb0EjNS0_19identity_decomposerEEEEE10hipError_tT0_T1_T2_jT3_P12ihipStream_tbPNSt15iterator_traitsISN_E10value_typeEPNST_ISO_E10value_typeEPSP_NS1_7vsmem_tEENKUlT_SN_SO_SP_E_clIPjSG_PS9_SI_EESM_S12_SN_SO_SP_EUlS12_E0_NS1_11comp_targetILNS1_3genE5ELNS1_11target_archE942ELNS1_3gpuE9ELNS1_3repE0EEENS1_38merge_mergepath_config_static_selectorELNS0_4arch9wavefront6targetE0EEEvSO_.kd
    .uniform_work_group_size: 1
    .uses_dynamic_stack: false
    .vgpr_count:     0
    .vgpr_spill_count: 0
    .wavefront_size: 32
  - .args:
      - .offset:         0
        .size:           64
        .value_kind:     by_value
    .group_segment_fixed_size: 0
    .kernarg_segment_align: 8
    .kernarg_segment_size: 64
    .language:       OpenCL C
    .language_version:
      - 2
      - 0
    .max_flat_workgroup_size: 256
    .name:           _ZN7rocprim17ROCPRIM_400000_NS6detail17trampoline_kernelINS0_14default_configENS1_38merge_sort_block_merge_config_selectorIjN6thrust23THRUST_200600_302600_NS5tupleIffNS6_9null_typeES8_S8_S8_S8_S8_S8_S8_EEEEZZNS1_27merge_sort_block_merge_implIS3_NS6_6detail15normal_iteratorINS6_10device_ptrIjEEEENSD_INSE_IS9_EEEEjNS1_19radix_merge_compareILb0ELb0EjNS0_19identity_decomposerEEEEE10hipError_tT0_T1_T2_jT3_P12ihipStream_tbPNSt15iterator_traitsISN_E10value_typeEPNST_ISO_E10value_typeEPSP_NS1_7vsmem_tEENKUlT_SN_SO_SP_E_clIPjSG_PS9_SI_EESM_S12_SN_SO_SP_EUlS12_E0_NS1_11comp_targetILNS1_3genE4ELNS1_11target_archE910ELNS1_3gpuE8ELNS1_3repE0EEENS1_38merge_mergepath_config_static_selectorELNS0_4arch9wavefront6targetE0EEEvSO_
    .private_segment_fixed_size: 0
    .sgpr_count:     0
    .sgpr_spill_count: 0
    .symbol:         _ZN7rocprim17ROCPRIM_400000_NS6detail17trampoline_kernelINS0_14default_configENS1_38merge_sort_block_merge_config_selectorIjN6thrust23THRUST_200600_302600_NS5tupleIffNS6_9null_typeES8_S8_S8_S8_S8_S8_S8_EEEEZZNS1_27merge_sort_block_merge_implIS3_NS6_6detail15normal_iteratorINS6_10device_ptrIjEEEENSD_INSE_IS9_EEEEjNS1_19radix_merge_compareILb0ELb0EjNS0_19identity_decomposerEEEEE10hipError_tT0_T1_T2_jT3_P12ihipStream_tbPNSt15iterator_traitsISN_E10value_typeEPNST_ISO_E10value_typeEPSP_NS1_7vsmem_tEENKUlT_SN_SO_SP_E_clIPjSG_PS9_SI_EESM_S12_SN_SO_SP_EUlS12_E0_NS1_11comp_targetILNS1_3genE4ELNS1_11target_archE910ELNS1_3gpuE8ELNS1_3repE0EEENS1_38merge_mergepath_config_static_selectorELNS0_4arch9wavefront6targetE0EEEvSO_.kd
    .uniform_work_group_size: 1
    .uses_dynamic_stack: false
    .vgpr_count:     0
    .vgpr_spill_count: 0
    .wavefront_size: 32
  - .args:
      - .offset:         0
        .size:           64
        .value_kind:     by_value
    .group_segment_fixed_size: 0
    .kernarg_segment_align: 8
    .kernarg_segment_size: 64
    .language:       OpenCL C
    .language_version:
      - 2
      - 0
    .max_flat_workgroup_size: 512
    .name:           _ZN7rocprim17ROCPRIM_400000_NS6detail17trampoline_kernelINS0_14default_configENS1_38merge_sort_block_merge_config_selectorIjN6thrust23THRUST_200600_302600_NS5tupleIffNS6_9null_typeES8_S8_S8_S8_S8_S8_S8_EEEEZZNS1_27merge_sort_block_merge_implIS3_NS6_6detail15normal_iteratorINS6_10device_ptrIjEEEENSD_INSE_IS9_EEEEjNS1_19radix_merge_compareILb0ELb0EjNS0_19identity_decomposerEEEEE10hipError_tT0_T1_T2_jT3_P12ihipStream_tbPNSt15iterator_traitsISN_E10value_typeEPNST_ISO_E10value_typeEPSP_NS1_7vsmem_tEENKUlT_SN_SO_SP_E_clIPjSG_PS9_SI_EESM_S12_SN_SO_SP_EUlS12_E0_NS1_11comp_targetILNS1_3genE3ELNS1_11target_archE908ELNS1_3gpuE7ELNS1_3repE0EEENS1_38merge_mergepath_config_static_selectorELNS0_4arch9wavefront6targetE0EEEvSO_
    .private_segment_fixed_size: 0
    .sgpr_count:     0
    .sgpr_spill_count: 0
    .symbol:         _ZN7rocprim17ROCPRIM_400000_NS6detail17trampoline_kernelINS0_14default_configENS1_38merge_sort_block_merge_config_selectorIjN6thrust23THRUST_200600_302600_NS5tupleIffNS6_9null_typeES8_S8_S8_S8_S8_S8_S8_EEEEZZNS1_27merge_sort_block_merge_implIS3_NS6_6detail15normal_iteratorINS6_10device_ptrIjEEEENSD_INSE_IS9_EEEEjNS1_19radix_merge_compareILb0ELb0EjNS0_19identity_decomposerEEEEE10hipError_tT0_T1_T2_jT3_P12ihipStream_tbPNSt15iterator_traitsISN_E10value_typeEPNST_ISO_E10value_typeEPSP_NS1_7vsmem_tEENKUlT_SN_SO_SP_E_clIPjSG_PS9_SI_EESM_S12_SN_SO_SP_EUlS12_E0_NS1_11comp_targetILNS1_3genE3ELNS1_11target_archE908ELNS1_3gpuE7ELNS1_3repE0EEENS1_38merge_mergepath_config_static_selectorELNS0_4arch9wavefront6targetE0EEEvSO_.kd
    .uniform_work_group_size: 1
    .uses_dynamic_stack: false
    .vgpr_count:     0
    .vgpr_spill_count: 0
    .wavefront_size: 32
  - .args:
      - .offset:         0
        .size:           64
        .value_kind:     by_value
    .group_segment_fixed_size: 0
    .kernarg_segment_align: 8
    .kernarg_segment_size: 64
    .language:       OpenCL C
    .language_version:
      - 2
      - 0
    .max_flat_workgroup_size: 256
    .name:           _ZN7rocprim17ROCPRIM_400000_NS6detail17trampoline_kernelINS0_14default_configENS1_38merge_sort_block_merge_config_selectorIjN6thrust23THRUST_200600_302600_NS5tupleIffNS6_9null_typeES8_S8_S8_S8_S8_S8_S8_EEEEZZNS1_27merge_sort_block_merge_implIS3_NS6_6detail15normal_iteratorINS6_10device_ptrIjEEEENSD_INSE_IS9_EEEEjNS1_19radix_merge_compareILb0ELb0EjNS0_19identity_decomposerEEEEE10hipError_tT0_T1_T2_jT3_P12ihipStream_tbPNSt15iterator_traitsISN_E10value_typeEPNST_ISO_E10value_typeEPSP_NS1_7vsmem_tEENKUlT_SN_SO_SP_E_clIPjSG_PS9_SI_EESM_S12_SN_SO_SP_EUlS12_E0_NS1_11comp_targetILNS1_3genE2ELNS1_11target_archE906ELNS1_3gpuE6ELNS1_3repE0EEENS1_38merge_mergepath_config_static_selectorELNS0_4arch9wavefront6targetE0EEEvSO_
    .private_segment_fixed_size: 0
    .sgpr_count:     0
    .sgpr_spill_count: 0
    .symbol:         _ZN7rocprim17ROCPRIM_400000_NS6detail17trampoline_kernelINS0_14default_configENS1_38merge_sort_block_merge_config_selectorIjN6thrust23THRUST_200600_302600_NS5tupleIffNS6_9null_typeES8_S8_S8_S8_S8_S8_S8_EEEEZZNS1_27merge_sort_block_merge_implIS3_NS6_6detail15normal_iteratorINS6_10device_ptrIjEEEENSD_INSE_IS9_EEEEjNS1_19radix_merge_compareILb0ELb0EjNS0_19identity_decomposerEEEEE10hipError_tT0_T1_T2_jT3_P12ihipStream_tbPNSt15iterator_traitsISN_E10value_typeEPNST_ISO_E10value_typeEPSP_NS1_7vsmem_tEENKUlT_SN_SO_SP_E_clIPjSG_PS9_SI_EESM_S12_SN_SO_SP_EUlS12_E0_NS1_11comp_targetILNS1_3genE2ELNS1_11target_archE906ELNS1_3gpuE6ELNS1_3repE0EEENS1_38merge_mergepath_config_static_selectorELNS0_4arch9wavefront6targetE0EEEvSO_.kd
    .uniform_work_group_size: 1
    .uses_dynamic_stack: false
    .vgpr_count:     0
    .vgpr_spill_count: 0
    .wavefront_size: 32
  - .args:
      - .offset:         0
        .size:           64
        .value_kind:     by_value
    .group_segment_fixed_size: 0
    .kernarg_segment_align: 8
    .kernarg_segment_size: 64
    .language:       OpenCL C
    .language_version:
      - 2
      - 0
    .max_flat_workgroup_size: 512
    .name:           _ZN7rocprim17ROCPRIM_400000_NS6detail17trampoline_kernelINS0_14default_configENS1_38merge_sort_block_merge_config_selectorIjN6thrust23THRUST_200600_302600_NS5tupleIffNS6_9null_typeES8_S8_S8_S8_S8_S8_S8_EEEEZZNS1_27merge_sort_block_merge_implIS3_NS6_6detail15normal_iteratorINS6_10device_ptrIjEEEENSD_INSE_IS9_EEEEjNS1_19radix_merge_compareILb0ELb0EjNS0_19identity_decomposerEEEEE10hipError_tT0_T1_T2_jT3_P12ihipStream_tbPNSt15iterator_traitsISN_E10value_typeEPNST_ISO_E10value_typeEPSP_NS1_7vsmem_tEENKUlT_SN_SO_SP_E_clIPjSG_PS9_SI_EESM_S12_SN_SO_SP_EUlS12_E0_NS1_11comp_targetILNS1_3genE9ELNS1_11target_archE1100ELNS1_3gpuE3ELNS1_3repE0EEENS1_38merge_mergepath_config_static_selectorELNS0_4arch9wavefront6targetE0EEEvSO_
    .private_segment_fixed_size: 0
    .sgpr_count:     0
    .sgpr_spill_count: 0
    .symbol:         _ZN7rocprim17ROCPRIM_400000_NS6detail17trampoline_kernelINS0_14default_configENS1_38merge_sort_block_merge_config_selectorIjN6thrust23THRUST_200600_302600_NS5tupleIffNS6_9null_typeES8_S8_S8_S8_S8_S8_S8_EEEEZZNS1_27merge_sort_block_merge_implIS3_NS6_6detail15normal_iteratorINS6_10device_ptrIjEEEENSD_INSE_IS9_EEEEjNS1_19radix_merge_compareILb0ELb0EjNS0_19identity_decomposerEEEEE10hipError_tT0_T1_T2_jT3_P12ihipStream_tbPNSt15iterator_traitsISN_E10value_typeEPNST_ISO_E10value_typeEPSP_NS1_7vsmem_tEENKUlT_SN_SO_SP_E_clIPjSG_PS9_SI_EESM_S12_SN_SO_SP_EUlS12_E0_NS1_11comp_targetILNS1_3genE9ELNS1_11target_archE1100ELNS1_3gpuE3ELNS1_3repE0EEENS1_38merge_mergepath_config_static_selectorELNS0_4arch9wavefront6targetE0EEEvSO_.kd
    .uniform_work_group_size: 1
    .uses_dynamic_stack: false
    .vgpr_count:     0
    .vgpr_spill_count: 0
    .wavefront_size: 32
  - .args:
      - .offset:         0
        .size:           64
        .value_kind:     by_value
    .group_segment_fixed_size: 0
    .kernarg_segment_align: 8
    .kernarg_segment_size: 64
    .language:       OpenCL C
    .language_version:
      - 2
      - 0
    .max_flat_workgroup_size: 1024
    .name:           _ZN7rocprim17ROCPRIM_400000_NS6detail17trampoline_kernelINS0_14default_configENS1_38merge_sort_block_merge_config_selectorIjN6thrust23THRUST_200600_302600_NS5tupleIffNS6_9null_typeES8_S8_S8_S8_S8_S8_S8_EEEEZZNS1_27merge_sort_block_merge_implIS3_NS6_6detail15normal_iteratorINS6_10device_ptrIjEEEENSD_INSE_IS9_EEEEjNS1_19radix_merge_compareILb0ELb0EjNS0_19identity_decomposerEEEEE10hipError_tT0_T1_T2_jT3_P12ihipStream_tbPNSt15iterator_traitsISN_E10value_typeEPNST_ISO_E10value_typeEPSP_NS1_7vsmem_tEENKUlT_SN_SO_SP_E_clIPjSG_PS9_SI_EESM_S12_SN_SO_SP_EUlS12_E0_NS1_11comp_targetILNS1_3genE8ELNS1_11target_archE1030ELNS1_3gpuE2ELNS1_3repE0EEENS1_38merge_mergepath_config_static_selectorELNS0_4arch9wavefront6targetE0EEEvSO_
    .private_segment_fixed_size: 0
    .sgpr_count:     0
    .sgpr_spill_count: 0
    .symbol:         _ZN7rocprim17ROCPRIM_400000_NS6detail17trampoline_kernelINS0_14default_configENS1_38merge_sort_block_merge_config_selectorIjN6thrust23THRUST_200600_302600_NS5tupleIffNS6_9null_typeES8_S8_S8_S8_S8_S8_S8_EEEEZZNS1_27merge_sort_block_merge_implIS3_NS6_6detail15normal_iteratorINS6_10device_ptrIjEEEENSD_INSE_IS9_EEEEjNS1_19radix_merge_compareILb0ELb0EjNS0_19identity_decomposerEEEEE10hipError_tT0_T1_T2_jT3_P12ihipStream_tbPNSt15iterator_traitsISN_E10value_typeEPNST_ISO_E10value_typeEPSP_NS1_7vsmem_tEENKUlT_SN_SO_SP_E_clIPjSG_PS9_SI_EESM_S12_SN_SO_SP_EUlS12_E0_NS1_11comp_targetILNS1_3genE8ELNS1_11target_archE1030ELNS1_3gpuE2ELNS1_3repE0EEENS1_38merge_mergepath_config_static_selectorELNS0_4arch9wavefront6targetE0EEEvSO_.kd
    .uniform_work_group_size: 1
    .uses_dynamic_stack: false
    .vgpr_count:     0
    .vgpr_spill_count: 0
    .wavefront_size: 32
  - .args:
      - .offset:         0
        .size:           48
        .value_kind:     by_value
    .group_segment_fixed_size: 0
    .kernarg_segment_align: 8
    .kernarg_segment_size: 48
    .language:       OpenCL C
    .language_version:
      - 2
      - 0
    .max_flat_workgroup_size: 256
    .name:           _ZN7rocprim17ROCPRIM_400000_NS6detail17trampoline_kernelINS0_14default_configENS1_38merge_sort_block_merge_config_selectorIjN6thrust23THRUST_200600_302600_NS5tupleIffNS6_9null_typeES8_S8_S8_S8_S8_S8_S8_EEEEZZNS1_27merge_sort_block_merge_implIS3_NS6_6detail15normal_iteratorINS6_10device_ptrIjEEEENSD_INSE_IS9_EEEEjNS1_19radix_merge_compareILb0ELb0EjNS0_19identity_decomposerEEEEE10hipError_tT0_T1_T2_jT3_P12ihipStream_tbPNSt15iterator_traitsISN_E10value_typeEPNST_ISO_E10value_typeEPSP_NS1_7vsmem_tEENKUlT_SN_SO_SP_E_clIPjSG_PS9_SI_EESM_S12_SN_SO_SP_EUlS12_E1_NS1_11comp_targetILNS1_3genE0ELNS1_11target_archE4294967295ELNS1_3gpuE0ELNS1_3repE0EEENS1_36merge_oddeven_config_static_selectorELNS0_4arch9wavefront6targetE0EEEvSO_
    .private_segment_fixed_size: 0
    .sgpr_count:     22
    .sgpr_spill_count: 0
    .symbol:         _ZN7rocprim17ROCPRIM_400000_NS6detail17trampoline_kernelINS0_14default_configENS1_38merge_sort_block_merge_config_selectorIjN6thrust23THRUST_200600_302600_NS5tupleIffNS6_9null_typeES8_S8_S8_S8_S8_S8_S8_EEEEZZNS1_27merge_sort_block_merge_implIS3_NS6_6detail15normal_iteratorINS6_10device_ptrIjEEEENSD_INSE_IS9_EEEEjNS1_19radix_merge_compareILb0ELb0EjNS0_19identity_decomposerEEEEE10hipError_tT0_T1_T2_jT3_P12ihipStream_tbPNSt15iterator_traitsISN_E10value_typeEPNST_ISO_E10value_typeEPSP_NS1_7vsmem_tEENKUlT_SN_SO_SP_E_clIPjSG_PS9_SI_EESM_S12_SN_SO_SP_EUlS12_E1_NS1_11comp_targetILNS1_3genE0ELNS1_11target_archE4294967295ELNS1_3gpuE0ELNS1_3repE0EEENS1_36merge_oddeven_config_static_selectorELNS0_4arch9wavefront6targetE0EEEvSO_.kd
    .uniform_work_group_size: 1
    .uses_dynamic_stack: false
    .vgpr_count:     9
    .vgpr_spill_count: 0
    .wavefront_size: 32
  - .args:
      - .offset:         0
        .size:           48
        .value_kind:     by_value
    .group_segment_fixed_size: 0
    .kernarg_segment_align: 8
    .kernarg_segment_size: 48
    .language:       OpenCL C
    .language_version:
      - 2
      - 0
    .max_flat_workgroup_size: 256
    .name:           _ZN7rocprim17ROCPRIM_400000_NS6detail17trampoline_kernelINS0_14default_configENS1_38merge_sort_block_merge_config_selectorIjN6thrust23THRUST_200600_302600_NS5tupleIffNS6_9null_typeES8_S8_S8_S8_S8_S8_S8_EEEEZZNS1_27merge_sort_block_merge_implIS3_NS6_6detail15normal_iteratorINS6_10device_ptrIjEEEENSD_INSE_IS9_EEEEjNS1_19radix_merge_compareILb0ELb0EjNS0_19identity_decomposerEEEEE10hipError_tT0_T1_T2_jT3_P12ihipStream_tbPNSt15iterator_traitsISN_E10value_typeEPNST_ISO_E10value_typeEPSP_NS1_7vsmem_tEENKUlT_SN_SO_SP_E_clIPjSG_PS9_SI_EESM_S12_SN_SO_SP_EUlS12_E1_NS1_11comp_targetILNS1_3genE10ELNS1_11target_archE1201ELNS1_3gpuE5ELNS1_3repE0EEENS1_36merge_oddeven_config_static_selectorELNS0_4arch9wavefront6targetE0EEEvSO_
    .private_segment_fixed_size: 0
    .sgpr_count:     0
    .sgpr_spill_count: 0
    .symbol:         _ZN7rocprim17ROCPRIM_400000_NS6detail17trampoline_kernelINS0_14default_configENS1_38merge_sort_block_merge_config_selectorIjN6thrust23THRUST_200600_302600_NS5tupleIffNS6_9null_typeES8_S8_S8_S8_S8_S8_S8_EEEEZZNS1_27merge_sort_block_merge_implIS3_NS6_6detail15normal_iteratorINS6_10device_ptrIjEEEENSD_INSE_IS9_EEEEjNS1_19radix_merge_compareILb0ELb0EjNS0_19identity_decomposerEEEEE10hipError_tT0_T1_T2_jT3_P12ihipStream_tbPNSt15iterator_traitsISN_E10value_typeEPNST_ISO_E10value_typeEPSP_NS1_7vsmem_tEENKUlT_SN_SO_SP_E_clIPjSG_PS9_SI_EESM_S12_SN_SO_SP_EUlS12_E1_NS1_11comp_targetILNS1_3genE10ELNS1_11target_archE1201ELNS1_3gpuE5ELNS1_3repE0EEENS1_36merge_oddeven_config_static_selectorELNS0_4arch9wavefront6targetE0EEEvSO_.kd
    .uniform_work_group_size: 1
    .uses_dynamic_stack: false
    .vgpr_count:     0
    .vgpr_spill_count: 0
    .wavefront_size: 32
  - .args:
      - .offset:         0
        .size:           48
        .value_kind:     by_value
    .group_segment_fixed_size: 0
    .kernarg_segment_align: 8
    .kernarg_segment_size: 48
    .language:       OpenCL C
    .language_version:
      - 2
      - 0
    .max_flat_workgroup_size: 256
    .name:           _ZN7rocprim17ROCPRIM_400000_NS6detail17trampoline_kernelINS0_14default_configENS1_38merge_sort_block_merge_config_selectorIjN6thrust23THRUST_200600_302600_NS5tupleIffNS6_9null_typeES8_S8_S8_S8_S8_S8_S8_EEEEZZNS1_27merge_sort_block_merge_implIS3_NS6_6detail15normal_iteratorINS6_10device_ptrIjEEEENSD_INSE_IS9_EEEEjNS1_19radix_merge_compareILb0ELb0EjNS0_19identity_decomposerEEEEE10hipError_tT0_T1_T2_jT3_P12ihipStream_tbPNSt15iterator_traitsISN_E10value_typeEPNST_ISO_E10value_typeEPSP_NS1_7vsmem_tEENKUlT_SN_SO_SP_E_clIPjSG_PS9_SI_EESM_S12_SN_SO_SP_EUlS12_E1_NS1_11comp_targetILNS1_3genE5ELNS1_11target_archE942ELNS1_3gpuE9ELNS1_3repE0EEENS1_36merge_oddeven_config_static_selectorELNS0_4arch9wavefront6targetE0EEEvSO_
    .private_segment_fixed_size: 0
    .sgpr_count:     0
    .sgpr_spill_count: 0
    .symbol:         _ZN7rocprim17ROCPRIM_400000_NS6detail17trampoline_kernelINS0_14default_configENS1_38merge_sort_block_merge_config_selectorIjN6thrust23THRUST_200600_302600_NS5tupleIffNS6_9null_typeES8_S8_S8_S8_S8_S8_S8_EEEEZZNS1_27merge_sort_block_merge_implIS3_NS6_6detail15normal_iteratorINS6_10device_ptrIjEEEENSD_INSE_IS9_EEEEjNS1_19radix_merge_compareILb0ELb0EjNS0_19identity_decomposerEEEEE10hipError_tT0_T1_T2_jT3_P12ihipStream_tbPNSt15iterator_traitsISN_E10value_typeEPNST_ISO_E10value_typeEPSP_NS1_7vsmem_tEENKUlT_SN_SO_SP_E_clIPjSG_PS9_SI_EESM_S12_SN_SO_SP_EUlS12_E1_NS1_11comp_targetILNS1_3genE5ELNS1_11target_archE942ELNS1_3gpuE9ELNS1_3repE0EEENS1_36merge_oddeven_config_static_selectorELNS0_4arch9wavefront6targetE0EEEvSO_.kd
    .uniform_work_group_size: 1
    .uses_dynamic_stack: false
    .vgpr_count:     0
    .vgpr_spill_count: 0
    .wavefront_size: 32
  - .args:
      - .offset:         0
        .size:           48
        .value_kind:     by_value
    .group_segment_fixed_size: 0
    .kernarg_segment_align: 8
    .kernarg_segment_size: 48
    .language:       OpenCL C
    .language_version:
      - 2
      - 0
    .max_flat_workgroup_size: 256
    .name:           _ZN7rocprim17ROCPRIM_400000_NS6detail17trampoline_kernelINS0_14default_configENS1_38merge_sort_block_merge_config_selectorIjN6thrust23THRUST_200600_302600_NS5tupleIffNS6_9null_typeES8_S8_S8_S8_S8_S8_S8_EEEEZZNS1_27merge_sort_block_merge_implIS3_NS6_6detail15normal_iteratorINS6_10device_ptrIjEEEENSD_INSE_IS9_EEEEjNS1_19radix_merge_compareILb0ELb0EjNS0_19identity_decomposerEEEEE10hipError_tT0_T1_T2_jT3_P12ihipStream_tbPNSt15iterator_traitsISN_E10value_typeEPNST_ISO_E10value_typeEPSP_NS1_7vsmem_tEENKUlT_SN_SO_SP_E_clIPjSG_PS9_SI_EESM_S12_SN_SO_SP_EUlS12_E1_NS1_11comp_targetILNS1_3genE4ELNS1_11target_archE910ELNS1_3gpuE8ELNS1_3repE0EEENS1_36merge_oddeven_config_static_selectorELNS0_4arch9wavefront6targetE0EEEvSO_
    .private_segment_fixed_size: 0
    .sgpr_count:     0
    .sgpr_spill_count: 0
    .symbol:         _ZN7rocprim17ROCPRIM_400000_NS6detail17trampoline_kernelINS0_14default_configENS1_38merge_sort_block_merge_config_selectorIjN6thrust23THRUST_200600_302600_NS5tupleIffNS6_9null_typeES8_S8_S8_S8_S8_S8_S8_EEEEZZNS1_27merge_sort_block_merge_implIS3_NS6_6detail15normal_iteratorINS6_10device_ptrIjEEEENSD_INSE_IS9_EEEEjNS1_19radix_merge_compareILb0ELb0EjNS0_19identity_decomposerEEEEE10hipError_tT0_T1_T2_jT3_P12ihipStream_tbPNSt15iterator_traitsISN_E10value_typeEPNST_ISO_E10value_typeEPSP_NS1_7vsmem_tEENKUlT_SN_SO_SP_E_clIPjSG_PS9_SI_EESM_S12_SN_SO_SP_EUlS12_E1_NS1_11comp_targetILNS1_3genE4ELNS1_11target_archE910ELNS1_3gpuE8ELNS1_3repE0EEENS1_36merge_oddeven_config_static_selectorELNS0_4arch9wavefront6targetE0EEEvSO_.kd
    .uniform_work_group_size: 1
    .uses_dynamic_stack: false
    .vgpr_count:     0
    .vgpr_spill_count: 0
    .wavefront_size: 32
  - .args:
      - .offset:         0
        .size:           48
        .value_kind:     by_value
    .group_segment_fixed_size: 0
    .kernarg_segment_align: 8
    .kernarg_segment_size: 48
    .language:       OpenCL C
    .language_version:
      - 2
      - 0
    .max_flat_workgroup_size: 256
    .name:           _ZN7rocprim17ROCPRIM_400000_NS6detail17trampoline_kernelINS0_14default_configENS1_38merge_sort_block_merge_config_selectorIjN6thrust23THRUST_200600_302600_NS5tupleIffNS6_9null_typeES8_S8_S8_S8_S8_S8_S8_EEEEZZNS1_27merge_sort_block_merge_implIS3_NS6_6detail15normal_iteratorINS6_10device_ptrIjEEEENSD_INSE_IS9_EEEEjNS1_19radix_merge_compareILb0ELb0EjNS0_19identity_decomposerEEEEE10hipError_tT0_T1_T2_jT3_P12ihipStream_tbPNSt15iterator_traitsISN_E10value_typeEPNST_ISO_E10value_typeEPSP_NS1_7vsmem_tEENKUlT_SN_SO_SP_E_clIPjSG_PS9_SI_EESM_S12_SN_SO_SP_EUlS12_E1_NS1_11comp_targetILNS1_3genE3ELNS1_11target_archE908ELNS1_3gpuE7ELNS1_3repE0EEENS1_36merge_oddeven_config_static_selectorELNS0_4arch9wavefront6targetE0EEEvSO_
    .private_segment_fixed_size: 0
    .sgpr_count:     0
    .sgpr_spill_count: 0
    .symbol:         _ZN7rocprim17ROCPRIM_400000_NS6detail17trampoline_kernelINS0_14default_configENS1_38merge_sort_block_merge_config_selectorIjN6thrust23THRUST_200600_302600_NS5tupleIffNS6_9null_typeES8_S8_S8_S8_S8_S8_S8_EEEEZZNS1_27merge_sort_block_merge_implIS3_NS6_6detail15normal_iteratorINS6_10device_ptrIjEEEENSD_INSE_IS9_EEEEjNS1_19radix_merge_compareILb0ELb0EjNS0_19identity_decomposerEEEEE10hipError_tT0_T1_T2_jT3_P12ihipStream_tbPNSt15iterator_traitsISN_E10value_typeEPNST_ISO_E10value_typeEPSP_NS1_7vsmem_tEENKUlT_SN_SO_SP_E_clIPjSG_PS9_SI_EESM_S12_SN_SO_SP_EUlS12_E1_NS1_11comp_targetILNS1_3genE3ELNS1_11target_archE908ELNS1_3gpuE7ELNS1_3repE0EEENS1_36merge_oddeven_config_static_selectorELNS0_4arch9wavefront6targetE0EEEvSO_.kd
    .uniform_work_group_size: 1
    .uses_dynamic_stack: false
    .vgpr_count:     0
    .vgpr_spill_count: 0
    .wavefront_size: 32
  - .args:
      - .offset:         0
        .size:           48
        .value_kind:     by_value
    .group_segment_fixed_size: 0
    .kernarg_segment_align: 8
    .kernarg_segment_size: 48
    .language:       OpenCL C
    .language_version:
      - 2
      - 0
    .max_flat_workgroup_size: 256
    .name:           _ZN7rocprim17ROCPRIM_400000_NS6detail17trampoline_kernelINS0_14default_configENS1_38merge_sort_block_merge_config_selectorIjN6thrust23THRUST_200600_302600_NS5tupleIffNS6_9null_typeES8_S8_S8_S8_S8_S8_S8_EEEEZZNS1_27merge_sort_block_merge_implIS3_NS6_6detail15normal_iteratorINS6_10device_ptrIjEEEENSD_INSE_IS9_EEEEjNS1_19radix_merge_compareILb0ELb0EjNS0_19identity_decomposerEEEEE10hipError_tT0_T1_T2_jT3_P12ihipStream_tbPNSt15iterator_traitsISN_E10value_typeEPNST_ISO_E10value_typeEPSP_NS1_7vsmem_tEENKUlT_SN_SO_SP_E_clIPjSG_PS9_SI_EESM_S12_SN_SO_SP_EUlS12_E1_NS1_11comp_targetILNS1_3genE2ELNS1_11target_archE906ELNS1_3gpuE6ELNS1_3repE0EEENS1_36merge_oddeven_config_static_selectorELNS0_4arch9wavefront6targetE0EEEvSO_
    .private_segment_fixed_size: 0
    .sgpr_count:     0
    .sgpr_spill_count: 0
    .symbol:         _ZN7rocprim17ROCPRIM_400000_NS6detail17trampoline_kernelINS0_14default_configENS1_38merge_sort_block_merge_config_selectorIjN6thrust23THRUST_200600_302600_NS5tupleIffNS6_9null_typeES8_S8_S8_S8_S8_S8_S8_EEEEZZNS1_27merge_sort_block_merge_implIS3_NS6_6detail15normal_iteratorINS6_10device_ptrIjEEEENSD_INSE_IS9_EEEEjNS1_19radix_merge_compareILb0ELb0EjNS0_19identity_decomposerEEEEE10hipError_tT0_T1_T2_jT3_P12ihipStream_tbPNSt15iterator_traitsISN_E10value_typeEPNST_ISO_E10value_typeEPSP_NS1_7vsmem_tEENKUlT_SN_SO_SP_E_clIPjSG_PS9_SI_EESM_S12_SN_SO_SP_EUlS12_E1_NS1_11comp_targetILNS1_3genE2ELNS1_11target_archE906ELNS1_3gpuE6ELNS1_3repE0EEENS1_36merge_oddeven_config_static_selectorELNS0_4arch9wavefront6targetE0EEEvSO_.kd
    .uniform_work_group_size: 1
    .uses_dynamic_stack: false
    .vgpr_count:     0
    .vgpr_spill_count: 0
    .wavefront_size: 32
  - .args:
      - .offset:         0
        .size:           48
        .value_kind:     by_value
    .group_segment_fixed_size: 0
    .kernarg_segment_align: 8
    .kernarg_segment_size: 48
    .language:       OpenCL C
    .language_version:
      - 2
      - 0
    .max_flat_workgroup_size: 256
    .name:           _ZN7rocprim17ROCPRIM_400000_NS6detail17trampoline_kernelINS0_14default_configENS1_38merge_sort_block_merge_config_selectorIjN6thrust23THRUST_200600_302600_NS5tupleIffNS6_9null_typeES8_S8_S8_S8_S8_S8_S8_EEEEZZNS1_27merge_sort_block_merge_implIS3_NS6_6detail15normal_iteratorINS6_10device_ptrIjEEEENSD_INSE_IS9_EEEEjNS1_19radix_merge_compareILb0ELb0EjNS0_19identity_decomposerEEEEE10hipError_tT0_T1_T2_jT3_P12ihipStream_tbPNSt15iterator_traitsISN_E10value_typeEPNST_ISO_E10value_typeEPSP_NS1_7vsmem_tEENKUlT_SN_SO_SP_E_clIPjSG_PS9_SI_EESM_S12_SN_SO_SP_EUlS12_E1_NS1_11comp_targetILNS1_3genE9ELNS1_11target_archE1100ELNS1_3gpuE3ELNS1_3repE0EEENS1_36merge_oddeven_config_static_selectorELNS0_4arch9wavefront6targetE0EEEvSO_
    .private_segment_fixed_size: 0
    .sgpr_count:     0
    .sgpr_spill_count: 0
    .symbol:         _ZN7rocprim17ROCPRIM_400000_NS6detail17trampoline_kernelINS0_14default_configENS1_38merge_sort_block_merge_config_selectorIjN6thrust23THRUST_200600_302600_NS5tupleIffNS6_9null_typeES8_S8_S8_S8_S8_S8_S8_EEEEZZNS1_27merge_sort_block_merge_implIS3_NS6_6detail15normal_iteratorINS6_10device_ptrIjEEEENSD_INSE_IS9_EEEEjNS1_19radix_merge_compareILb0ELb0EjNS0_19identity_decomposerEEEEE10hipError_tT0_T1_T2_jT3_P12ihipStream_tbPNSt15iterator_traitsISN_E10value_typeEPNST_ISO_E10value_typeEPSP_NS1_7vsmem_tEENKUlT_SN_SO_SP_E_clIPjSG_PS9_SI_EESM_S12_SN_SO_SP_EUlS12_E1_NS1_11comp_targetILNS1_3genE9ELNS1_11target_archE1100ELNS1_3gpuE3ELNS1_3repE0EEENS1_36merge_oddeven_config_static_selectorELNS0_4arch9wavefront6targetE0EEEvSO_.kd
    .uniform_work_group_size: 1
    .uses_dynamic_stack: false
    .vgpr_count:     0
    .vgpr_spill_count: 0
    .wavefront_size: 32
  - .args:
      - .offset:         0
        .size:           48
        .value_kind:     by_value
    .group_segment_fixed_size: 0
    .kernarg_segment_align: 8
    .kernarg_segment_size: 48
    .language:       OpenCL C
    .language_version:
      - 2
      - 0
    .max_flat_workgroup_size: 256
    .name:           _ZN7rocprim17ROCPRIM_400000_NS6detail17trampoline_kernelINS0_14default_configENS1_38merge_sort_block_merge_config_selectorIjN6thrust23THRUST_200600_302600_NS5tupleIffNS6_9null_typeES8_S8_S8_S8_S8_S8_S8_EEEEZZNS1_27merge_sort_block_merge_implIS3_NS6_6detail15normal_iteratorINS6_10device_ptrIjEEEENSD_INSE_IS9_EEEEjNS1_19radix_merge_compareILb0ELb0EjNS0_19identity_decomposerEEEEE10hipError_tT0_T1_T2_jT3_P12ihipStream_tbPNSt15iterator_traitsISN_E10value_typeEPNST_ISO_E10value_typeEPSP_NS1_7vsmem_tEENKUlT_SN_SO_SP_E_clIPjSG_PS9_SI_EESM_S12_SN_SO_SP_EUlS12_E1_NS1_11comp_targetILNS1_3genE8ELNS1_11target_archE1030ELNS1_3gpuE2ELNS1_3repE0EEENS1_36merge_oddeven_config_static_selectorELNS0_4arch9wavefront6targetE0EEEvSO_
    .private_segment_fixed_size: 0
    .sgpr_count:     0
    .sgpr_spill_count: 0
    .symbol:         _ZN7rocprim17ROCPRIM_400000_NS6detail17trampoline_kernelINS0_14default_configENS1_38merge_sort_block_merge_config_selectorIjN6thrust23THRUST_200600_302600_NS5tupleIffNS6_9null_typeES8_S8_S8_S8_S8_S8_S8_EEEEZZNS1_27merge_sort_block_merge_implIS3_NS6_6detail15normal_iteratorINS6_10device_ptrIjEEEENSD_INSE_IS9_EEEEjNS1_19radix_merge_compareILb0ELb0EjNS0_19identity_decomposerEEEEE10hipError_tT0_T1_T2_jT3_P12ihipStream_tbPNSt15iterator_traitsISN_E10value_typeEPNST_ISO_E10value_typeEPSP_NS1_7vsmem_tEENKUlT_SN_SO_SP_E_clIPjSG_PS9_SI_EESM_S12_SN_SO_SP_EUlS12_E1_NS1_11comp_targetILNS1_3genE8ELNS1_11target_archE1030ELNS1_3gpuE2ELNS1_3repE0EEENS1_36merge_oddeven_config_static_selectorELNS0_4arch9wavefront6targetE0EEEvSO_.kd
    .uniform_work_group_size: 1
    .uses_dynamic_stack: false
    .vgpr_count:     0
    .vgpr_spill_count: 0
    .wavefront_size: 32
  - .args:
      - .offset:         0
        .size:           40
        .value_kind:     by_value
    .group_segment_fixed_size: 0
    .kernarg_segment_align: 8
    .kernarg_segment_size: 40
    .language:       OpenCL C
    .language_version:
      - 2
      - 0
    .max_flat_workgroup_size: 128
    .name:           _ZN7rocprim17ROCPRIM_400000_NS6detail17trampoline_kernelINS0_14default_configENS1_38merge_sort_block_merge_config_selectorIjN6thrust23THRUST_200600_302600_NS5tupleIffNS6_9null_typeES8_S8_S8_S8_S8_S8_S8_EEEEZZNS1_27merge_sort_block_merge_implIS3_NS6_6detail15normal_iteratorINS6_10device_ptrIjEEEENSD_INSE_IS9_EEEEjNS1_19radix_merge_compareILb0ELb0EjNS0_19identity_decomposerEEEEE10hipError_tT0_T1_T2_jT3_P12ihipStream_tbPNSt15iterator_traitsISN_E10value_typeEPNST_ISO_E10value_typeEPSP_NS1_7vsmem_tEENKUlT_SN_SO_SP_E_clISG_PjSI_PS9_EESM_S12_SN_SO_SP_EUlS12_E_NS1_11comp_targetILNS1_3genE0ELNS1_11target_archE4294967295ELNS1_3gpuE0ELNS1_3repE0EEENS1_48merge_mergepath_partition_config_static_selectorELNS0_4arch9wavefront6targetE0EEEvSO_
    .private_segment_fixed_size: 0
    .sgpr_count:     8
    .sgpr_spill_count: 0
    .symbol:         _ZN7rocprim17ROCPRIM_400000_NS6detail17trampoline_kernelINS0_14default_configENS1_38merge_sort_block_merge_config_selectorIjN6thrust23THRUST_200600_302600_NS5tupleIffNS6_9null_typeES8_S8_S8_S8_S8_S8_S8_EEEEZZNS1_27merge_sort_block_merge_implIS3_NS6_6detail15normal_iteratorINS6_10device_ptrIjEEEENSD_INSE_IS9_EEEEjNS1_19radix_merge_compareILb0ELb0EjNS0_19identity_decomposerEEEEE10hipError_tT0_T1_T2_jT3_P12ihipStream_tbPNSt15iterator_traitsISN_E10value_typeEPNST_ISO_E10value_typeEPSP_NS1_7vsmem_tEENKUlT_SN_SO_SP_E_clISG_PjSI_PS9_EESM_S12_SN_SO_SP_EUlS12_E_NS1_11comp_targetILNS1_3genE0ELNS1_11target_archE4294967295ELNS1_3gpuE0ELNS1_3repE0EEENS1_48merge_mergepath_partition_config_static_selectorELNS0_4arch9wavefront6targetE0EEEvSO_.kd
    .uniform_work_group_size: 1
    .uses_dynamic_stack: false
    .vgpr_count:     17
    .vgpr_spill_count: 0
    .wavefront_size: 32
  - .args:
      - .offset:         0
        .size:           40
        .value_kind:     by_value
    .group_segment_fixed_size: 0
    .kernarg_segment_align: 8
    .kernarg_segment_size: 40
    .language:       OpenCL C
    .language_version:
      - 2
      - 0
    .max_flat_workgroup_size: 128
    .name:           _ZN7rocprim17ROCPRIM_400000_NS6detail17trampoline_kernelINS0_14default_configENS1_38merge_sort_block_merge_config_selectorIjN6thrust23THRUST_200600_302600_NS5tupleIffNS6_9null_typeES8_S8_S8_S8_S8_S8_S8_EEEEZZNS1_27merge_sort_block_merge_implIS3_NS6_6detail15normal_iteratorINS6_10device_ptrIjEEEENSD_INSE_IS9_EEEEjNS1_19radix_merge_compareILb0ELb0EjNS0_19identity_decomposerEEEEE10hipError_tT0_T1_T2_jT3_P12ihipStream_tbPNSt15iterator_traitsISN_E10value_typeEPNST_ISO_E10value_typeEPSP_NS1_7vsmem_tEENKUlT_SN_SO_SP_E_clISG_PjSI_PS9_EESM_S12_SN_SO_SP_EUlS12_E_NS1_11comp_targetILNS1_3genE10ELNS1_11target_archE1201ELNS1_3gpuE5ELNS1_3repE0EEENS1_48merge_mergepath_partition_config_static_selectorELNS0_4arch9wavefront6targetE0EEEvSO_
    .private_segment_fixed_size: 0
    .sgpr_count:     0
    .sgpr_spill_count: 0
    .symbol:         _ZN7rocprim17ROCPRIM_400000_NS6detail17trampoline_kernelINS0_14default_configENS1_38merge_sort_block_merge_config_selectorIjN6thrust23THRUST_200600_302600_NS5tupleIffNS6_9null_typeES8_S8_S8_S8_S8_S8_S8_EEEEZZNS1_27merge_sort_block_merge_implIS3_NS6_6detail15normal_iteratorINS6_10device_ptrIjEEEENSD_INSE_IS9_EEEEjNS1_19radix_merge_compareILb0ELb0EjNS0_19identity_decomposerEEEEE10hipError_tT0_T1_T2_jT3_P12ihipStream_tbPNSt15iterator_traitsISN_E10value_typeEPNST_ISO_E10value_typeEPSP_NS1_7vsmem_tEENKUlT_SN_SO_SP_E_clISG_PjSI_PS9_EESM_S12_SN_SO_SP_EUlS12_E_NS1_11comp_targetILNS1_3genE10ELNS1_11target_archE1201ELNS1_3gpuE5ELNS1_3repE0EEENS1_48merge_mergepath_partition_config_static_selectorELNS0_4arch9wavefront6targetE0EEEvSO_.kd
    .uniform_work_group_size: 1
    .uses_dynamic_stack: false
    .vgpr_count:     0
    .vgpr_spill_count: 0
    .wavefront_size: 32
  - .args:
      - .offset:         0
        .size:           40
        .value_kind:     by_value
    .group_segment_fixed_size: 0
    .kernarg_segment_align: 8
    .kernarg_segment_size: 40
    .language:       OpenCL C
    .language_version:
      - 2
      - 0
    .max_flat_workgroup_size: 128
    .name:           _ZN7rocprim17ROCPRIM_400000_NS6detail17trampoline_kernelINS0_14default_configENS1_38merge_sort_block_merge_config_selectorIjN6thrust23THRUST_200600_302600_NS5tupleIffNS6_9null_typeES8_S8_S8_S8_S8_S8_S8_EEEEZZNS1_27merge_sort_block_merge_implIS3_NS6_6detail15normal_iteratorINS6_10device_ptrIjEEEENSD_INSE_IS9_EEEEjNS1_19radix_merge_compareILb0ELb0EjNS0_19identity_decomposerEEEEE10hipError_tT0_T1_T2_jT3_P12ihipStream_tbPNSt15iterator_traitsISN_E10value_typeEPNST_ISO_E10value_typeEPSP_NS1_7vsmem_tEENKUlT_SN_SO_SP_E_clISG_PjSI_PS9_EESM_S12_SN_SO_SP_EUlS12_E_NS1_11comp_targetILNS1_3genE5ELNS1_11target_archE942ELNS1_3gpuE9ELNS1_3repE0EEENS1_48merge_mergepath_partition_config_static_selectorELNS0_4arch9wavefront6targetE0EEEvSO_
    .private_segment_fixed_size: 0
    .sgpr_count:     0
    .sgpr_spill_count: 0
    .symbol:         _ZN7rocprim17ROCPRIM_400000_NS6detail17trampoline_kernelINS0_14default_configENS1_38merge_sort_block_merge_config_selectorIjN6thrust23THRUST_200600_302600_NS5tupleIffNS6_9null_typeES8_S8_S8_S8_S8_S8_S8_EEEEZZNS1_27merge_sort_block_merge_implIS3_NS6_6detail15normal_iteratorINS6_10device_ptrIjEEEENSD_INSE_IS9_EEEEjNS1_19radix_merge_compareILb0ELb0EjNS0_19identity_decomposerEEEEE10hipError_tT0_T1_T2_jT3_P12ihipStream_tbPNSt15iterator_traitsISN_E10value_typeEPNST_ISO_E10value_typeEPSP_NS1_7vsmem_tEENKUlT_SN_SO_SP_E_clISG_PjSI_PS9_EESM_S12_SN_SO_SP_EUlS12_E_NS1_11comp_targetILNS1_3genE5ELNS1_11target_archE942ELNS1_3gpuE9ELNS1_3repE0EEENS1_48merge_mergepath_partition_config_static_selectorELNS0_4arch9wavefront6targetE0EEEvSO_.kd
    .uniform_work_group_size: 1
    .uses_dynamic_stack: false
    .vgpr_count:     0
    .vgpr_spill_count: 0
    .wavefront_size: 32
  - .args:
      - .offset:         0
        .size:           40
        .value_kind:     by_value
    .group_segment_fixed_size: 0
    .kernarg_segment_align: 8
    .kernarg_segment_size: 40
    .language:       OpenCL C
    .language_version:
      - 2
      - 0
    .max_flat_workgroup_size: 128
    .name:           _ZN7rocprim17ROCPRIM_400000_NS6detail17trampoline_kernelINS0_14default_configENS1_38merge_sort_block_merge_config_selectorIjN6thrust23THRUST_200600_302600_NS5tupleIffNS6_9null_typeES8_S8_S8_S8_S8_S8_S8_EEEEZZNS1_27merge_sort_block_merge_implIS3_NS6_6detail15normal_iteratorINS6_10device_ptrIjEEEENSD_INSE_IS9_EEEEjNS1_19radix_merge_compareILb0ELb0EjNS0_19identity_decomposerEEEEE10hipError_tT0_T1_T2_jT3_P12ihipStream_tbPNSt15iterator_traitsISN_E10value_typeEPNST_ISO_E10value_typeEPSP_NS1_7vsmem_tEENKUlT_SN_SO_SP_E_clISG_PjSI_PS9_EESM_S12_SN_SO_SP_EUlS12_E_NS1_11comp_targetILNS1_3genE4ELNS1_11target_archE910ELNS1_3gpuE8ELNS1_3repE0EEENS1_48merge_mergepath_partition_config_static_selectorELNS0_4arch9wavefront6targetE0EEEvSO_
    .private_segment_fixed_size: 0
    .sgpr_count:     0
    .sgpr_spill_count: 0
    .symbol:         _ZN7rocprim17ROCPRIM_400000_NS6detail17trampoline_kernelINS0_14default_configENS1_38merge_sort_block_merge_config_selectorIjN6thrust23THRUST_200600_302600_NS5tupleIffNS6_9null_typeES8_S8_S8_S8_S8_S8_S8_EEEEZZNS1_27merge_sort_block_merge_implIS3_NS6_6detail15normal_iteratorINS6_10device_ptrIjEEEENSD_INSE_IS9_EEEEjNS1_19radix_merge_compareILb0ELb0EjNS0_19identity_decomposerEEEEE10hipError_tT0_T1_T2_jT3_P12ihipStream_tbPNSt15iterator_traitsISN_E10value_typeEPNST_ISO_E10value_typeEPSP_NS1_7vsmem_tEENKUlT_SN_SO_SP_E_clISG_PjSI_PS9_EESM_S12_SN_SO_SP_EUlS12_E_NS1_11comp_targetILNS1_3genE4ELNS1_11target_archE910ELNS1_3gpuE8ELNS1_3repE0EEENS1_48merge_mergepath_partition_config_static_selectorELNS0_4arch9wavefront6targetE0EEEvSO_.kd
    .uniform_work_group_size: 1
    .uses_dynamic_stack: false
    .vgpr_count:     0
    .vgpr_spill_count: 0
    .wavefront_size: 32
  - .args:
      - .offset:         0
        .size:           40
        .value_kind:     by_value
    .group_segment_fixed_size: 0
    .kernarg_segment_align: 8
    .kernarg_segment_size: 40
    .language:       OpenCL C
    .language_version:
      - 2
      - 0
    .max_flat_workgroup_size: 128
    .name:           _ZN7rocprim17ROCPRIM_400000_NS6detail17trampoline_kernelINS0_14default_configENS1_38merge_sort_block_merge_config_selectorIjN6thrust23THRUST_200600_302600_NS5tupleIffNS6_9null_typeES8_S8_S8_S8_S8_S8_S8_EEEEZZNS1_27merge_sort_block_merge_implIS3_NS6_6detail15normal_iteratorINS6_10device_ptrIjEEEENSD_INSE_IS9_EEEEjNS1_19radix_merge_compareILb0ELb0EjNS0_19identity_decomposerEEEEE10hipError_tT0_T1_T2_jT3_P12ihipStream_tbPNSt15iterator_traitsISN_E10value_typeEPNST_ISO_E10value_typeEPSP_NS1_7vsmem_tEENKUlT_SN_SO_SP_E_clISG_PjSI_PS9_EESM_S12_SN_SO_SP_EUlS12_E_NS1_11comp_targetILNS1_3genE3ELNS1_11target_archE908ELNS1_3gpuE7ELNS1_3repE0EEENS1_48merge_mergepath_partition_config_static_selectorELNS0_4arch9wavefront6targetE0EEEvSO_
    .private_segment_fixed_size: 0
    .sgpr_count:     0
    .sgpr_spill_count: 0
    .symbol:         _ZN7rocprim17ROCPRIM_400000_NS6detail17trampoline_kernelINS0_14default_configENS1_38merge_sort_block_merge_config_selectorIjN6thrust23THRUST_200600_302600_NS5tupleIffNS6_9null_typeES8_S8_S8_S8_S8_S8_S8_EEEEZZNS1_27merge_sort_block_merge_implIS3_NS6_6detail15normal_iteratorINS6_10device_ptrIjEEEENSD_INSE_IS9_EEEEjNS1_19radix_merge_compareILb0ELb0EjNS0_19identity_decomposerEEEEE10hipError_tT0_T1_T2_jT3_P12ihipStream_tbPNSt15iterator_traitsISN_E10value_typeEPNST_ISO_E10value_typeEPSP_NS1_7vsmem_tEENKUlT_SN_SO_SP_E_clISG_PjSI_PS9_EESM_S12_SN_SO_SP_EUlS12_E_NS1_11comp_targetILNS1_3genE3ELNS1_11target_archE908ELNS1_3gpuE7ELNS1_3repE0EEENS1_48merge_mergepath_partition_config_static_selectorELNS0_4arch9wavefront6targetE0EEEvSO_.kd
    .uniform_work_group_size: 1
    .uses_dynamic_stack: false
    .vgpr_count:     0
    .vgpr_spill_count: 0
    .wavefront_size: 32
  - .args:
      - .offset:         0
        .size:           40
        .value_kind:     by_value
    .group_segment_fixed_size: 0
    .kernarg_segment_align: 8
    .kernarg_segment_size: 40
    .language:       OpenCL C
    .language_version:
      - 2
      - 0
    .max_flat_workgroup_size: 128
    .name:           _ZN7rocprim17ROCPRIM_400000_NS6detail17trampoline_kernelINS0_14default_configENS1_38merge_sort_block_merge_config_selectorIjN6thrust23THRUST_200600_302600_NS5tupleIffNS6_9null_typeES8_S8_S8_S8_S8_S8_S8_EEEEZZNS1_27merge_sort_block_merge_implIS3_NS6_6detail15normal_iteratorINS6_10device_ptrIjEEEENSD_INSE_IS9_EEEEjNS1_19radix_merge_compareILb0ELb0EjNS0_19identity_decomposerEEEEE10hipError_tT0_T1_T2_jT3_P12ihipStream_tbPNSt15iterator_traitsISN_E10value_typeEPNST_ISO_E10value_typeEPSP_NS1_7vsmem_tEENKUlT_SN_SO_SP_E_clISG_PjSI_PS9_EESM_S12_SN_SO_SP_EUlS12_E_NS1_11comp_targetILNS1_3genE2ELNS1_11target_archE906ELNS1_3gpuE6ELNS1_3repE0EEENS1_48merge_mergepath_partition_config_static_selectorELNS0_4arch9wavefront6targetE0EEEvSO_
    .private_segment_fixed_size: 0
    .sgpr_count:     0
    .sgpr_spill_count: 0
    .symbol:         _ZN7rocprim17ROCPRIM_400000_NS6detail17trampoline_kernelINS0_14default_configENS1_38merge_sort_block_merge_config_selectorIjN6thrust23THRUST_200600_302600_NS5tupleIffNS6_9null_typeES8_S8_S8_S8_S8_S8_S8_EEEEZZNS1_27merge_sort_block_merge_implIS3_NS6_6detail15normal_iteratorINS6_10device_ptrIjEEEENSD_INSE_IS9_EEEEjNS1_19radix_merge_compareILb0ELb0EjNS0_19identity_decomposerEEEEE10hipError_tT0_T1_T2_jT3_P12ihipStream_tbPNSt15iterator_traitsISN_E10value_typeEPNST_ISO_E10value_typeEPSP_NS1_7vsmem_tEENKUlT_SN_SO_SP_E_clISG_PjSI_PS9_EESM_S12_SN_SO_SP_EUlS12_E_NS1_11comp_targetILNS1_3genE2ELNS1_11target_archE906ELNS1_3gpuE6ELNS1_3repE0EEENS1_48merge_mergepath_partition_config_static_selectorELNS0_4arch9wavefront6targetE0EEEvSO_.kd
    .uniform_work_group_size: 1
    .uses_dynamic_stack: false
    .vgpr_count:     0
    .vgpr_spill_count: 0
    .wavefront_size: 32
  - .args:
      - .offset:         0
        .size:           40
        .value_kind:     by_value
    .group_segment_fixed_size: 0
    .kernarg_segment_align: 8
    .kernarg_segment_size: 40
    .language:       OpenCL C
    .language_version:
      - 2
      - 0
    .max_flat_workgroup_size: 128
    .name:           _ZN7rocprim17ROCPRIM_400000_NS6detail17trampoline_kernelINS0_14default_configENS1_38merge_sort_block_merge_config_selectorIjN6thrust23THRUST_200600_302600_NS5tupleIffNS6_9null_typeES8_S8_S8_S8_S8_S8_S8_EEEEZZNS1_27merge_sort_block_merge_implIS3_NS6_6detail15normal_iteratorINS6_10device_ptrIjEEEENSD_INSE_IS9_EEEEjNS1_19radix_merge_compareILb0ELb0EjNS0_19identity_decomposerEEEEE10hipError_tT0_T1_T2_jT3_P12ihipStream_tbPNSt15iterator_traitsISN_E10value_typeEPNST_ISO_E10value_typeEPSP_NS1_7vsmem_tEENKUlT_SN_SO_SP_E_clISG_PjSI_PS9_EESM_S12_SN_SO_SP_EUlS12_E_NS1_11comp_targetILNS1_3genE9ELNS1_11target_archE1100ELNS1_3gpuE3ELNS1_3repE0EEENS1_48merge_mergepath_partition_config_static_selectorELNS0_4arch9wavefront6targetE0EEEvSO_
    .private_segment_fixed_size: 0
    .sgpr_count:     0
    .sgpr_spill_count: 0
    .symbol:         _ZN7rocprim17ROCPRIM_400000_NS6detail17trampoline_kernelINS0_14default_configENS1_38merge_sort_block_merge_config_selectorIjN6thrust23THRUST_200600_302600_NS5tupleIffNS6_9null_typeES8_S8_S8_S8_S8_S8_S8_EEEEZZNS1_27merge_sort_block_merge_implIS3_NS6_6detail15normal_iteratorINS6_10device_ptrIjEEEENSD_INSE_IS9_EEEEjNS1_19radix_merge_compareILb0ELb0EjNS0_19identity_decomposerEEEEE10hipError_tT0_T1_T2_jT3_P12ihipStream_tbPNSt15iterator_traitsISN_E10value_typeEPNST_ISO_E10value_typeEPSP_NS1_7vsmem_tEENKUlT_SN_SO_SP_E_clISG_PjSI_PS9_EESM_S12_SN_SO_SP_EUlS12_E_NS1_11comp_targetILNS1_3genE9ELNS1_11target_archE1100ELNS1_3gpuE3ELNS1_3repE0EEENS1_48merge_mergepath_partition_config_static_selectorELNS0_4arch9wavefront6targetE0EEEvSO_.kd
    .uniform_work_group_size: 1
    .uses_dynamic_stack: false
    .vgpr_count:     0
    .vgpr_spill_count: 0
    .wavefront_size: 32
  - .args:
      - .offset:         0
        .size:           40
        .value_kind:     by_value
    .group_segment_fixed_size: 0
    .kernarg_segment_align: 8
    .kernarg_segment_size: 40
    .language:       OpenCL C
    .language_version:
      - 2
      - 0
    .max_flat_workgroup_size: 128
    .name:           _ZN7rocprim17ROCPRIM_400000_NS6detail17trampoline_kernelINS0_14default_configENS1_38merge_sort_block_merge_config_selectorIjN6thrust23THRUST_200600_302600_NS5tupleIffNS6_9null_typeES8_S8_S8_S8_S8_S8_S8_EEEEZZNS1_27merge_sort_block_merge_implIS3_NS6_6detail15normal_iteratorINS6_10device_ptrIjEEEENSD_INSE_IS9_EEEEjNS1_19radix_merge_compareILb0ELb0EjNS0_19identity_decomposerEEEEE10hipError_tT0_T1_T2_jT3_P12ihipStream_tbPNSt15iterator_traitsISN_E10value_typeEPNST_ISO_E10value_typeEPSP_NS1_7vsmem_tEENKUlT_SN_SO_SP_E_clISG_PjSI_PS9_EESM_S12_SN_SO_SP_EUlS12_E_NS1_11comp_targetILNS1_3genE8ELNS1_11target_archE1030ELNS1_3gpuE2ELNS1_3repE0EEENS1_48merge_mergepath_partition_config_static_selectorELNS0_4arch9wavefront6targetE0EEEvSO_
    .private_segment_fixed_size: 0
    .sgpr_count:     0
    .sgpr_spill_count: 0
    .symbol:         _ZN7rocprim17ROCPRIM_400000_NS6detail17trampoline_kernelINS0_14default_configENS1_38merge_sort_block_merge_config_selectorIjN6thrust23THRUST_200600_302600_NS5tupleIffNS6_9null_typeES8_S8_S8_S8_S8_S8_S8_EEEEZZNS1_27merge_sort_block_merge_implIS3_NS6_6detail15normal_iteratorINS6_10device_ptrIjEEEENSD_INSE_IS9_EEEEjNS1_19radix_merge_compareILb0ELb0EjNS0_19identity_decomposerEEEEE10hipError_tT0_T1_T2_jT3_P12ihipStream_tbPNSt15iterator_traitsISN_E10value_typeEPNST_ISO_E10value_typeEPSP_NS1_7vsmem_tEENKUlT_SN_SO_SP_E_clISG_PjSI_PS9_EESM_S12_SN_SO_SP_EUlS12_E_NS1_11comp_targetILNS1_3genE8ELNS1_11target_archE1030ELNS1_3gpuE2ELNS1_3repE0EEENS1_48merge_mergepath_partition_config_static_selectorELNS0_4arch9wavefront6targetE0EEEvSO_.kd
    .uniform_work_group_size: 1
    .uses_dynamic_stack: false
    .vgpr_count:     0
    .vgpr_spill_count: 0
    .wavefront_size: 32
  - .args:
      - .offset:         0
        .size:           64
        .value_kind:     by_value
      - .offset:         64
        .size:           4
        .value_kind:     hidden_block_count_x
      - .offset:         68
        .size:           4
        .value_kind:     hidden_block_count_y
      - .offset:         72
        .size:           4
        .value_kind:     hidden_block_count_z
      - .offset:         76
        .size:           2
        .value_kind:     hidden_group_size_x
      - .offset:         78
        .size:           2
        .value_kind:     hidden_group_size_y
      - .offset:         80
        .size:           2
        .value_kind:     hidden_group_size_z
      - .offset:         82
        .size:           2
        .value_kind:     hidden_remainder_x
      - .offset:         84
        .size:           2
        .value_kind:     hidden_remainder_y
      - .offset:         86
        .size:           2
        .value_kind:     hidden_remainder_z
      - .offset:         104
        .size:           8
        .value_kind:     hidden_global_offset_x
      - .offset:         112
        .size:           8
        .value_kind:     hidden_global_offset_y
      - .offset:         120
        .size:           8
        .value_kind:     hidden_global_offset_z
      - .offset:         128
        .size:           2
        .value_kind:     hidden_grid_dims
    .group_segment_fixed_size: 8448
    .kernarg_segment_align: 8
    .kernarg_segment_size: 320
    .language:       OpenCL C
    .language_version:
      - 2
      - 0
    .max_flat_workgroup_size: 512
    .name:           _ZN7rocprim17ROCPRIM_400000_NS6detail17trampoline_kernelINS0_14default_configENS1_38merge_sort_block_merge_config_selectorIjN6thrust23THRUST_200600_302600_NS5tupleIffNS6_9null_typeES8_S8_S8_S8_S8_S8_S8_EEEEZZNS1_27merge_sort_block_merge_implIS3_NS6_6detail15normal_iteratorINS6_10device_ptrIjEEEENSD_INSE_IS9_EEEEjNS1_19radix_merge_compareILb0ELb0EjNS0_19identity_decomposerEEEEE10hipError_tT0_T1_T2_jT3_P12ihipStream_tbPNSt15iterator_traitsISN_E10value_typeEPNST_ISO_E10value_typeEPSP_NS1_7vsmem_tEENKUlT_SN_SO_SP_E_clISG_PjSI_PS9_EESM_S12_SN_SO_SP_EUlS12_E0_NS1_11comp_targetILNS1_3genE0ELNS1_11target_archE4294967295ELNS1_3gpuE0ELNS1_3repE0EEENS1_38merge_mergepath_config_static_selectorELNS0_4arch9wavefront6targetE0EEEvSO_
    .private_segment_fixed_size: 0
    .sgpr_count:     32
    .sgpr_spill_count: 0
    .symbol:         _ZN7rocprim17ROCPRIM_400000_NS6detail17trampoline_kernelINS0_14default_configENS1_38merge_sort_block_merge_config_selectorIjN6thrust23THRUST_200600_302600_NS5tupleIffNS6_9null_typeES8_S8_S8_S8_S8_S8_S8_EEEEZZNS1_27merge_sort_block_merge_implIS3_NS6_6detail15normal_iteratorINS6_10device_ptrIjEEEENSD_INSE_IS9_EEEEjNS1_19radix_merge_compareILb0ELb0EjNS0_19identity_decomposerEEEEE10hipError_tT0_T1_T2_jT3_P12ihipStream_tbPNSt15iterator_traitsISN_E10value_typeEPNST_ISO_E10value_typeEPSP_NS1_7vsmem_tEENKUlT_SN_SO_SP_E_clISG_PjSI_PS9_EESM_S12_SN_SO_SP_EUlS12_E0_NS1_11comp_targetILNS1_3genE0ELNS1_11target_archE4294967295ELNS1_3gpuE0ELNS1_3repE0EEENS1_38merge_mergepath_config_static_selectorELNS0_4arch9wavefront6targetE0EEEvSO_.kd
    .uniform_work_group_size: 1
    .uses_dynamic_stack: false
    .vgpr_count:     19
    .vgpr_spill_count: 0
    .wavefront_size: 32
  - .args:
      - .offset:         0
        .size:           64
        .value_kind:     by_value
    .group_segment_fixed_size: 0
    .kernarg_segment_align: 8
    .kernarg_segment_size: 64
    .language:       OpenCL C
    .language_version:
      - 2
      - 0
    .max_flat_workgroup_size: 512
    .name:           _ZN7rocprim17ROCPRIM_400000_NS6detail17trampoline_kernelINS0_14default_configENS1_38merge_sort_block_merge_config_selectorIjN6thrust23THRUST_200600_302600_NS5tupleIffNS6_9null_typeES8_S8_S8_S8_S8_S8_S8_EEEEZZNS1_27merge_sort_block_merge_implIS3_NS6_6detail15normal_iteratorINS6_10device_ptrIjEEEENSD_INSE_IS9_EEEEjNS1_19radix_merge_compareILb0ELb0EjNS0_19identity_decomposerEEEEE10hipError_tT0_T1_T2_jT3_P12ihipStream_tbPNSt15iterator_traitsISN_E10value_typeEPNST_ISO_E10value_typeEPSP_NS1_7vsmem_tEENKUlT_SN_SO_SP_E_clISG_PjSI_PS9_EESM_S12_SN_SO_SP_EUlS12_E0_NS1_11comp_targetILNS1_3genE10ELNS1_11target_archE1201ELNS1_3gpuE5ELNS1_3repE0EEENS1_38merge_mergepath_config_static_selectorELNS0_4arch9wavefront6targetE0EEEvSO_
    .private_segment_fixed_size: 0
    .sgpr_count:     0
    .sgpr_spill_count: 0
    .symbol:         _ZN7rocprim17ROCPRIM_400000_NS6detail17trampoline_kernelINS0_14default_configENS1_38merge_sort_block_merge_config_selectorIjN6thrust23THRUST_200600_302600_NS5tupleIffNS6_9null_typeES8_S8_S8_S8_S8_S8_S8_EEEEZZNS1_27merge_sort_block_merge_implIS3_NS6_6detail15normal_iteratorINS6_10device_ptrIjEEEENSD_INSE_IS9_EEEEjNS1_19radix_merge_compareILb0ELb0EjNS0_19identity_decomposerEEEEE10hipError_tT0_T1_T2_jT3_P12ihipStream_tbPNSt15iterator_traitsISN_E10value_typeEPNST_ISO_E10value_typeEPSP_NS1_7vsmem_tEENKUlT_SN_SO_SP_E_clISG_PjSI_PS9_EESM_S12_SN_SO_SP_EUlS12_E0_NS1_11comp_targetILNS1_3genE10ELNS1_11target_archE1201ELNS1_3gpuE5ELNS1_3repE0EEENS1_38merge_mergepath_config_static_selectorELNS0_4arch9wavefront6targetE0EEEvSO_.kd
    .uniform_work_group_size: 1
    .uses_dynamic_stack: false
    .vgpr_count:     0
    .vgpr_spill_count: 0
    .wavefront_size: 32
  - .args:
      - .offset:         0
        .size:           64
        .value_kind:     by_value
    .group_segment_fixed_size: 0
    .kernarg_segment_align: 8
    .kernarg_segment_size: 64
    .language:       OpenCL C
    .language_version:
      - 2
      - 0
    .max_flat_workgroup_size: 256
    .name:           _ZN7rocprim17ROCPRIM_400000_NS6detail17trampoline_kernelINS0_14default_configENS1_38merge_sort_block_merge_config_selectorIjN6thrust23THRUST_200600_302600_NS5tupleIffNS6_9null_typeES8_S8_S8_S8_S8_S8_S8_EEEEZZNS1_27merge_sort_block_merge_implIS3_NS6_6detail15normal_iteratorINS6_10device_ptrIjEEEENSD_INSE_IS9_EEEEjNS1_19radix_merge_compareILb0ELb0EjNS0_19identity_decomposerEEEEE10hipError_tT0_T1_T2_jT3_P12ihipStream_tbPNSt15iterator_traitsISN_E10value_typeEPNST_ISO_E10value_typeEPSP_NS1_7vsmem_tEENKUlT_SN_SO_SP_E_clISG_PjSI_PS9_EESM_S12_SN_SO_SP_EUlS12_E0_NS1_11comp_targetILNS1_3genE5ELNS1_11target_archE942ELNS1_3gpuE9ELNS1_3repE0EEENS1_38merge_mergepath_config_static_selectorELNS0_4arch9wavefront6targetE0EEEvSO_
    .private_segment_fixed_size: 0
    .sgpr_count:     0
    .sgpr_spill_count: 0
    .symbol:         _ZN7rocprim17ROCPRIM_400000_NS6detail17trampoline_kernelINS0_14default_configENS1_38merge_sort_block_merge_config_selectorIjN6thrust23THRUST_200600_302600_NS5tupleIffNS6_9null_typeES8_S8_S8_S8_S8_S8_S8_EEEEZZNS1_27merge_sort_block_merge_implIS3_NS6_6detail15normal_iteratorINS6_10device_ptrIjEEEENSD_INSE_IS9_EEEEjNS1_19radix_merge_compareILb0ELb0EjNS0_19identity_decomposerEEEEE10hipError_tT0_T1_T2_jT3_P12ihipStream_tbPNSt15iterator_traitsISN_E10value_typeEPNST_ISO_E10value_typeEPSP_NS1_7vsmem_tEENKUlT_SN_SO_SP_E_clISG_PjSI_PS9_EESM_S12_SN_SO_SP_EUlS12_E0_NS1_11comp_targetILNS1_3genE5ELNS1_11target_archE942ELNS1_3gpuE9ELNS1_3repE0EEENS1_38merge_mergepath_config_static_selectorELNS0_4arch9wavefront6targetE0EEEvSO_.kd
    .uniform_work_group_size: 1
    .uses_dynamic_stack: false
    .vgpr_count:     0
    .vgpr_spill_count: 0
    .wavefront_size: 32
  - .args:
      - .offset:         0
        .size:           64
        .value_kind:     by_value
    .group_segment_fixed_size: 0
    .kernarg_segment_align: 8
    .kernarg_segment_size: 64
    .language:       OpenCL C
    .language_version:
      - 2
      - 0
    .max_flat_workgroup_size: 256
    .name:           _ZN7rocprim17ROCPRIM_400000_NS6detail17trampoline_kernelINS0_14default_configENS1_38merge_sort_block_merge_config_selectorIjN6thrust23THRUST_200600_302600_NS5tupleIffNS6_9null_typeES8_S8_S8_S8_S8_S8_S8_EEEEZZNS1_27merge_sort_block_merge_implIS3_NS6_6detail15normal_iteratorINS6_10device_ptrIjEEEENSD_INSE_IS9_EEEEjNS1_19radix_merge_compareILb0ELb0EjNS0_19identity_decomposerEEEEE10hipError_tT0_T1_T2_jT3_P12ihipStream_tbPNSt15iterator_traitsISN_E10value_typeEPNST_ISO_E10value_typeEPSP_NS1_7vsmem_tEENKUlT_SN_SO_SP_E_clISG_PjSI_PS9_EESM_S12_SN_SO_SP_EUlS12_E0_NS1_11comp_targetILNS1_3genE4ELNS1_11target_archE910ELNS1_3gpuE8ELNS1_3repE0EEENS1_38merge_mergepath_config_static_selectorELNS0_4arch9wavefront6targetE0EEEvSO_
    .private_segment_fixed_size: 0
    .sgpr_count:     0
    .sgpr_spill_count: 0
    .symbol:         _ZN7rocprim17ROCPRIM_400000_NS6detail17trampoline_kernelINS0_14default_configENS1_38merge_sort_block_merge_config_selectorIjN6thrust23THRUST_200600_302600_NS5tupleIffNS6_9null_typeES8_S8_S8_S8_S8_S8_S8_EEEEZZNS1_27merge_sort_block_merge_implIS3_NS6_6detail15normal_iteratorINS6_10device_ptrIjEEEENSD_INSE_IS9_EEEEjNS1_19radix_merge_compareILb0ELb0EjNS0_19identity_decomposerEEEEE10hipError_tT0_T1_T2_jT3_P12ihipStream_tbPNSt15iterator_traitsISN_E10value_typeEPNST_ISO_E10value_typeEPSP_NS1_7vsmem_tEENKUlT_SN_SO_SP_E_clISG_PjSI_PS9_EESM_S12_SN_SO_SP_EUlS12_E0_NS1_11comp_targetILNS1_3genE4ELNS1_11target_archE910ELNS1_3gpuE8ELNS1_3repE0EEENS1_38merge_mergepath_config_static_selectorELNS0_4arch9wavefront6targetE0EEEvSO_.kd
    .uniform_work_group_size: 1
    .uses_dynamic_stack: false
    .vgpr_count:     0
    .vgpr_spill_count: 0
    .wavefront_size: 32
  - .args:
      - .offset:         0
        .size:           64
        .value_kind:     by_value
    .group_segment_fixed_size: 0
    .kernarg_segment_align: 8
    .kernarg_segment_size: 64
    .language:       OpenCL C
    .language_version:
      - 2
      - 0
    .max_flat_workgroup_size: 512
    .name:           _ZN7rocprim17ROCPRIM_400000_NS6detail17trampoline_kernelINS0_14default_configENS1_38merge_sort_block_merge_config_selectorIjN6thrust23THRUST_200600_302600_NS5tupleIffNS6_9null_typeES8_S8_S8_S8_S8_S8_S8_EEEEZZNS1_27merge_sort_block_merge_implIS3_NS6_6detail15normal_iteratorINS6_10device_ptrIjEEEENSD_INSE_IS9_EEEEjNS1_19radix_merge_compareILb0ELb0EjNS0_19identity_decomposerEEEEE10hipError_tT0_T1_T2_jT3_P12ihipStream_tbPNSt15iterator_traitsISN_E10value_typeEPNST_ISO_E10value_typeEPSP_NS1_7vsmem_tEENKUlT_SN_SO_SP_E_clISG_PjSI_PS9_EESM_S12_SN_SO_SP_EUlS12_E0_NS1_11comp_targetILNS1_3genE3ELNS1_11target_archE908ELNS1_3gpuE7ELNS1_3repE0EEENS1_38merge_mergepath_config_static_selectorELNS0_4arch9wavefront6targetE0EEEvSO_
    .private_segment_fixed_size: 0
    .sgpr_count:     0
    .sgpr_spill_count: 0
    .symbol:         _ZN7rocprim17ROCPRIM_400000_NS6detail17trampoline_kernelINS0_14default_configENS1_38merge_sort_block_merge_config_selectorIjN6thrust23THRUST_200600_302600_NS5tupleIffNS6_9null_typeES8_S8_S8_S8_S8_S8_S8_EEEEZZNS1_27merge_sort_block_merge_implIS3_NS6_6detail15normal_iteratorINS6_10device_ptrIjEEEENSD_INSE_IS9_EEEEjNS1_19radix_merge_compareILb0ELb0EjNS0_19identity_decomposerEEEEE10hipError_tT0_T1_T2_jT3_P12ihipStream_tbPNSt15iterator_traitsISN_E10value_typeEPNST_ISO_E10value_typeEPSP_NS1_7vsmem_tEENKUlT_SN_SO_SP_E_clISG_PjSI_PS9_EESM_S12_SN_SO_SP_EUlS12_E0_NS1_11comp_targetILNS1_3genE3ELNS1_11target_archE908ELNS1_3gpuE7ELNS1_3repE0EEENS1_38merge_mergepath_config_static_selectorELNS0_4arch9wavefront6targetE0EEEvSO_.kd
    .uniform_work_group_size: 1
    .uses_dynamic_stack: false
    .vgpr_count:     0
    .vgpr_spill_count: 0
    .wavefront_size: 32
  - .args:
      - .offset:         0
        .size:           64
        .value_kind:     by_value
    .group_segment_fixed_size: 0
    .kernarg_segment_align: 8
    .kernarg_segment_size: 64
    .language:       OpenCL C
    .language_version:
      - 2
      - 0
    .max_flat_workgroup_size: 256
    .name:           _ZN7rocprim17ROCPRIM_400000_NS6detail17trampoline_kernelINS0_14default_configENS1_38merge_sort_block_merge_config_selectorIjN6thrust23THRUST_200600_302600_NS5tupleIffNS6_9null_typeES8_S8_S8_S8_S8_S8_S8_EEEEZZNS1_27merge_sort_block_merge_implIS3_NS6_6detail15normal_iteratorINS6_10device_ptrIjEEEENSD_INSE_IS9_EEEEjNS1_19radix_merge_compareILb0ELb0EjNS0_19identity_decomposerEEEEE10hipError_tT0_T1_T2_jT3_P12ihipStream_tbPNSt15iterator_traitsISN_E10value_typeEPNST_ISO_E10value_typeEPSP_NS1_7vsmem_tEENKUlT_SN_SO_SP_E_clISG_PjSI_PS9_EESM_S12_SN_SO_SP_EUlS12_E0_NS1_11comp_targetILNS1_3genE2ELNS1_11target_archE906ELNS1_3gpuE6ELNS1_3repE0EEENS1_38merge_mergepath_config_static_selectorELNS0_4arch9wavefront6targetE0EEEvSO_
    .private_segment_fixed_size: 0
    .sgpr_count:     0
    .sgpr_spill_count: 0
    .symbol:         _ZN7rocprim17ROCPRIM_400000_NS6detail17trampoline_kernelINS0_14default_configENS1_38merge_sort_block_merge_config_selectorIjN6thrust23THRUST_200600_302600_NS5tupleIffNS6_9null_typeES8_S8_S8_S8_S8_S8_S8_EEEEZZNS1_27merge_sort_block_merge_implIS3_NS6_6detail15normal_iteratorINS6_10device_ptrIjEEEENSD_INSE_IS9_EEEEjNS1_19radix_merge_compareILb0ELb0EjNS0_19identity_decomposerEEEEE10hipError_tT0_T1_T2_jT3_P12ihipStream_tbPNSt15iterator_traitsISN_E10value_typeEPNST_ISO_E10value_typeEPSP_NS1_7vsmem_tEENKUlT_SN_SO_SP_E_clISG_PjSI_PS9_EESM_S12_SN_SO_SP_EUlS12_E0_NS1_11comp_targetILNS1_3genE2ELNS1_11target_archE906ELNS1_3gpuE6ELNS1_3repE0EEENS1_38merge_mergepath_config_static_selectorELNS0_4arch9wavefront6targetE0EEEvSO_.kd
    .uniform_work_group_size: 1
    .uses_dynamic_stack: false
    .vgpr_count:     0
    .vgpr_spill_count: 0
    .wavefront_size: 32
  - .args:
      - .offset:         0
        .size:           64
        .value_kind:     by_value
    .group_segment_fixed_size: 0
    .kernarg_segment_align: 8
    .kernarg_segment_size: 64
    .language:       OpenCL C
    .language_version:
      - 2
      - 0
    .max_flat_workgroup_size: 512
    .name:           _ZN7rocprim17ROCPRIM_400000_NS6detail17trampoline_kernelINS0_14default_configENS1_38merge_sort_block_merge_config_selectorIjN6thrust23THRUST_200600_302600_NS5tupleIffNS6_9null_typeES8_S8_S8_S8_S8_S8_S8_EEEEZZNS1_27merge_sort_block_merge_implIS3_NS6_6detail15normal_iteratorINS6_10device_ptrIjEEEENSD_INSE_IS9_EEEEjNS1_19radix_merge_compareILb0ELb0EjNS0_19identity_decomposerEEEEE10hipError_tT0_T1_T2_jT3_P12ihipStream_tbPNSt15iterator_traitsISN_E10value_typeEPNST_ISO_E10value_typeEPSP_NS1_7vsmem_tEENKUlT_SN_SO_SP_E_clISG_PjSI_PS9_EESM_S12_SN_SO_SP_EUlS12_E0_NS1_11comp_targetILNS1_3genE9ELNS1_11target_archE1100ELNS1_3gpuE3ELNS1_3repE0EEENS1_38merge_mergepath_config_static_selectorELNS0_4arch9wavefront6targetE0EEEvSO_
    .private_segment_fixed_size: 0
    .sgpr_count:     0
    .sgpr_spill_count: 0
    .symbol:         _ZN7rocprim17ROCPRIM_400000_NS6detail17trampoline_kernelINS0_14default_configENS1_38merge_sort_block_merge_config_selectorIjN6thrust23THRUST_200600_302600_NS5tupleIffNS6_9null_typeES8_S8_S8_S8_S8_S8_S8_EEEEZZNS1_27merge_sort_block_merge_implIS3_NS6_6detail15normal_iteratorINS6_10device_ptrIjEEEENSD_INSE_IS9_EEEEjNS1_19radix_merge_compareILb0ELb0EjNS0_19identity_decomposerEEEEE10hipError_tT0_T1_T2_jT3_P12ihipStream_tbPNSt15iterator_traitsISN_E10value_typeEPNST_ISO_E10value_typeEPSP_NS1_7vsmem_tEENKUlT_SN_SO_SP_E_clISG_PjSI_PS9_EESM_S12_SN_SO_SP_EUlS12_E0_NS1_11comp_targetILNS1_3genE9ELNS1_11target_archE1100ELNS1_3gpuE3ELNS1_3repE0EEENS1_38merge_mergepath_config_static_selectorELNS0_4arch9wavefront6targetE0EEEvSO_.kd
    .uniform_work_group_size: 1
    .uses_dynamic_stack: false
    .vgpr_count:     0
    .vgpr_spill_count: 0
    .wavefront_size: 32
  - .args:
      - .offset:         0
        .size:           64
        .value_kind:     by_value
    .group_segment_fixed_size: 0
    .kernarg_segment_align: 8
    .kernarg_segment_size: 64
    .language:       OpenCL C
    .language_version:
      - 2
      - 0
    .max_flat_workgroup_size: 1024
    .name:           _ZN7rocprim17ROCPRIM_400000_NS6detail17trampoline_kernelINS0_14default_configENS1_38merge_sort_block_merge_config_selectorIjN6thrust23THRUST_200600_302600_NS5tupleIffNS6_9null_typeES8_S8_S8_S8_S8_S8_S8_EEEEZZNS1_27merge_sort_block_merge_implIS3_NS6_6detail15normal_iteratorINS6_10device_ptrIjEEEENSD_INSE_IS9_EEEEjNS1_19radix_merge_compareILb0ELb0EjNS0_19identity_decomposerEEEEE10hipError_tT0_T1_T2_jT3_P12ihipStream_tbPNSt15iterator_traitsISN_E10value_typeEPNST_ISO_E10value_typeEPSP_NS1_7vsmem_tEENKUlT_SN_SO_SP_E_clISG_PjSI_PS9_EESM_S12_SN_SO_SP_EUlS12_E0_NS1_11comp_targetILNS1_3genE8ELNS1_11target_archE1030ELNS1_3gpuE2ELNS1_3repE0EEENS1_38merge_mergepath_config_static_selectorELNS0_4arch9wavefront6targetE0EEEvSO_
    .private_segment_fixed_size: 0
    .sgpr_count:     0
    .sgpr_spill_count: 0
    .symbol:         _ZN7rocprim17ROCPRIM_400000_NS6detail17trampoline_kernelINS0_14default_configENS1_38merge_sort_block_merge_config_selectorIjN6thrust23THRUST_200600_302600_NS5tupleIffNS6_9null_typeES8_S8_S8_S8_S8_S8_S8_EEEEZZNS1_27merge_sort_block_merge_implIS3_NS6_6detail15normal_iteratorINS6_10device_ptrIjEEEENSD_INSE_IS9_EEEEjNS1_19radix_merge_compareILb0ELb0EjNS0_19identity_decomposerEEEEE10hipError_tT0_T1_T2_jT3_P12ihipStream_tbPNSt15iterator_traitsISN_E10value_typeEPNST_ISO_E10value_typeEPSP_NS1_7vsmem_tEENKUlT_SN_SO_SP_E_clISG_PjSI_PS9_EESM_S12_SN_SO_SP_EUlS12_E0_NS1_11comp_targetILNS1_3genE8ELNS1_11target_archE1030ELNS1_3gpuE2ELNS1_3repE0EEENS1_38merge_mergepath_config_static_selectorELNS0_4arch9wavefront6targetE0EEEvSO_.kd
    .uniform_work_group_size: 1
    .uses_dynamic_stack: false
    .vgpr_count:     0
    .vgpr_spill_count: 0
    .wavefront_size: 32
  - .args:
      - .offset:         0
        .size:           48
        .value_kind:     by_value
    .group_segment_fixed_size: 0
    .kernarg_segment_align: 8
    .kernarg_segment_size: 48
    .language:       OpenCL C
    .language_version:
      - 2
      - 0
    .max_flat_workgroup_size: 256
    .name:           _ZN7rocprim17ROCPRIM_400000_NS6detail17trampoline_kernelINS0_14default_configENS1_38merge_sort_block_merge_config_selectorIjN6thrust23THRUST_200600_302600_NS5tupleIffNS6_9null_typeES8_S8_S8_S8_S8_S8_S8_EEEEZZNS1_27merge_sort_block_merge_implIS3_NS6_6detail15normal_iteratorINS6_10device_ptrIjEEEENSD_INSE_IS9_EEEEjNS1_19radix_merge_compareILb0ELb0EjNS0_19identity_decomposerEEEEE10hipError_tT0_T1_T2_jT3_P12ihipStream_tbPNSt15iterator_traitsISN_E10value_typeEPNST_ISO_E10value_typeEPSP_NS1_7vsmem_tEENKUlT_SN_SO_SP_E_clISG_PjSI_PS9_EESM_S12_SN_SO_SP_EUlS12_E1_NS1_11comp_targetILNS1_3genE0ELNS1_11target_archE4294967295ELNS1_3gpuE0ELNS1_3repE0EEENS1_36merge_oddeven_config_static_selectorELNS0_4arch9wavefront6targetE0EEEvSO_
    .private_segment_fixed_size: 0
    .sgpr_count:     22
    .sgpr_spill_count: 0
    .symbol:         _ZN7rocprim17ROCPRIM_400000_NS6detail17trampoline_kernelINS0_14default_configENS1_38merge_sort_block_merge_config_selectorIjN6thrust23THRUST_200600_302600_NS5tupleIffNS6_9null_typeES8_S8_S8_S8_S8_S8_S8_EEEEZZNS1_27merge_sort_block_merge_implIS3_NS6_6detail15normal_iteratorINS6_10device_ptrIjEEEENSD_INSE_IS9_EEEEjNS1_19radix_merge_compareILb0ELb0EjNS0_19identity_decomposerEEEEE10hipError_tT0_T1_T2_jT3_P12ihipStream_tbPNSt15iterator_traitsISN_E10value_typeEPNST_ISO_E10value_typeEPSP_NS1_7vsmem_tEENKUlT_SN_SO_SP_E_clISG_PjSI_PS9_EESM_S12_SN_SO_SP_EUlS12_E1_NS1_11comp_targetILNS1_3genE0ELNS1_11target_archE4294967295ELNS1_3gpuE0ELNS1_3repE0EEENS1_36merge_oddeven_config_static_selectorELNS0_4arch9wavefront6targetE0EEEvSO_.kd
    .uniform_work_group_size: 1
    .uses_dynamic_stack: false
    .vgpr_count:     9
    .vgpr_spill_count: 0
    .wavefront_size: 32
  - .args:
      - .offset:         0
        .size:           48
        .value_kind:     by_value
    .group_segment_fixed_size: 0
    .kernarg_segment_align: 8
    .kernarg_segment_size: 48
    .language:       OpenCL C
    .language_version:
      - 2
      - 0
    .max_flat_workgroup_size: 256
    .name:           _ZN7rocprim17ROCPRIM_400000_NS6detail17trampoline_kernelINS0_14default_configENS1_38merge_sort_block_merge_config_selectorIjN6thrust23THRUST_200600_302600_NS5tupleIffNS6_9null_typeES8_S8_S8_S8_S8_S8_S8_EEEEZZNS1_27merge_sort_block_merge_implIS3_NS6_6detail15normal_iteratorINS6_10device_ptrIjEEEENSD_INSE_IS9_EEEEjNS1_19radix_merge_compareILb0ELb0EjNS0_19identity_decomposerEEEEE10hipError_tT0_T1_T2_jT3_P12ihipStream_tbPNSt15iterator_traitsISN_E10value_typeEPNST_ISO_E10value_typeEPSP_NS1_7vsmem_tEENKUlT_SN_SO_SP_E_clISG_PjSI_PS9_EESM_S12_SN_SO_SP_EUlS12_E1_NS1_11comp_targetILNS1_3genE10ELNS1_11target_archE1201ELNS1_3gpuE5ELNS1_3repE0EEENS1_36merge_oddeven_config_static_selectorELNS0_4arch9wavefront6targetE0EEEvSO_
    .private_segment_fixed_size: 0
    .sgpr_count:     0
    .sgpr_spill_count: 0
    .symbol:         _ZN7rocprim17ROCPRIM_400000_NS6detail17trampoline_kernelINS0_14default_configENS1_38merge_sort_block_merge_config_selectorIjN6thrust23THRUST_200600_302600_NS5tupleIffNS6_9null_typeES8_S8_S8_S8_S8_S8_S8_EEEEZZNS1_27merge_sort_block_merge_implIS3_NS6_6detail15normal_iteratorINS6_10device_ptrIjEEEENSD_INSE_IS9_EEEEjNS1_19radix_merge_compareILb0ELb0EjNS0_19identity_decomposerEEEEE10hipError_tT0_T1_T2_jT3_P12ihipStream_tbPNSt15iterator_traitsISN_E10value_typeEPNST_ISO_E10value_typeEPSP_NS1_7vsmem_tEENKUlT_SN_SO_SP_E_clISG_PjSI_PS9_EESM_S12_SN_SO_SP_EUlS12_E1_NS1_11comp_targetILNS1_3genE10ELNS1_11target_archE1201ELNS1_3gpuE5ELNS1_3repE0EEENS1_36merge_oddeven_config_static_selectorELNS0_4arch9wavefront6targetE0EEEvSO_.kd
    .uniform_work_group_size: 1
    .uses_dynamic_stack: false
    .vgpr_count:     0
    .vgpr_spill_count: 0
    .wavefront_size: 32
  - .args:
      - .offset:         0
        .size:           48
        .value_kind:     by_value
    .group_segment_fixed_size: 0
    .kernarg_segment_align: 8
    .kernarg_segment_size: 48
    .language:       OpenCL C
    .language_version:
      - 2
      - 0
    .max_flat_workgroup_size: 256
    .name:           _ZN7rocprim17ROCPRIM_400000_NS6detail17trampoline_kernelINS0_14default_configENS1_38merge_sort_block_merge_config_selectorIjN6thrust23THRUST_200600_302600_NS5tupleIffNS6_9null_typeES8_S8_S8_S8_S8_S8_S8_EEEEZZNS1_27merge_sort_block_merge_implIS3_NS6_6detail15normal_iteratorINS6_10device_ptrIjEEEENSD_INSE_IS9_EEEEjNS1_19radix_merge_compareILb0ELb0EjNS0_19identity_decomposerEEEEE10hipError_tT0_T1_T2_jT3_P12ihipStream_tbPNSt15iterator_traitsISN_E10value_typeEPNST_ISO_E10value_typeEPSP_NS1_7vsmem_tEENKUlT_SN_SO_SP_E_clISG_PjSI_PS9_EESM_S12_SN_SO_SP_EUlS12_E1_NS1_11comp_targetILNS1_3genE5ELNS1_11target_archE942ELNS1_3gpuE9ELNS1_3repE0EEENS1_36merge_oddeven_config_static_selectorELNS0_4arch9wavefront6targetE0EEEvSO_
    .private_segment_fixed_size: 0
    .sgpr_count:     0
    .sgpr_spill_count: 0
    .symbol:         _ZN7rocprim17ROCPRIM_400000_NS6detail17trampoline_kernelINS0_14default_configENS1_38merge_sort_block_merge_config_selectorIjN6thrust23THRUST_200600_302600_NS5tupleIffNS6_9null_typeES8_S8_S8_S8_S8_S8_S8_EEEEZZNS1_27merge_sort_block_merge_implIS3_NS6_6detail15normal_iteratorINS6_10device_ptrIjEEEENSD_INSE_IS9_EEEEjNS1_19radix_merge_compareILb0ELb0EjNS0_19identity_decomposerEEEEE10hipError_tT0_T1_T2_jT3_P12ihipStream_tbPNSt15iterator_traitsISN_E10value_typeEPNST_ISO_E10value_typeEPSP_NS1_7vsmem_tEENKUlT_SN_SO_SP_E_clISG_PjSI_PS9_EESM_S12_SN_SO_SP_EUlS12_E1_NS1_11comp_targetILNS1_3genE5ELNS1_11target_archE942ELNS1_3gpuE9ELNS1_3repE0EEENS1_36merge_oddeven_config_static_selectorELNS0_4arch9wavefront6targetE0EEEvSO_.kd
    .uniform_work_group_size: 1
    .uses_dynamic_stack: false
    .vgpr_count:     0
    .vgpr_spill_count: 0
    .wavefront_size: 32
  - .args:
      - .offset:         0
        .size:           48
        .value_kind:     by_value
    .group_segment_fixed_size: 0
    .kernarg_segment_align: 8
    .kernarg_segment_size: 48
    .language:       OpenCL C
    .language_version:
      - 2
      - 0
    .max_flat_workgroup_size: 256
    .name:           _ZN7rocprim17ROCPRIM_400000_NS6detail17trampoline_kernelINS0_14default_configENS1_38merge_sort_block_merge_config_selectorIjN6thrust23THRUST_200600_302600_NS5tupleIffNS6_9null_typeES8_S8_S8_S8_S8_S8_S8_EEEEZZNS1_27merge_sort_block_merge_implIS3_NS6_6detail15normal_iteratorINS6_10device_ptrIjEEEENSD_INSE_IS9_EEEEjNS1_19radix_merge_compareILb0ELb0EjNS0_19identity_decomposerEEEEE10hipError_tT0_T1_T2_jT3_P12ihipStream_tbPNSt15iterator_traitsISN_E10value_typeEPNST_ISO_E10value_typeEPSP_NS1_7vsmem_tEENKUlT_SN_SO_SP_E_clISG_PjSI_PS9_EESM_S12_SN_SO_SP_EUlS12_E1_NS1_11comp_targetILNS1_3genE4ELNS1_11target_archE910ELNS1_3gpuE8ELNS1_3repE0EEENS1_36merge_oddeven_config_static_selectorELNS0_4arch9wavefront6targetE0EEEvSO_
    .private_segment_fixed_size: 0
    .sgpr_count:     0
    .sgpr_spill_count: 0
    .symbol:         _ZN7rocprim17ROCPRIM_400000_NS6detail17trampoline_kernelINS0_14default_configENS1_38merge_sort_block_merge_config_selectorIjN6thrust23THRUST_200600_302600_NS5tupleIffNS6_9null_typeES8_S8_S8_S8_S8_S8_S8_EEEEZZNS1_27merge_sort_block_merge_implIS3_NS6_6detail15normal_iteratorINS6_10device_ptrIjEEEENSD_INSE_IS9_EEEEjNS1_19radix_merge_compareILb0ELb0EjNS0_19identity_decomposerEEEEE10hipError_tT0_T1_T2_jT3_P12ihipStream_tbPNSt15iterator_traitsISN_E10value_typeEPNST_ISO_E10value_typeEPSP_NS1_7vsmem_tEENKUlT_SN_SO_SP_E_clISG_PjSI_PS9_EESM_S12_SN_SO_SP_EUlS12_E1_NS1_11comp_targetILNS1_3genE4ELNS1_11target_archE910ELNS1_3gpuE8ELNS1_3repE0EEENS1_36merge_oddeven_config_static_selectorELNS0_4arch9wavefront6targetE0EEEvSO_.kd
    .uniform_work_group_size: 1
    .uses_dynamic_stack: false
    .vgpr_count:     0
    .vgpr_spill_count: 0
    .wavefront_size: 32
  - .args:
      - .offset:         0
        .size:           48
        .value_kind:     by_value
    .group_segment_fixed_size: 0
    .kernarg_segment_align: 8
    .kernarg_segment_size: 48
    .language:       OpenCL C
    .language_version:
      - 2
      - 0
    .max_flat_workgroup_size: 256
    .name:           _ZN7rocprim17ROCPRIM_400000_NS6detail17trampoline_kernelINS0_14default_configENS1_38merge_sort_block_merge_config_selectorIjN6thrust23THRUST_200600_302600_NS5tupleIffNS6_9null_typeES8_S8_S8_S8_S8_S8_S8_EEEEZZNS1_27merge_sort_block_merge_implIS3_NS6_6detail15normal_iteratorINS6_10device_ptrIjEEEENSD_INSE_IS9_EEEEjNS1_19radix_merge_compareILb0ELb0EjNS0_19identity_decomposerEEEEE10hipError_tT0_T1_T2_jT3_P12ihipStream_tbPNSt15iterator_traitsISN_E10value_typeEPNST_ISO_E10value_typeEPSP_NS1_7vsmem_tEENKUlT_SN_SO_SP_E_clISG_PjSI_PS9_EESM_S12_SN_SO_SP_EUlS12_E1_NS1_11comp_targetILNS1_3genE3ELNS1_11target_archE908ELNS1_3gpuE7ELNS1_3repE0EEENS1_36merge_oddeven_config_static_selectorELNS0_4arch9wavefront6targetE0EEEvSO_
    .private_segment_fixed_size: 0
    .sgpr_count:     0
    .sgpr_spill_count: 0
    .symbol:         _ZN7rocprim17ROCPRIM_400000_NS6detail17trampoline_kernelINS0_14default_configENS1_38merge_sort_block_merge_config_selectorIjN6thrust23THRUST_200600_302600_NS5tupleIffNS6_9null_typeES8_S8_S8_S8_S8_S8_S8_EEEEZZNS1_27merge_sort_block_merge_implIS3_NS6_6detail15normal_iteratorINS6_10device_ptrIjEEEENSD_INSE_IS9_EEEEjNS1_19radix_merge_compareILb0ELb0EjNS0_19identity_decomposerEEEEE10hipError_tT0_T1_T2_jT3_P12ihipStream_tbPNSt15iterator_traitsISN_E10value_typeEPNST_ISO_E10value_typeEPSP_NS1_7vsmem_tEENKUlT_SN_SO_SP_E_clISG_PjSI_PS9_EESM_S12_SN_SO_SP_EUlS12_E1_NS1_11comp_targetILNS1_3genE3ELNS1_11target_archE908ELNS1_3gpuE7ELNS1_3repE0EEENS1_36merge_oddeven_config_static_selectorELNS0_4arch9wavefront6targetE0EEEvSO_.kd
    .uniform_work_group_size: 1
    .uses_dynamic_stack: false
    .vgpr_count:     0
    .vgpr_spill_count: 0
    .wavefront_size: 32
  - .args:
      - .offset:         0
        .size:           48
        .value_kind:     by_value
    .group_segment_fixed_size: 0
    .kernarg_segment_align: 8
    .kernarg_segment_size: 48
    .language:       OpenCL C
    .language_version:
      - 2
      - 0
    .max_flat_workgroup_size: 256
    .name:           _ZN7rocprim17ROCPRIM_400000_NS6detail17trampoline_kernelINS0_14default_configENS1_38merge_sort_block_merge_config_selectorIjN6thrust23THRUST_200600_302600_NS5tupleIffNS6_9null_typeES8_S8_S8_S8_S8_S8_S8_EEEEZZNS1_27merge_sort_block_merge_implIS3_NS6_6detail15normal_iteratorINS6_10device_ptrIjEEEENSD_INSE_IS9_EEEEjNS1_19radix_merge_compareILb0ELb0EjNS0_19identity_decomposerEEEEE10hipError_tT0_T1_T2_jT3_P12ihipStream_tbPNSt15iterator_traitsISN_E10value_typeEPNST_ISO_E10value_typeEPSP_NS1_7vsmem_tEENKUlT_SN_SO_SP_E_clISG_PjSI_PS9_EESM_S12_SN_SO_SP_EUlS12_E1_NS1_11comp_targetILNS1_3genE2ELNS1_11target_archE906ELNS1_3gpuE6ELNS1_3repE0EEENS1_36merge_oddeven_config_static_selectorELNS0_4arch9wavefront6targetE0EEEvSO_
    .private_segment_fixed_size: 0
    .sgpr_count:     0
    .sgpr_spill_count: 0
    .symbol:         _ZN7rocprim17ROCPRIM_400000_NS6detail17trampoline_kernelINS0_14default_configENS1_38merge_sort_block_merge_config_selectorIjN6thrust23THRUST_200600_302600_NS5tupleIffNS6_9null_typeES8_S8_S8_S8_S8_S8_S8_EEEEZZNS1_27merge_sort_block_merge_implIS3_NS6_6detail15normal_iteratorINS6_10device_ptrIjEEEENSD_INSE_IS9_EEEEjNS1_19radix_merge_compareILb0ELb0EjNS0_19identity_decomposerEEEEE10hipError_tT0_T1_T2_jT3_P12ihipStream_tbPNSt15iterator_traitsISN_E10value_typeEPNST_ISO_E10value_typeEPSP_NS1_7vsmem_tEENKUlT_SN_SO_SP_E_clISG_PjSI_PS9_EESM_S12_SN_SO_SP_EUlS12_E1_NS1_11comp_targetILNS1_3genE2ELNS1_11target_archE906ELNS1_3gpuE6ELNS1_3repE0EEENS1_36merge_oddeven_config_static_selectorELNS0_4arch9wavefront6targetE0EEEvSO_.kd
    .uniform_work_group_size: 1
    .uses_dynamic_stack: false
    .vgpr_count:     0
    .vgpr_spill_count: 0
    .wavefront_size: 32
  - .args:
      - .offset:         0
        .size:           48
        .value_kind:     by_value
    .group_segment_fixed_size: 0
    .kernarg_segment_align: 8
    .kernarg_segment_size: 48
    .language:       OpenCL C
    .language_version:
      - 2
      - 0
    .max_flat_workgroup_size: 256
    .name:           _ZN7rocprim17ROCPRIM_400000_NS6detail17trampoline_kernelINS0_14default_configENS1_38merge_sort_block_merge_config_selectorIjN6thrust23THRUST_200600_302600_NS5tupleIffNS6_9null_typeES8_S8_S8_S8_S8_S8_S8_EEEEZZNS1_27merge_sort_block_merge_implIS3_NS6_6detail15normal_iteratorINS6_10device_ptrIjEEEENSD_INSE_IS9_EEEEjNS1_19radix_merge_compareILb0ELb0EjNS0_19identity_decomposerEEEEE10hipError_tT0_T1_T2_jT3_P12ihipStream_tbPNSt15iterator_traitsISN_E10value_typeEPNST_ISO_E10value_typeEPSP_NS1_7vsmem_tEENKUlT_SN_SO_SP_E_clISG_PjSI_PS9_EESM_S12_SN_SO_SP_EUlS12_E1_NS1_11comp_targetILNS1_3genE9ELNS1_11target_archE1100ELNS1_3gpuE3ELNS1_3repE0EEENS1_36merge_oddeven_config_static_selectorELNS0_4arch9wavefront6targetE0EEEvSO_
    .private_segment_fixed_size: 0
    .sgpr_count:     0
    .sgpr_spill_count: 0
    .symbol:         _ZN7rocprim17ROCPRIM_400000_NS6detail17trampoline_kernelINS0_14default_configENS1_38merge_sort_block_merge_config_selectorIjN6thrust23THRUST_200600_302600_NS5tupleIffNS6_9null_typeES8_S8_S8_S8_S8_S8_S8_EEEEZZNS1_27merge_sort_block_merge_implIS3_NS6_6detail15normal_iteratorINS6_10device_ptrIjEEEENSD_INSE_IS9_EEEEjNS1_19radix_merge_compareILb0ELb0EjNS0_19identity_decomposerEEEEE10hipError_tT0_T1_T2_jT3_P12ihipStream_tbPNSt15iterator_traitsISN_E10value_typeEPNST_ISO_E10value_typeEPSP_NS1_7vsmem_tEENKUlT_SN_SO_SP_E_clISG_PjSI_PS9_EESM_S12_SN_SO_SP_EUlS12_E1_NS1_11comp_targetILNS1_3genE9ELNS1_11target_archE1100ELNS1_3gpuE3ELNS1_3repE0EEENS1_36merge_oddeven_config_static_selectorELNS0_4arch9wavefront6targetE0EEEvSO_.kd
    .uniform_work_group_size: 1
    .uses_dynamic_stack: false
    .vgpr_count:     0
    .vgpr_spill_count: 0
    .wavefront_size: 32
  - .args:
      - .offset:         0
        .size:           48
        .value_kind:     by_value
    .group_segment_fixed_size: 0
    .kernarg_segment_align: 8
    .kernarg_segment_size: 48
    .language:       OpenCL C
    .language_version:
      - 2
      - 0
    .max_flat_workgroup_size: 256
    .name:           _ZN7rocprim17ROCPRIM_400000_NS6detail17trampoline_kernelINS0_14default_configENS1_38merge_sort_block_merge_config_selectorIjN6thrust23THRUST_200600_302600_NS5tupleIffNS6_9null_typeES8_S8_S8_S8_S8_S8_S8_EEEEZZNS1_27merge_sort_block_merge_implIS3_NS6_6detail15normal_iteratorINS6_10device_ptrIjEEEENSD_INSE_IS9_EEEEjNS1_19radix_merge_compareILb0ELb0EjNS0_19identity_decomposerEEEEE10hipError_tT0_T1_T2_jT3_P12ihipStream_tbPNSt15iterator_traitsISN_E10value_typeEPNST_ISO_E10value_typeEPSP_NS1_7vsmem_tEENKUlT_SN_SO_SP_E_clISG_PjSI_PS9_EESM_S12_SN_SO_SP_EUlS12_E1_NS1_11comp_targetILNS1_3genE8ELNS1_11target_archE1030ELNS1_3gpuE2ELNS1_3repE0EEENS1_36merge_oddeven_config_static_selectorELNS0_4arch9wavefront6targetE0EEEvSO_
    .private_segment_fixed_size: 0
    .sgpr_count:     0
    .sgpr_spill_count: 0
    .symbol:         _ZN7rocprim17ROCPRIM_400000_NS6detail17trampoline_kernelINS0_14default_configENS1_38merge_sort_block_merge_config_selectorIjN6thrust23THRUST_200600_302600_NS5tupleIffNS6_9null_typeES8_S8_S8_S8_S8_S8_S8_EEEEZZNS1_27merge_sort_block_merge_implIS3_NS6_6detail15normal_iteratorINS6_10device_ptrIjEEEENSD_INSE_IS9_EEEEjNS1_19radix_merge_compareILb0ELb0EjNS0_19identity_decomposerEEEEE10hipError_tT0_T1_T2_jT3_P12ihipStream_tbPNSt15iterator_traitsISN_E10value_typeEPNST_ISO_E10value_typeEPSP_NS1_7vsmem_tEENKUlT_SN_SO_SP_E_clISG_PjSI_PS9_EESM_S12_SN_SO_SP_EUlS12_E1_NS1_11comp_targetILNS1_3genE8ELNS1_11target_archE1030ELNS1_3gpuE2ELNS1_3repE0EEENS1_36merge_oddeven_config_static_selectorELNS0_4arch9wavefront6targetE0EEEvSO_.kd
    .uniform_work_group_size: 1
    .uses_dynamic_stack: false
    .vgpr_count:     0
    .vgpr_spill_count: 0
    .wavefront_size: 32
  - .args:
      - .offset:         0
        .size:           40
        .value_kind:     by_value
      - .offset:         40
        .size:           4
        .value_kind:     hidden_block_count_x
      - .offset:         44
        .size:           4
        .value_kind:     hidden_block_count_y
      - .offset:         48
        .size:           4
        .value_kind:     hidden_block_count_z
      - .offset:         52
        .size:           2
        .value_kind:     hidden_group_size_x
      - .offset:         54
        .size:           2
        .value_kind:     hidden_group_size_y
      - .offset:         56
        .size:           2
        .value_kind:     hidden_group_size_z
      - .offset:         58
        .size:           2
        .value_kind:     hidden_remainder_x
      - .offset:         60
        .size:           2
        .value_kind:     hidden_remainder_y
      - .offset:         62
        .size:           2
        .value_kind:     hidden_remainder_z
      - .offset:         80
        .size:           8
        .value_kind:     hidden_global_offset_x
      - .offset:         88
        .size:           8
        .value_kind:     hidden_global_offset_y
      - .offset:         96
        .size:           8
        .value_kind:     hidden_global_offset_z
      - .offset:         104
        .size:           2
        .value_kind:     hidden_grid_dims
    .group_segment_fixed_size: 0
    .kernarg_segment_align: 8
    .kernarg_segment_size: 296
    .language:       OpenCL C
    .language_version:
      - 2
      - 0
    .max_flat_workgroup_size: 128
    .name:           _ZN7rocprim17ROCPRIM_400000_NS6detail17trampoline_kernelINS0_14default_configENS1_25transform_config_selectorIjLb0EEEZNS1_14transform_implILb0ES3_S5_PjN6thrust23THRUST_200600_302600_NS6detail15normal_iteratorINS9_10device_ptrIjEEEENS0_8identityIjEEEE10hipError_tT2_T3_mT4_P12ihipStream_tbEUlT_E_NS1_11comp_targetILNS1_3genE0ELNS1_11target_archE4294967295ELNS1_3gpuE0ELNS1_3repE0EEENS1_30default_config_static_selectorELNS0_4arch9wavefront6targetE0EEEvT1_
    .private_segment_fixed_size: 0
    .sgpr_count:     17
    .sgpr_spill_count: 0
    .symbol:         _ZN7rocprim17ROCPRIM_400000_NS6detail17trampoline_kernelINS0_14default_configENS1_25transform_config_selectorIjLb0EEEZNS1_14transform_implILb0ES3_S5_PjN6thrust23THRUST_200600_302600_NS6detail15normal_iteratorINS9_10device_ptrIjEEEENS0_8identityIjEEEE10hipError_tT2_T3_mT4_P12ihipStream_tbEUlT_E_NS1_11comp_targetILNS1_3genE0ELNS1_11target_archE4294967295ELNS1_3gpuE0ELNS1_3repE0EEENS1_30default_config_static_selectorELNS0_4arch9wavefront6targetE0EEEvT1_.kd
    .uniform_work_group_size: 1
    .uses_dynamic_stack: false
    .vgpr_count:     7
    .vgpr_spill_count: 0
    .wavefront_size: 32
  - .args:
      - .offset:         0
        .size:           40
        .value_kind:     by_value
    .group_segment_fixed_size: 0
    .kernarg_segment_align: 8
    .kernarg_segment_size: 40
    .language:       OpenCL C
    .language_version:
      - 2
      - 0
    .max_flat_workgroup_size: 512
    .name:           _ZN7rocprim17ROCPRIM_400000_NS6detail17trampoline_kernelINS0_14default_configENS1_25transform_config_selectorIjLb0EEEZNS1_14transform_implILb0ES3_S5_PjN6thrust23THRUST_200600_302600_NS6detail15normal_iteratorINS9_10device_ptrIjEEEENS0_8identityIjEEEE10hipError_tT2_T3_mT4_P12ihipStream_tbEUlT_E_NS1_11comp_targetILNS1_3genE5ELNS1_11target_archE942ELNS1_3gpuE9ELNS1_3repE0EEENS1_30default_config_static_selectorELNS0_4arch9wavefront6targetE0EEEvT1_
    .private_segment_fixed_size: 0
    .sgpr_count:     0
    .sgpr_spill_count: 0
    .symbol:         _ZN7rocprim17ROCPRIM_400000_NS6detail17trampoline_kernelINS0_14default_configENS1_25transform_config_selectorIjLb0EEEZNS1_14transform_implILb0ES3_S5_PjN6thrust23THRUST_200600_302600_NS6detail15normal_iteratorINS9_10device_ptrIjEEEENS0_8identityIjEEEE10hipError_tT2_T3_mT4_P12ihipStream_tbEUlT_E_NS1_11comp_targetILNS1_3genE5ELNS1_11target_archE942ELNS1_3gpuE9ELNS1_3repE0EEENS1_30default_config_static_selectorELNS0_4arch9wavefront6targetE0EEEvT1_.kd
    .uniform_work_group_size: 1
    .uses_dynamic_stack: false
    .vgpr_count:     0
    .vgpr_spill_count: 0
    .wavefront_size: 32
  - .args:
      - .offset:         0
        .size:           40
        .value_kind:     by_value
    .group_segment_fixed_size: 0
    .kernarg_segment_align: 8
    .kernarg_segment_size: 40
    .language:       OpenCL C
    .language_version:
      - 2
      - 0
    .max_flat_workgroup_size: 1024
    .name:           _ZN7rocprim17ROCPRIM_400000_NS6detail17trampoline_kernelINS0_14default_configENS1_25transform_config_selectorIjLb0EEEZNS1_14transform_implILb0ES3_S5_PjN6thrust23THRUST_200600_302600_NS6detail15normal_iteratorINS9_10device_ptrIjEEEENS0_8identityIjEEEE10hipError_tT2_T3_mT4_P12ihipStream_tbEUlT_E_NS1_11comp_targetILNS1_3genE4ELNS1_11target_archE910ELNS1_3gpuE8ELNS1_3repE0EEENS1_30default_config_static_selectorELNS0_4arch9wavefront6targetE0EEEvT1_
    .private_segment_fixed_size: 0
    .sgpr_count:     0
    .sgpr_spill_count: 0
    .symbol:         _ZN7rocprim17ROCPRIM_400000_NS6detail17trampoline_kernelINS0_14default_configENS1_25transform_config_selectorIjLb0EEEZNS1_14transform_implILb0ES3_S5_PjN6thrust23THRUST_200600_302600_NS6detail15normal_iteratorINS9_10device_ptrIjEEEENS0_8identityIjEEEE10hipError_tT2_T3_mT4_P12ihipStream_tbEUlT_E_NS1_11comp_targetILNS1_3genE4ELNS1_11target_archE910ELNS1_3gpuE8ELNS1_3repE0EEENS1_30default_config_static_selectorELNS0_4arch9wavefront6targetE0EEEvT1_.kd
    .uniform_work_group_size: 1
    .uses_dynamic_stack: false
    .vgpr_count:     0
    .vgpr_spill_count: 0
    .wavefront_size: 32
  - .args:
      - .offset:         0
        .size:           40
        .value_kind:     by_value
    .group_segment_fixed_size: 0
    .kernarg_segment_align: 8
    .kernarg_segment_size: 40
    .language:       OpenCL C
    .language_version:
      - 2
      - 0
    .max_flat_workgroup_size: 128
    .name:           _ZN7rocprim17ROCPRIM_400000_NS6detail17trampoline_kernelINS0_14default_configENS1_25transform_config_selectorIjLb0EEEZNS1_14transform_implILb0ES3_S5_PjN6thrust23THRUST_200600_302600_NS6detail15normal_iteratorINS9_10device_ptrIjEEEENS0_8identityIjEEEE10hipError_tT2_T3_mT4_P12ihipStream_tbEUlT_E_NS1_11comp_targetILNS1_3genE3ELNS1_11target_archE908ELNS1_3gpuE7ELNS1_3repE0EEENS1_30default_config_static_selectorELNS0_4arch9wavefront6targetE0EEEvT1_
    .private_segment_fixed_size: 0
    .sgpr_count:     0
    .sgpr_spill_count: 0
    .symbol:         _ZN7rocprim17ROCPRIM_400000_NS6detail17trampoline_kernelINS0_14default_configENS1_25transform_config_selectorIjLb0EEEZNS1_14transform_implILb0ES3_S5_PjN6thrust23THRUST_200600_302600_NS6detail15normal_iteratorINS9_10device_ptrIjEEEENS0_8identityIjEEEE10hipError_tT2_T3_mT4_P12ihipStream_tbEUlT_E_NS1_11comp_targetILNS1_3genE3ELNS1_11target_archE908ELNS1_3gpuE7ELNS1_3repE0EEENS1_30default_config_static_selectorELNS0_4arch9wavefront6targetE0EEEvT1_.kd
    .uniform_work_group_size: 1
    .uses_dynamic_stack: false
    .vgpr_count:     0
    .vgpr_spill_count: 0
    .wavefront_size: 32
  - .args:
      - .offset:         0
        .size:           40
        .value_kind:     by_value
    .group_segment_fixed_size: 0
    .kernarg_segment_align: 8
    .kernarg_segment_size: 40
    .language:       OpenCL C
    .language_version:
      - 2
      - 0
    .max_flat_workgroup_size: 1024
    .name:           _ZN7rocprim17ROCPRIM_400000_NS6detail17trampoline_kernelINS0_14default_configENS1_25transform_config_selectorIjLb0EEEZNS1_14transform_implILb0ES3_S5_PjN6thrust23THRUST_200600_302600_NS6detail15normal_iteratorINS9_10device_ptrIjEEEENS0_8identityIjEEEE10hipError_tT2_T3_mT4_P12ihipStream_tbEUlT_E_NS1_11comp_targetILNS1_3genE2ELNS1_11target_archE906ELNS1_3gpuE6ELNS1_3repE0EEENS1_30default_config_static_selectorELNS0_4arch9wavefront6targetE0EEEvT1_
    .private_segment_fixed_size: 0
    .sgpr_count:     0
    .sgpr_spill_count: 0
    .symbol:         _ZN7rocprim17ROCPRIM_400000_NS6detail17trampoline_kernelINS0_14default_configENS1_25transform_config_selectorIjLb0EEEZNS1_14transform_implILb0ES3_S5_PjN6thrust23THRUST_200600_302600_NS6detail15normal_iteratorINS9_10device_ptrIjEEEENS0_8identityIjEEEE10hipError_tT2_T3_mT4_P12ihipStream_tbEUlT_E_NS1_11comp_targetILNS1_3genE2ELNS1_11target_archE906ELNS1_3gpuE6ELNS1_3repE0EEENS1_30default_config_static_selectorELNS0_4arch9wavefront6targetE0EEEvT1_.kd
    .uniform_work_group_size: 1
    .uses_dynamic_stack: false
    .vgpr_count:     0
    .vgpr_spill_count: 0
    .wavefront_size: 32
  - .args:
      - .offset:         0
        .size:           40
        .value_kind:     by_value
    .group_segment_fixed_size: 0
    .kernarg_segment_align: 8
    .kernarg_segment_size: 40
    .language:       OpenCL C
    .language_version:
      - 2
      - 0
    .max_flat_workgroup_size: 1024
    .name:           _ZN7rocprim17ROCPRIM_400000_NS6detail17trampoline_kernelINS0_14default_configENS1_25transform_config_selectorIjLb0EEEZNS1_14transform_implILb0ES3_S5_PjN6thrust23THRUST_200600_302600_NS6detail15normal_iteratorINS9_10device_ptrIjEEEENS0_8identityIjEEEE10hipError_tT2_T3_mT4_P12ihipStream_tbEUlT_E_NS1_11comp_targetILNS1_3genE10ELNS1_11target_archE1201ELNS1_3gpuE5ELNS1_3repE0EEENS1_30default_config_static_selectorELNS0_4arch9wavefront6targetE0EEEvT1_
    .private_segment_fixed_size: 0
    .sgpr_count:     0
    .sgpr_spill_count: 0
    .symbol:         _ZN7rocprim17ROCPRIM_400000_NS6detail17trampoline_kernelINS0_14default_configENS1_25transform_config_selectorIjLb0EEEZNS1_14transform_implILb0ES3_S5_PjN6thrust23THRUST_200600_302600_NS6detail15normal_iteratorINS9_10device_ptrIjEEEENS0_8identityIjEEEE10hipError_tT2_T3_mT4_P12ihipStream_tbEUlT_E_NS1_11comp_targetILNS1_3genE10ELNS1_11target_archE1201ELNS1_3gpuE5ELNS1_3repE0EEENS1_30default_config_static_selectorELNS0_4arch9wavefront6targetE0EEEvT1_.kd
    .uniform_work_group_size: 1
    .uses_dynamic_stack: false
    .vgpr_count:     0
    .vgpr_spill_count: 0
    .wavefront_size: 32
  - .args:
      - .offset:         0
        .size:           40
        .value_kind:     by_value
    .group_segment_fixed_size: 0
    .kernarg_segment_align: 8
    .kernarg_segment_size: 40
    .language:       OpenCL C
    .language_version:
      - 2
      - 0
    .max_flat_workgroup_size: 512
    .name:           _ZN7rocprim17ROCPRIM_400000_NS6detail17trampoline_kernelINS0_14default_configENS1_25transform_config_selectorIjLb0EEEZNS1_14transform_implILb0ES3_S5_PjN6thrust23THRUST_200600_302600_NS6detail15normal_iteratorINS9_10device_ptrIjEEEENS0_8identityIjEEEE10hipError_tT2_T3_mT4_P12ihipStream_tbEUlT_E_NS1_11comp_targetILNS1_3genE10ELNS1_11target_archE1200ELNS1_3gpuE4ELNS1_3repE0EEENS1_30default_config_static_selectorELNS0_4arch9wavefront6targetE0EEEvT1_
    .private_segment_fixed_size: 0
    .sgpr_count:     0
    .sgpr_spill_count: 0
    .symbol:         _ZN7rocprim17ROCPRIM_400000_NS6detail17trampoline_kernelINS0_14default_configENS1_25transform_config_selectorIjLb0EEEZNS1_14transform_implILb0ES3_S5_PjN6thrust23THRUST_200600_302600_NS6detail15normal_iteratorINS9_10device_ptrIjEEEENS0_8identityIjEEEE10hipError_tT2_T3_mT4_P12ihipStream_tbEUlT_E_NS1_11comp_targetILNS1_3genE10ELNS1_11target_archE1200ELNS1_3gpuE4ELNS1_3repE0EEENS1_30default_config_static_selectorELNS0_4arch9wavefront6targetE0EEEvT1_.kd
    .uniform_work_group_size: 1
    .uses_dynamic_stack: false
    .vgpr_count:     0
    .vgpr_spill_count: 0
    .wavefront_size: 32
  - .args:
      - .offset:         0
        .size:           40
        .value_kind:     by_value
    .group_segment_fixed_size: 0
    .kernarg_segment_align: 8
    .kernarg_segment_size: 40
    .language:       OpenCL C
    .language_version:
      - 2
      - 0
    .max_flat_workgroup_size: 64
    .name:           _ZN7rocprim17ROCPRIM_400000_NS6detail17trampoline_kernelINS0_14default_configENS1_25transform_config_selectorIjLb0EEEZNS1_14transform_implILb0ES3_S5_PjN6thrust23THRUST_200600_302600_NS6detail15normal_iteratorINS9_10device_ptrIjEEEENS0_8identityIjEEEE10hipError_tT2_T3_mT4_P12ihipStream_tbEUlT_E_NS1_11comp_targetILNS1_3genE9ELNS1_11target_archE1100ELNS1_3gpuE3ELNS1_3repE0EEENS1_30default_config_static_selectorELNS0_4arch9wavefront6targetE0EEEvT1_
    .private_segment_fixed_size: 0
    .sgpr_count:     0
    .sgpr_spill_count: 0
    .symbol:         _ZN7rocprim17ROCPRIM_400000_NS6detail17trampoline_kernelINS0_14default_configENS1_25transform_config_selectorIjLb0EEEZNS1_14transform_implILb0ES3_S5_PjN6thrust23THRUST_200600_302600_NS6detail15normal_iteratorINS9_10device_ptrIjEEEENS0_8identityIjEEEE10hipError_tT2_T3_mT4_P12ihipStream_tbEUlT_E_NS1_11comp_targetILNS1_3genE9ELNS1_11target_archE1100ELNS1_3gpuE3ELNS1_3repE0EEENS1_30default_config_static_selectorELNS0_4arch9wavefront6targetE0EEEvT1_.kd
    .uniform_work_group_size: 1
    .uses_dynamic_stack: false
    .vgpr_count:     0
    .vgpr_spill_count: 0
    .wavefront_size: 32
  - .args:
      - .offset:         0
        .size:           40
        .value_kind:     by_value
    .group_segment_fixed_size: 0
    .kernarg_segment_align: 8
    .kernarg_segment_size: 40
    .language:       OpenCL C
    .language_version:
      - 2
      - 0
    .max_flat_workgroup_size: 256
    .name:           _ZN7rocprim17ROCPRIM_400000_NS6detail17trampoline_kernelINS0_14default_configENS1_25transform_config_selectorIjLb0EEEZNS1_14transform_implILb0ES3_S5_PjN6thrust23THRUST_200600_302600_NS6detail15normal_iteratorINS9_10device_ptrIjEEEENS0_8identityIjEEEE10hipError_tT2_T3_mT4_P12ihipStream_tbEUlT_E_NS1_11comp_targetILNS1_3genE8ELNS1_11target_archE1030ELNS1_3gpuE2ELNS1_3repE0EEENS1_30default_config_static_selectorELNS0_4arch9wavefront6targetE0EEEvT1_
    .private_segment_fixed_size: 0
    .sgpr_count:     0
    .sgpr_spill_count: 0
    .symbol:         _ZN7rocprim17ROCPRIM_400000_NS6detail17trampoline_kernelINS0_14default_configENS1_25transform_config_selectorIjLb0EEEZNS1_14transform_implILb0ES3_S5_PjN6thrust23THRUST_200600_302600_NS6detail15normal_iteratorINS9_10device_ptrIjEEEENS0_8identityIjEEEE10hipError_tT2_T3_mT4_P12ihipStream_tbEUlT_E_NS1_11comp_targetILNS1_3genE8ELNS1_11target_archE1030ELNS1_3gpuE2ELNS1_3repE0EEENS1_30default_config_static_selectorELNS0_4arch9wavefront6targetE0EEEvT1_.kd
    .uniform_work_group_size: 1
    .uses_dynamic_stack: false
    .vgpr_count:     0
    .vgpr_spill_count: 0
    .wavefront_size: 32
  - .args:
      - .offset:         0
        .size:           40
        .value_kind:     by_value
      - .offset:         40
        .size:           4
        .value_kind:     hidden_block_count_x
      - .offset:         44
        .size:           4
        .value_kind:     hidden_block_count_y
      - .offset:         48
        .size:           4
        .value_kind:     hidden_block_count_z
      - .offset:         52
        .size:           2
        .value_kind:     hidden_group_size_x
      - .offset:         54
        .size:           2
        .value_kind:     hidden_group_size_y
      - .offset:         56
        .size:           2
        .value_kind:     hidden_group_size_z
      - .offset:         58
        .size:           2
        .value_kind:     hidden_remainder_x
      - .offset:         60
        .size:           2
        .value_kind:     hidden_remainder_y
      - .offset:         62
        .size:           2
        .value_kind:     hidden_remainder_z
      - .offset:         80
        .size:           8
        .value_kind:     hidden_global_offset_x
      - .offset:         88
        .size:           8
        .value_kind:     hidden_global_offset_y
      - .offset:         96
        .size:           8
        .value_kind:     hidden_global_offset_z
      - .offset:         104
        .size:           2
        .value_kind:     hidden_grid_dims
    .group_segment_fixed_size: 0
    .kernarg_segment_align: 8
    .kernarg_segment_size: 296
    .language:       OpenCL C
    .language_version:
      - 2
      - 0
    .max_flat_workgroup_size: 128
    .name:           _ZN7rocprim17ROCPRIM_400000_NS6detail17trampoline_kernelINS0_14default_configENS1_25transform_config_selectorIN6thrust23THRUST_200600_302600_NS5tupleIffNS6_9null_typeES8_S8_S8_S8_S8_S8_S8_EELb0EEEZNS1_14transform_implILb0ES3_SA_PS9_NS6_6detail15normal_iteratorINS6_10device_ptrIS9_EEEENS0_8identityIS9_EEEE10hipError_tT2_T3_mT4_P12ihipStream_tbEUlT_E_NS1_11comp_targetILNS1_3genE0ELNS1_11target_archE4294967295ELNS1_3gpuE0ELNS1_3repE0EEENS1_30default_config_static_selectorELNS0_4arch9wavefront6targetE0EEEvT1_
    .private_segment_fixed_size: 0
    .sgpr_count:     14
    .sgpr_spill_count: 0
    .symbol:         _ZN7rocprim17ROCPRIM_400000_NS6detail17trampoline_kernelINS0_14default_configENS1_25transform_config_selectorIN6thrust23THRUST_200600_302600_NS5tupleIffNS6_9null_typeES8_S8_S8_S8_S8_S8_S8_EELb0EEEZNS1_14transform_implILb0ES3_SA_PS9_NS6_6detail15normal_iteratorINS6_10device_ptrIS9_EEEENS0_8identityIS9_EEEE10hipError_tT2_T3_mT4_P12ihipStream_tbEUlT_E_NS1_11comp_targetILNS1_3genE0ELNS1_11target_archE4294967295ELNS1_3gpuE0ELNS1_3repE0EEENS1_30default_config_static_selectorELNS0_4arch9wavefront6targetE0EEEvT1_.kd
    .uniform_work_group_size: 1
    .uses_dynamic_stack: false
    .vgpr_count:     4
    .vgpr_spill_count: 0
    .wavefront_size: 32
  - .args:
      - .offset:         0
        .size:           40
        .value_kind:     by_value
    .group_segment_fixed_size: 0
    .kernarg_segment_align: 8
    .kernarg_segment_size: 40
    .language:       OpenCL C
    .language_version:
      - 2
      - 0
    .max_flat_workgroup_size: 512
    .name:           _ZN7rocprim17ROCPRIM_400000_NS6detail17trampoline_kernelINS0_14default_configENS1_25transform_config_selectorIN6thrust23THRUST_200600_302600_NS5tupleIffNS6_9null_typeES8_S8_S8_S8_S8_S8_S8_EELb0EEEZNS1_14transform_implILb0ES3_SA_PS9_NS6_6detail15normal_iteratorINS6_10device_ptrIS9_EEEENS0_8identityIS9_EEEE10hipError_tT2_T3_mT4_P12ihipStream_tbEUlT_E_NS1_11comp_targetILNS1_3genE5ELNS1_11target_archE942ELNS1_3gpuE9ELNS1_3repE0EEENS1_30default_config_static_selectorELNS0_4arch9wavefront6targetE0EEEvT1_
    .private_segment_fixed_size: 0
    .sgpr_count:     0
    .sgpr_spill_count: 0
    .symbol:         _ZN7rocprim17ROCPRIM_400000_NS6detail17trampoline_kernelINS0_14default_configENS1_25transform_config_selectorIN6thrust23THRUST_200600_302600_NS5tupleIffNS6_9null_typeES8_S8_S8_S8_S8_S8_S8_EELb0EEEZNS1_14transform_implILb0ES3_SA_PS9_NS6_6detail15normal_iteratorINS6_10device_ptrIS9_EEEENS0_8identityIS9_EEEE10hipError_tT2_T3_mT4_P12ihipStream_tbEUlT_E_NS1_11comp_targetILNS1_3genE5ELNS1_11target_archE942ELNS1_3gpuE9ELNS1_3repE0EEENS1_30default_config_static_selectorELNS0_4arch9wavefront6targetE0EEEvT1_.kd
    .uniform_work_group_size: 1
    .uses_dynamic_stack: false
    .vgpr_count:     0
    .vgpr_spill_count: 0
    .wavefront_size: 32
  - .args:
      - .offset:         0
        .size:           40
        .value_kind:     by_value
    .group_segment_fixed_size: 0
    .kernarg_segment_align: 8
    .kernarg_segment_size: 40
    .language:       OpenCL C
    .language_version:
      - 2
      - 0
    .max_flat_workgroup_size: 256
    .name:           _ZN7rocprim17ROCPRIM_400000_NS6detail17trampoline_kernelINS0_14default_configENS1_25transform_config_selectorIN6thrust23THRUST_200600_302600_NS5tupleIffNS6_9null_typeES8_S8_S8_S8_S8_S8_S8_EELb0EEEZNS1_14transform_implILb0ES3_SA_PS9_NS6_6detail15normal_iteratorINS6_10device_ptrIS9_EEEENS0_8identityIS9_EEEE10hipError_tT2_T3_mT4_P12ihipStream_tbEUlT_E_NS1_11comp_targetILNS1_3genE4ELNS1_11target_archE910ELNS1_3gpuE8ELNS1_3repE0EEENS1_30default_config_static_selectorELNS0_4arch9wavefront6targetE0EEEvT1_
    .private_segment_fixed_size: 0
    .sgpr_count:     0
    .sgpr_spill_count: 0
    .symbol:         _ZN7rocprim17ROCPRIM_400000_NS6detail17trampoline_kernelINS0_14default_configENS1_25transform_config_selectorIN6thrust23THRUST_200600_302600_NS5tupleIffNS6_9null_typeES8_S8_S8_S8_S8_S8_S8_EELb0EEEZNS1_14transform_implILb0ES3_SA_PS9_NS6_6detail15normal_iteratorINS6_10device_ptrIS9_EEEENS0_8identityIS9_EEEE10hipError_tT2_T3_mT4_P12ihipStream_tbEUlT_E_NS1_11comp_targetILNS1_3genE4ELNS1_11target_archE910ELNS1_3gpuE8ELNS1_3repE0EEENS1_30default_config_static_selectorELNS0_4arch9wavefront6targetE0EEEvT1_.kd
    .uniform_work_group_size: 1
    .uses_dynamic_stack: false
    .vgpr_count:     0
    .vgpr_spill_count: 0
    .wavefront_size: 32
  - .args:
      - .offset:         0
        .size:           40
        .value_kind:     by_value
    .group_segment_fixed_size: 0
    .kernarg_segment_align: 8
    .kernarg_segment_size: 40
    .language:       OpenCL C
    .language_version:
      - 2
      - 0
    .max_flat_workgroup_size: 128
    .name:           _ZN7rocprim17ROCPRIM_400000_NS6detail17trampoline_kernelINS0_14default_configENS1_25transform_config_selectorIN6thrust23THRUST_200600_302600_NS5tupleIffNS6_9null_typeES8_S8_S8_S8_S8_S8_S8_EELb0EEEZNS1_14transform_implILb0ES3_SA_PS9_NS6_6detail15normal_iteratorINS6_10device_ptrIS9_EEEENS0_8identityIS9_EEEE10hipError_tT2_T3_mT4_P12ihipStream_tbEUlT_E_NS1_11comp_targetILNS1_3genE3ELNS1_11target_archE908ELNS1_3gpuE7ELNS1_3repE0EEENS1_30default_config_static_selectorELNS0_4arch9wavefront6targetE0EEEvT1_
    .private_segment_fixed_size: 0
    .sgpr_count:     0
    .sgpr_spill_count: 0
    .symbol:         _ZN7rocprim17ROCPRIM_400000_NS6detail17trampoline_kernelINS0_14default_configENS1_25transform_config_selectorIN6thrust23THRUST_200600_302600_NS5tupleIffNS6_9null_typeES8_S8_S8_S8_S8_S8_S8_EELb0EEEZNS1_14transform_implILb0ES3_SA_PS9_NS6_6detail15normal_iteratorINS6_10device_ptrIS9_EEEENS0_8identityIS9_EEEE10hipError_tT2_T3_mT4_P12ihipStream_tbEUlT_E_NS1_11comp_targetILNS1_3genE3ELNS1_11target_archE908ELNS1_3gpuE7ELNS1_3repE0EEENS1_30default_config_static_selectorELNS0_4arch9wavefront6targetE0EEEvT1_.kd
    .uniform_work_group_size: 1
    .uses_dynamic_stack: false
    .vgpr_count:     0
    .vgpr_spill_count: 0
    .wavefront_size: 32
  - .args:
      - .offset:         0
        .size:           40
        .value_kind:     by_value
    .group_segment_fixed_size: 0
    .kernarg_segment_align: 8
    .kernarg_segment_size: 40
    .language:       OpenCL C
    .language_version:
      - 2
      - 0
    .max_flat_workgroup_size: 512
    .name:           _ZN7rocprim17ROCPRIM_400000_NS6detail17trampoline_kernelINS0_14default_configENS1_25transform_config_selectorIN6thrust23THRUST_200600_302600_NS5tupleIffNS6_9null_typeES8_S8_S8_S8_S8_S8_S8_EELb0EEEZNS1_14transform_implILb0ES3_SA_PS9_NS6_6detail15normal_iteratorINS6_10device_ptrIS9_EEEENS0_8identityIS9_EEEE10hipError_tT2_T3_mT4_P12ihipStream_tbEUlT_E_NS1_11comp_targetILNS1_3genE2ELNS1_11target_archE906ELNS1_3gpuE6ELNS1_3repE0EEENS1_30default_config_static_selectorELNS0_4arch9wavefront6targetE0EEEvT1_
    .private_segment_fixed_size: 0
    .sgpr_count:     0
    .sgpr_spill_count: 0
    .symbol:         _ZN7rocprim17ROCPRIM_400000_NS6detail17trampoline_kernelINS0_14default_configENS1_25transform_config_selectorIN6thrust23THRUST_200600_302600_NS5tupleIffNS6_9null_typeES8_S8_S8_S8_S8_S8_S8_EELb0EEEZNS1_14transform_implILb0ES3_SA_PS9_NS6_6detail15normal_iteratorINS6_10device_ptrIS9_EEEENS0_8identityIS9_EEEE10hipError_tT2_T3_mT4_P12ihipStream_tbEUlT_E_NS1_11comp_targetILNS1_3genE2ELNS1_11target_archE906ELNS1_3gpuE6ELNS1_3repE0EEENS1_30default_config_static_selectorELNS0_4arch9wavefront6targetE0EEEvT1_.kd
    .uniform_work_group_size: 1
    .uses_dynamic_stack: false
    .vgpr_count:     0
    .vgpr_spill_count: 0
    .wavefront_size: 32
  - .args:
      - .offset:         0
        .size:           40
        .value_kind:     by_value
    .group_segment_fixed_size: 0
    .kernarg_segment_align: 8
    .kernarg_segment_size: 40
    .language:       OpenCL C
    .language_version:
      - 2
      - 0
    .max_flat_workgroup_size: 1024
    .name:           _ZN7rocprim17ROCPRIM_400000_NS6detail17trampoline_kernelINS0_14default_configENS1_25transform_config_selectorIN6thrust23THRUST_200600_302600_NS5tupleIffNS6_9null_typeES8_S8_S8_S8_S8_S8_S8_EELb0EEEZNS1_14transform_implILb0ES3_SA_PS9_NS6_6detail15normal_iteratorINS6_10device_ptrIS9_EEEENS0_8identityIS9_EEEE10hipError_tT2_T3_mT4_P12ihipStream_tbEUlT_E_NS1_11comp_targetILNS1_3genE10ELNS1_11target_archE1201ELNS1_3gpuE5ELNS1_3repE0EEENS1_30default_config_static_selectorELNS0_4arch9wavefront6targetE0EEEvT1_
    .private_segment_fixed_size: 0
    .sgpr_count:     0
    .sgpr_spill_count: 0
    .symbol:         _ZN7rocprim17ROCPRIM_400000_NS6detail17trampoline_kernelINS0_14default_configENS1_25transform_config_selectorIN6thrust23THRUST_200600_302600_NS5tupleIffNS6_9null_typeES8_S8_S8_S8_S8_S8_S8_EELb0EEEZNS1_14transform_implILb0ES3_SA_PS9_NS6_6detail15normal_iteratorINS6_10device_ptrIS9_EEEENS0_8identityIS9_EEEE10hipError_tT2_T3_mT4_P12ihipStream_tbEUlT_E_NS1_11comp_targetILNS1_3genE10ELNS1_11target_archE1201ELNS1_3gpuE5ELNS1_3repE0EEENS1_30default_config_static_selectorELNS0_4arch9wavefront6targetE0EEEvT1_.kd
    .uniform_work_group_size: 1
    .uses_dynamic_stack: false
    .vgpr_count:     0
    .vgpr_spill_count: 0
    .wavefront_size: 32
  - .args:
      - .offset:         0
        .size:           40
        .value_kind:     by_value
    .group_segment_fixed_size: 0
    .kernarg_segment_align: 8
    .kernarg_segment_size: 40
    .language:       OpenCL C
    .language_version:
      - 2
      - 0
    .max_flat_workgroup_size: 512
    .name:           _ZN7rocprim17ROCPRIM_400000_NS6detail17trampoline_kernelINS0_14default_configENS1_25transform_config_selectorIN6thrust23THRUST_200600_302600_NS5tupleIffNS6_9null_typeES8_S8_S8_S8_S8_S8_S8_EELb0EEEZNS1_14transform_implILb0ES3_SA_PS9_NS6_6detail15normal_iteratorINS6_10device_ptrIS9_EEEENS0_8identityIS9_EEEE10hipError_tT2_T3_mT4_P12ihipStream_tbEUlT_E_NS1_11comp_targetILNS1_3genE10ELNS1_11target_archE1200ELNS1_3gpuE4ELNS1_3repE0EEENS1_30default_config_static_selectorELNS0_4arch9wavefront6targetE0EEEvT1_
    .private_segment_fixed_size: 0
    .sgpr_count:     0
    .sgpr_spill_count: 0
    .symbol:         _ZN7rocprim17ROCPRIM_400000_NS6detail17trampoline_kernelINS0_14default_configENS1_25transform_config_selectorIN6thrust23THRUST_200600_302600_NS5tupleIffNS6_9null_typeES8_S8_S8_S8_S8_S8_S8_EELb0EEEZNS1_14transform_implILb0ES3_SA_PS9_NS6_6detail15normal_iteratorINS6_10device_ptrIS9_EEEENS0_8identityIS9_EEEE10hipError_tT2_T3_mT4_P12ihipStream_tbEUlT_E_NS1_11comp_targetILNS1_3genE10ELNS1_11target_archE1200ELNS1_3gpuE4ELNS1_3repE0EEENS1_30default_config_static_selectorELNS0_4arch9wavefront6targetE0EEEvT1_.kd
    .uniform_work_group_size: 1
    .uses_dynamic_stack: false
    .vgpr_count:     0
    .vgpr_spill_count: 0
    .wavefront_size: 32
  - .args:
      - .offset:         0
        .size:           40
        .value_kind:     by_value
    .group_segment_fixed_size: 0
    .kernarg_segment_align: 8
    .kernarg_segment_size: 40
    .language:       OpenCL C
    .language_version:
      - 2
      - 0
    .max_flat_workgroup_size: 512
    .name:           _ZN7rocprim17ROCPRIM_400000_NS6detail17trampoline_kernelINS0_14default_configENS1_25transform_config_selectorIN6thrust23THRUST_200600_302600_NS5tupleIffNS6_9null_typeES8_S8_S8_S8_S8_S8_S8_EELb0EEEZNS1_14transform_implILb0ES3_SA_PS9_NS6_6detail15normal_iteratorINS6_10device_ptrIS9_EEEENS0_8identityIS9_EEEE10hipError_tT2_T3_mT4_P12ihipStream_tbEUlT_E_NS1_11comp_targetILNS1_3genE9ELNS1_11target_archE1100ELNS1_3gpuE3ELNS1_3repE0EEENS1_30default_config_static_selectorELNS0_4arch9wavefront6targetE0EEEvT1_
    .private_segment_fixed_size: 0
    .sgpr_count:     0
    .sgpr_spill_count: 0
    .symbol:         _ZN7rocprim17ROCPRIM_400000_NS6detail17trampoline_kernelINS0_14default_configENS1_25transform_config_selectorIN6thrust23THRUST_200600_302600_NS5tupleIffNS6_9null_typeES8_S8_S8_S8_S8_S8_S8_EELb0EEEZNS1_14transform_implILb0ES3_SA_PS9_NS6_6detail15normal_iteratorINS6_10device_ptrIS9_EEEENS0_8identityIS9_EEEE10hipError_tT2_T3_mT4_P12ihipStream_tbEUlT_E_NS1_11comp_targetILNS1_3genE9ELNS1_11target_archE1100ELNS1_3gpuE3ELNS1_3repE0EEENS1_30default_config_static_selectorELNS0_4arch9wavefront6targetE0EEEvT1_.kd
    .uniform_work_group_size: 1
    .uses_dynamic_stack: false
    .vgpr_count:     0
    .vgpr_spill_count: 0
    .wavefront_size: 32
  - .args:
      - .offset:         0
        .size:           40
        .value_kind:     by_value
    .group_segment_fixed_size: 0
    .kernarg_segment_align: 8
    .kernarg_segment_size: 40
    .language:       OpenCL C
    .language_version:
      - 2
      - 0
    .max_flat_workgroup_size: 512
    .name:           _ZN7rocprim17ROCPRIM_400000_NS6detail17trampoline_kernelINS0_14default_configENS1_25transform_config_selectorIN6thrust23THRUST_200600_302600_NS5tupleIffNS6_9null_typeES8_S8_S8_S8_S8_S8_S8_EELb0EEEZNS1_14transform_implILb0ES3_SA_PS9_NS6_6detail15normal_iteratorINS6_10device_ptrIS9_EEEENS0_8identityIS9_EEEE10hipError_tT2_T3_mT4_P12ihipStream_tbEUlT_E_NS1_11comp_targetILNS1_3genE8ELNS1_11target_archE1030ELNS1_3gpuE2ELNS1_3repE0EEENS1_30default_config_static_selectorELNS0_4arch9wavefront6targetE0EEEvT1_
    .private_segment_fixed_size: 0
    .sgpr_count:     0
    .sgpr_spill_count: 0
    .symbol:         _ZN7rocprim17ROCPRIM_400000_NS6detail17trampoline_kernelINS0_14default_configENS1_25transform_config_selectorIN6thrust23THRUST_200600_302600_NS5tupleIffNS6_9null_typeES8_S8_S8_S8_S8_S8_S8_EELb0EEEZNS1_14transform_implILb0ES3_SA_PS9_NS6_6detail15normal_iteratorINS6_10device_ptrIS9_EEEENS0_8identityIS9_EEEE10hipError_tT2_T3_mT4_P12ihipStream_tbEUlT_E_NS1_11comp_targetILNS1_3genE8ELNS1_11target_archE1030ELNS1_3gpuE2ELNS1_3repE0EEENS1_30default_config_static_selectorELNS0_4arch9wavefront6targetE0EEEvT1_.kd
    .uniform_work_group_size: 1
    .uses_dynamic_stack: false
    .vgpr_count:     0
    .vgpr_spill_count: 0
    .wavefront_size: 32
  - .args:
      - .offset:         0
        .size:           40
        .value_kind:     by_value
    .group_segment_fixed_size: 0
    .kernarg_segment_align: 8
    .kernarg_segment_size: 40
    .language:       OpenCL C
    .language_version:
      - 2
      - 0
    .max_flat_workgroup_size: 128
    .name:           _ZN7rocprim17ROCPRIM_400000_NS6detail17trampoline_kernelINS0_14default_configENS1_38merge_sort_block_merge_config_selectorIjN6thrust23THRUST_200600_302600_NS5tupleIffNS6_9null_typeES8_S8_S8_S8_S8_S8_S8_EEEEZZNS1_27merge_sort_block_merge_implIS3_NS6_6detail15normal_iteratorINS6_10device_ptrIjEEEENSD_INSE_IS9_EEEEjNS1_19radix_merge_compareILb0ELb1EjNS0_19identity_decomposerEEEEE10hipError_tT0_T1_T2_jT3_P12ihipStream_tbPNSt15iterator_traitsISN_E10value_typeEPNST_ISO_E10value_typeEPSP_NS1_7vsmem_tEENKUlT_SN_SO_SP_E_clIPjSG_PS9_SI_EESM_S12_SN_SO_SP_EUlS12_E_NS1_11comp_targetILNS1_3genE0ELNS1_11target_archE4294967295ELNS1_3gpuE0ELNS1_3repE0EEENS1_48merge_mergepath_partition_config_static_selectorELNS0_4arch9wavefront6targetE0EEEvSO_
    .private_segment_fixed_size: 0
    .sgpr_count:     10
    .sgpr_spill_count: 0
    .symbol:         _ZN7rocprim17ROCPRIM_400000_NS6detail17trampoline_kernelINS0_14default_configENS1_38merge_sort_block_merge_config_selectorIjN6thrust23THRUST_200600_302600_NS5tupleIffNS6_9null_typeES8_S8_S8_S8_S8_S8_S8_EEEEZZNS1_27merge_sort_block_merge_implIS3_NS6_6detail15normal_iteratorINS6_10device_ptrIjEEEENSD_INSE_IS9_EEEEjNS1_19radix_merge_compareILb0ELb1EjNS0_19identity_decomposerEEEEE10hipError_tT0_T1_T2_jT3_P12ihipStream_tbPNSt15iterator_traitsISN_E10value_typeEPNST_ISO_E10value_typeEPSP_NS1_7vsmem_tEENKUlT_SN_SO_SP_E_clIPjSG_PS9_SI_EESM_S12_SN_SO_SP_EUlS12_E_NS1_11comp_targetILNS1_3genE0ELNS1_11target_archE4294967295ELNS1_3gpuE0ELNS1_3repE0EEENS1_48merge_mergepath_partition_config_static_selectorELNS0_4arch9wavefront6targetE0EEEvSO_.kd
    .uniform_work_group_size: 1
    .uses_dynamic_stack: false
    .vgpr_count:     17
    .vgpr_spill_count: 0
    .wavefront_size: 32
  - .args:
      - .offset:         0
        .size:           40
        .value_kind:     by_value
    .group_segment_fixed_size: 0
    .kernarg_segment_align: 8
    .kernarg_segment_size: 40
    .language:       OpenCL C
    .language_version:
      - 2
      - 0
    .max_flat_workgroup_size: 128
    .name:           _ZN7rocprim17ROCPRIM_400000_NS6detail17trampoline_kernelINS0_14default_configENS1_38merge_sort_block_merge_config_selectorIjN6thrust23THRUST_200600_302600_NS5tupleIffNS6_9null_typeES8_S8_S8_S8_S8_S8_S8_EEEEZZNS1_27merge_sort_block_merge_implIS3_NS6_6detail15normal_iteratorINS6_10device_ptrIjEEEENSD_INSE_IS9_EEEEjNS1_19radix_merge_compareILb0ELb1EjNS0_19identity_decomposerEEEEE10hipError_tT0_T1_T2_jT3_P12ihipStream_tbPNSt15iterator_traitsISN_E10value_typeEPNST_ISO_E10value_typeEPSP_NS1_7vsmem_tEENKUlT_SN_SO_SP_E_clIPjSG_PS9_SI_EESM_S12_SN_SO_SP_EUlS12_E_NS1_11comp_targetILNS1_3genE10ELNS1_11target_archE1201ELNS1_3gpuE5ELNS1_3repE0EEENS1_48merge_mergepath_partition_config_static_selectorELNS0_4arch9wavefront6targetE0EEEvSO_
    .private_segment_fixed_size: 0
    .sgpr_count:     0
    .sgpr_spill_count: 0
    .symbol:         _ZN7rocprim17ROCPRIM_400000_NS6detail17trampoline_kernelINS0_14default_configENS1_38merge_sort_block_merge_config_selectorIjN6thrust23THRUST_200600_302600_NS5tupleIffNS6_9null_typeES8_S8_S8_S8_S8_S8_S8_EEEEZZNS1_27merge_sort_block_merge_implIS3_NS6_6detail15normal_iteratorINS6_10device_ptrIjEEEENSD_INSE_IS9_EEEEjNS1_19radix_merge_compareILb0ELb1EjNS0_19identity_decomposerEEEEE10hipError_tT0_T1_T2_jT3_P12ihipStream_tbPNSt15iterator_traitsISN_E10value_typeEPNST_ISO_E10value_typeEPSP_NS1_7vsmem_tEENKUlT_SN_SO_SP_E_clIPjSG_PS9_SI_EESM_S12_SN_SO_SP_EUlS12_E_NS1_11comp_targetILNS1_3genE10ELNS1_11target_archE1201ELNS1_3gpuE5ELNS1_3repE0EEENS1_48merge_mergepath_partition_config_static_selectorELNS0_4arch9wavefront6targetE0EEEvSO_.kd
    .uniform_work_group_size: 1
    .uses_dynamic_stack: false
    .vgpr_count:     0
    .vgpr_spill_count: 0
    .wavefront_size: 32
  - .args:
      - .offset:         0
        .size:           40
        .value_kind:     by_value
    .group_segment_fixed_size: 0
    .kernarg_segment_align: 8
    .kernarg_segment_size: 40
    .language:       OpenCL C
    .language_version:
      - 2
      - 0
    .max_flat_workgroup_size: 128
    .name:           _ZN7rocprim17ROCPRIM_400000_NS6detail17trampoline_kernelINS0_14default_configENS1_38merge_sort_block_merge_config_selectorIjN6thrust23THRUST_200600_302600_NS5tupleIffNS6_9null_typeES8_S8_S8_S8_S8_S8_S8_EEEEZZNS1_27merge_sort_block_merge_implIS3_NS6_6detail15normal_iteratorINS6_10device_ptrIjEEEENSD_INSE_IS9_EEEEjNS1_19radix_merge_compareILb0ELb1EjNS0_19identity_decomposerEEEEE10hipError_tT0_T1_T2_jT3_P12ihipStream_tbPNSt15iterator_traitsISN_E10value_typeEPNST_ISO_E10value_typeEPSP_NS1_7vsmem_tEENKUlT_SN_SO_SP_E_clIPjSG_PS9_SI_EESM_S12_SN_SO_SP_EUlS12_E_NS1_11comp_targetILNS1_3genE5ELNS1_11target_archE942ELNS1_3gpuE9ELNS1_3repE0EEENS1_48merge_mergepath_partition_config_static_selectorELNS0_4arch9wavefront6targetE0EEEvSO_
    .private_segment_fixed_size: 0
    .sgpr_count:     0
    .sgpr_spill_count: 0
    .symbol:         _ZN7rocprim17ROCPRIM_400000_NS6detail17trampoline_kernelINS0_14default_configENS1_38merge_sort_block_merge_config_selectorIjN6thrust23THRUST_200600_302600_NS5tupleIffNS6_9null_typeES8_S8_S8_S8_S8_S8_S8_EEEEZZNS1_27merge_sort_block_merge_implIS3_NS6_6detail15normal_iteratorINS6_10device_ptrIjEEEENSD_INSE_IS9_EEEEjNS1_19radix_merge_compareILb0ELb1EjNS0_19identity_decomposerEEEEE10hipError_tT0_T1_T2_jT3_P12ihipStream_tbPNSt15iterator_traitsISN_E10value_typeEPNST_ISO_E10value_typeEPSP_NS1_7vsmem_tEENKUlT_SN_SO_SP_E_clIPjSG_PS9_SI_EESM_S12_SN_SO_SP_EUlS12_E_NS1_11comp_targetILNS1_3genE5ELNS1_11target_archE942ELNS1_3gpuE9ELNS1_3repE0EEENS1_48merge_mergepath_partition_config_static_selectorELNS0_4arch9wavefront6targetE0EEEvSO_.kd
    .uniform_work_group_size: 1
    .uses_dynamic_stack: false
    .vgpr_count:     0
    .vgpr_spill_count: 0
    .wavefront_size: 32
  - .args:
      - .offset:         0
        .size:           40
        .value_kind:     by_value
    .group_segment_fixed_size: 0
    .kernarg_segment_align: 8
    .kernarg_segment_size: 40
    .language:       OpenCL C
    .language_version:
      - 2
      - 0
    .max_flat_workgroup_size: 128
    .name:           _ZN7rocprim17ROCPRIM_400000_NS6detail17trampoline_kernelINS0_14default_configENS1_38merge_sort_block_merge_config_selectorIjN6thrust23THRUST_200600_302600_NS5tupleIffNS6_9null_typeES8_S8_S8_S8_S8_S8_S8_EEEEZZNS1_27merge_sort_block_merge_implIS3_NS6_6detail15normal_iteratorINS6_10device_ptrIjEEEENSD_INSE_IS9_EEEEjNS1_19radix_merge_compareILb0ELb1EjNS0_19identity_decomposerEEEEE10hipError_tT0_T1_T2_jT3_P12ihipStream_tbPNSt15iterator_traitsISN_E10value_typeEPNST_ISO_E10value_typeEPSP_NS1_7vsmem_tEENKUlT_SN_SO_SP_E_clIPjSG_PS9_SI_EESM_S12_SN_SO_SP_EUlS12_E_NS1_11comp_targetILNS1_3genE4ELNS1_11target_archE910ELNS1_3gpuE8ELNS1_3repE0EEENS1_48merge_mergepath_partition_config_static_selectorELNS0_4arch9wavefront6targetE0EEEvSO_
    .private_segment_fixed_size: 0
    .sgpr_count:     0
    .sgpr_spill_count: 0
    .symbol:         _ZN7rocprim17ROCPRIM_400000_NS6detail17trampoline_kernelINS0_14default_configENS1_38merge_sort_block_merge_config_selectorIjN6thrust23THRUST_200600_302600_NS5tupleIffNS6_9null_typeES8_S8_S8_S8_S8_S8_S8_EEEEZZNS1_27merge_sort_block_merge_implIS3_NS6_6detail15normal_iteratorINS6_10device_ptrIjEEEENSD_INSE_IS9_EEEEjNS1_19radix_merge_compareILb0ELb1EjNS0_19identity_decomposerEEEEE10hipError_tT0_T1_T2_jT3_P12ihipStream_tbPNSt15iterator_traitsISN_E10value_typeEPNST_ISO_E10value_typeEPSP_NS1_7vsmem_tEENKUlT_SN_SO_SP_E_clIPjSG_PS9_SI_EESM_S12_SN_SO_SP_EUlS12_E_NS1_11comp_targetILNS1_3genE4ELNS1_11target_archE910ELNS1_3gpuE8ELNS1_3repE0EEENS1_48merge_mergepath_partition_config_static_selectorELNS0_4arch9wavefront6targetE0EEEvSO_.kd
    .uniform_work_group_size: 1
    .uses_dynamic_stack: false
    .vgpr_count:     0
    .vgpr_spill_count: 0
    .wavefront_size: 32
  - .args:
      - .offset:         0
        .size:           40
        .value_kind:     by_value
    .group_segment_fixed_size: 0
    .kernarg_segment_align: 8
    .kernarg_segment_size: 40
    .language:       OpenCL C
    .language_version:
      - 2
      - 0
    .max_flat_workgroup_size: 128
    .name:           _ZN7rocprim17ROCPRIM_400000_NS6detail17trampoline_kernelINS0_14default_configENS1_38merge_sort_block_merge_config_selectorIjN6thrust23THRUST_200600_302600_NS5tupleIffNS6_9null_typeES8_S8_S8_S8_S8_S8_S8_EEEEZZNS1_27merge_sort_block_merge_implIS3_NS6_6detail15normal_iteratorINS6_10device_ptrIjEEEENSD_INSE_IS9_EEEEjNS1_19radix_merge_compareILb0ELb1EjNS0_19identity_decomposerEEEEE10hipError_tT0_T1_T2_jT3_P12ihipStream_tbPNSt15iterator_traitsISN_E10value_typeEPNST_ISO_E10value_typeEPSP_NS1_7vsmem_tEENKUlT_SN_SO_SP_E_clIPjSG_PS9_SI_EESM_S12_SN_SO_SP_EUlS12_E_NS1_11comp_targetILNS1_3genE3ELNS1_11target_archE908ELNS1_3gpuE7ELNS1_3repE0EEENS1_48merge_mergepath_partition_config_static_selectorELNS0_4arch9wavefront6targetE0EEEvSO_
    .private_segment_fixed_size: 0
    .sgpr_count:     0
    .sgpr_spill_count: 0
    .symbol:         _ZN7rocprim17ROCPRIM_400000_NS6detail17trampoline_kernelINS0_14default_configENS1_38merge_sort_block_merge_config_selectorIjN6thrust23THRUST_200600_302600_NS5tupleIffNS6_9null_typeES8_S8_S8_S8_S8_S8_S8_EEEEZZNS1_27merge_sort_block_merge_implIS3_NS6_6detail15normal_iteratorINS6_10device_ptrIjEEEENSD_INSE_IS9_EEEEjNS1_19radix_merge_compareILb0ELb1EjNS0_19identity_decomposerEEEEE10hipError_tT0_T1_T2_jT3_P12ihipStream_tbPNSt15iterator_traitsISN_E10value_typeEPNST_ISO_E10value_typeEPSP_NS1_7vsmem_tEENKUlT_SN_SO_SP_E_clIPjSG_PS9_SI_EESM_S12_SN_SO_SP_EUlS12_E_NS1_11comp_targetILNS1_3genE3ELNS1_11target_archE908ELNS1_3gpuE7ELNS1_3repE0EEENS1_48merge_mergepath_partition_config_static_selectorELNS0_4arch9wavefront6targetE0EEEvSO_.kd
    .uniform_work_group_size: 1
    .uses_dynamic_stack: false
    .vgpr_count:     0
    .vgpr_spill_count: 0
    .wavefront_size: 32
  - .args:
      - .offset:         0
        .size:           40
        .value_kind:     by_value
    .group_segment_fixed_size: 0
    .kernarg_segment_align: 8
    .kernarg_segment_size: 40
    .language:       OpenCL C
    .language_version:
      - 2
      - 0
    .max_flat_workgroup_size: 128
    .name:           _ZN7rocprim17ROCPRIM_400000_NS6detail17trampoline_kernelINS0_14default_configENS1_38merge_sort_block_merge_config_selectorIjN6thrust23THRUST_200600_302600_NS5tupleIffNS6_9null_typeES8_S8_S8_S8_S8_S8_S8_EEEEZZNS1_27merge_sort_block_merge_implIS3_NS6_6detail15normal_iteratorINS6_10device_ptrIjEEEENSD_INSE_IS9_EEEEjNS1_19radix_merge_compareILb0ELb1EjNS0_19identity_decomposerEEEEE10hipError_tT0_T1_T2_jT3_P12ihipStream_tbPNSt15iterator_traitsISN_E10value_typeEPNST_ISO_E10value_typeEPSP_NS1_7vsmem_tEENKUlT_SN_SO_SP_E_clIPjSG_PS9_SI_EESM_S12_SN_SO_SP_EUlS12_E_NS1_11comp_targetILNS1_3genE2ELNS1_11target_archE906ELNS1_3gpuE6ELNS1_3repE0EEENS1_48merge_mergepath_partition_config_static_selectorELNS0_4arch9wavefront6targetE0EEEvSO_
    .private_segment_fixed_size: 0
    .sgpr_count:     0
    .sgpr_spill_count: 0
    .symbol:         _ZN7rocprim17ROCPRIM_400000_NS6detail17trampoline_kernelINS0_14default_configENS1_38merge_sort_block_merge_config_selectorIjN6thrust23THRUST_200600_302600_NS5tupleIffNS6_9null_typeES8_S8_S8_S8_S8_S8_S8_EEEEZZNS1_27merge_sort_block_merge_implIS3_NS6_6detail15normal_iteratorINS6_10device_ptrIjEEEENSD_INSE_IS9_EEEEjNS1_19radix_merge_compareILb0ELb1EjNS0_19identity_decomposerEEEEE10hipError_tT0_T1_T2_jT3_P12ihipStream_tbPNSt15iterator_traitsISN_E10value_typeEPNST_ISO_E10value_typeEPSP_NS1_7vsmem_tEENKUlT_SN_SO_SP_E_clIPjSG_PS9_SI_EESM_S12_SN_SO_SP_EUlS12_E_NS1_11comp_targetILNS1_3genE2ELNS1_11target_archE906ELNS1_3gpuE6ELNS1_3repE0EEENS1_48merge_mergepath_partition_config_static_selectorELNS0_4arch9wavefront6targetE0EEEvSO_.kd
    .uniform_work_group_size: 1
    .uses_dynamic_stack: false
    .vgpr_count:     0
    .vgpr_spill_count: 0
    .wavefront_size: 32
  - .args:
      - .offset:         0
        .size:           40
        .value_kind:     by_value
    .group_segment_fixed_size: 0
    .kernarg_segment_align: 8
    .kernarg_segment_size: 40
    .language:       OpenCL C
    .language_version:
      - 2
      - 0
    .max_flat_workgroup_size: 128
    .name:           _ZN7rocprim17ROCPRIM_400000_NS6detail17trampoline_kernelINS0_14default_configENS1_38merge_sort_block_merge_config_selectorIjN6thrust23THRUST_200600_302600_NS5tupleIffNS6_9null_typeES8_S8_S8_S8_S8_S8_S8_EEEEZZNS1_27merge_sort_block_merge_implIS3_NS6_6detail15normal_iteratorINS6_10device_ptrIjEEEENSD_INSE_IS9_EEEEjNS1_19radix_merge_compareILb0ELb1EjNS0_19identity_decomposerEEEEE10hipError_tT0_T1_T2_jT3_P12ihipStream_tbPNSt15iterator_traitsISN_E10value_typeEPNST_ISO_E10value_typeEPSP_NS1_7vsmem_tEENKUlT_SN_SO_SP_E_clIPjSG_PS9_SI_EESM_S12_SN_SO_SP_EUlS12_E_NS1_11comp_targetILNS1_3genE9ELNS1_11target_archE1100ELNS1_3gpuE3ELNS1_3repE0EEENS1_48merge_mergepath_partition_config_static_selectorELNS0_4arch9wavefront6targetE0EEEvSO_
    .private_segment_fixed_size: 0
    .sgpr_count:     0
    .sgpr_spill_count: 0
    .symbol:         _ZN7rocprim17ROCPRIM_400000_NS6detail17trampoline_kernelINS0_14default_configENS1_38merge_sort_block_merge_config_selectorIjN6thrust23THRUST_200600_302600_NS5tupleIffNS6_9null_typeES8_S8_S8_S8_S8_S8_S8_EEEEZZNS1_27merge_sort_block_merge_implIS3_NS6_6detail15normal_iteratorINS6_10device_ptrIjEEEENSD_INSE_IS9_EEEEjNS1_19radix_merge_compareILb0ELb1EjNS0_19identity_decomposerEEEEE10hipError_tT0_T1_T2_jT3_P12ihipStream_tbPNSt15iterator_traitsISN_E10value_typeEPNST_ISO_E10value_typeEPSP_NS1_7vsmem_tEENKUlT_SN_SO_SP_E_clIPjSG_PS9_SI_EESM_S12_SN_SO_SP_EUlS12_E_NS1_11comp_targetILNS1_3genE9ELNS1_11target_archE1100ELNS1_3gpuE3ELNS1_3repE0EEENS1_48merge_mergepath_partition_config_static_selectorELNS0_4arch9wavefront6targetE0EEEvSO_.kd
    .uniform_work_group_size: 1
    .uses_dynamic_stack: false
    .vgpr_count:     0
    .vgpr_spill_count: 0
    .wavefront_size: 32
  - .args:
      - .offset:         0
        .size:           40
        .value_kind:     by_value
    .group_segment_fixed_size: 0
    .kernarg_segment_align: 8
    .kernarg_segment_size: 40
    .language:       OpenCL C
    .language_version:
      - 2
      - 0
    .max_flat_workgroup_size: 128
    .name:           _ZN7rocprim17ROCPRIM_400000_NS6detail17trampoline_kernelINS0_14default_configENS1_38merge_sort_block_merge_config_selectorIjN6thrust23THRUST_200600_302600_NS5tupleIffNS6_9null_typeES8_S8_S8_S8_S8_S8_S8_EEEEZZNS1_27merge_sort_block_merge_implIS3_NS6_6detail15normal_iteratorINS6_10device_ptrIjEEEENSD_INSE_IS9_EEEEjNS1_19radix_merge_compareILb0ELb1EjNS0_19identity_decomposerEEEEE10hipError_tT0_T1_T2_jT3_P12ihipStream_tbPNSt15iterator_traitsISN_E10value_typeEPNST_ISO_E10value_typeEPSP_NS1_7vsmem_tEENKUlT_SN_SO_SP_E_clIPjSG_PS9_SI_EESM_S12_SN_SO_SP_EUlS12_E_NS1_11comp_targetILNS1_3genE8ELNS1_11target_archE1030ELNS1_3gpuE2ELNS1_3repE0EEENS1_48merge_mergepath_partition_config_static_selectorELNS0_4arch9wavefront6targetE0EEEvSO_
    .private_segment_fixed_size: 0
    .sgpr_count:     0
    .sgpr_spill_count: 0
    .symbol:         _ZN7rocprim17ROCPRIM_400000_NS6detail17trampoline_kernelINS0_14default_configENS1_38merge_sort_block_merge_config_selectorIjN6thrust23THRUST_200600_302600_NS5tupleIffNS6_9null_typeES8_S8_S8_S8_S8_S8_S8_EEEEZZNS1_27merge_sort_block_merge_implIS3_NS6_6detail15normal_iteratorINS6_10device_ptrIjEEEENSD_INSE_IS9_EEEEjNS1_19radix_merge_compareILb0ELb1EjNS0_19identity_decomposerEEEEE10hipError_tT0_T1_T2_jT3_P12ihipStream_tbPNSt15iterator_traitsISN_E10value_typeEPNST_ISO_E10value_typeEPSP_NS1_7vsmem_tEENKUlT_SN_SO_SP_E_clIPjSG_PS9_SI_EESM_S12_SN_SO_SP_EUlS12_E_NS1_11comp_targetILNS1_3genE8ELNS1_11target_archE1030ELNS1_3gpuE2ELNS1_3repE0EEENS1_48merge_mergepath_partition_config_static_selectorELNS0_4arch9wavefront6targetE0EEEvSO_.kd
    .uniform_work_group_size: 1
    .uses_dynamic_stack: false
    .vgpr_count:     0
    .vgpr_spill_count: 0
    .wavefront_size: 32
  - .args:
      - .offset:         0
        .size:           64
        .value_kind:     by_value
      - .offset:         64
        .size:           4
        .value_kind:     hidden_block_count_x
      - .offset:         68
        .size:           4
        .value_kind:     hidden_block_count_y
      - .offset:         72
        .size:           4
        .value_kind:     hidden_block_count_z
      - .offset:         76
        .size:           2
        .value_kind:     hidden_group_size_x
      - .offset:         78
        .size:           2
        .value_kind:     hidden_group_size_y
      - .offset:         80
        .size:           2
        .value_kind:     hidden_group_size_z
      - .offset:         82
        .size:           2
        .value_kind:     hidden_remainder_x
      - .offset:         84
        .size:           2
        .value_kind:     hidden_remainder_y
      - .offset:         86
        .size:           2
        .value_kind:     hidden_remainder_z
      - .offset:         104
        .size:           8
        .value_kind:     hidden_global_offset_x
      - .offset:         112
        .size:           8
        .value_kind:     hidden_global_offset_y
      - .offset:         120
        .size:           8
        .value_kind:     hidden_global_offset_z
      - .offset:         128
        .size:           2
        .value_kind:     hidden_grid_dims
    .group_segment_fixed_size: 8448
    .kernarg_segment_align: 8
    .kernarg_segment_size: 320
    .language:       OpenCL C
    .language_version:
      - 2
      - 0
    .max_flat_workgroup_size: 512
    .name:           _ZN7rocprim17ROCPRIM_400000_NS6detail17trampoline_kernelINS0_14default_configENS1_38merge_sort_block_merge_config_selectorIjN6thrust23THRUST_200600_302600_NS5tupleIffNS6_9null_typeES8_S8_S8_S8_S8_S8_S8_EEEEZZNS1_27merge_sort_block_merge_implIS3_NS6_6detail15normal_iteratorINS6_10device_ptrIjEEEENSD_INSE_IS9_EEEEjNS1_19radix_merge_compareILb0ELb1EjNS0_19identity_decomposerEEEEE10hipError_tT0_T1_T2_jT3_P12ihipStream_tbPNSt15iterator_traitsISN_E10value_typeEPNST_ISO_E10value_typeEPSP_NS1_7vsmem_tEENKUlT_SN_SO_SP_E_clIPjSG_PS9_SI_EESM_S12_SN_SO_SP_EUlS12_E0_NS1_11comp_targetILNS1_3genE0ELNS1_11target_archE4294967295ELNS1_3gpuE0ELNS1_3repE0EEENS1_38merge_mergepath_config_static_selectorELNS0_4arch9wavefront6targetE0EEEvSO_
    .private_segment_fixed_size: 0
    .sgpr_count:     34
    .sgpr_spill_count: 0
    .symbol:         _ZN7rocprim17ROCPRIM_400000_NS6detail17trampoline_kernelINS0_14default_configENS1_38merge_sort_block_merge_config_selectorIjN6thrust23THRUST_200600_302600_NS5tupleIffNS6_9null_typeES8_S8_S8_S8_S8_S8_S8_EEEEZZNS1_27merge_sort_block_merge_implIS3_NS6_6detail15normal_iteratorINS6_10device_ptrIjEEEENSD_INSE_IS9_EEEEjNS1_19radix_merge_compareILb0ELb1EjNS0_19identity_decomposerEEEEE10hipError_tT0_T1_T2_jT3_P12ihipStream_tbPNSt15iterator_traitsISN_E10value_typeEPNST_ISO_E10value_typeEPSP_NS1_7vsmem_tEENKUlT_SN_SO_SP_E_clIPjSG_PS9_SI_EESM_S12_SN_SO_SP_EUlS12_E0_NS1_11comp_targetILNS1_3genE0ELNS1_11target_archE4294967295ELNS1_3gpuE0ELNS1_3repE0EEENS1_38merge_mergepath_config_static_selectorELNS0_4arch9wavefront6targetE0EEEvSO_.kd
    .uniform_work_group_size: 1
    .uses_dynamic_stack: false
    .vgpr_count:     18
    .vgpr_spill_count: 0
    .wavefront_size: 32
  - .args:
      - .offset:         0
        .size:           64
        .value_kind:     by_value
    .group_segment_fixed_size: 0
    .kernarg_segment_align: 8
    .kernarg_segment_size: 64
    .language:       OpenCL C
    .language_version:
      - 2
      - 0
    .max_flat_workgroup_size: 512
    .name:           _ZN7rocprim17ROCPRIM_400000_NS6detail17trampoline_kernelINS0_14default_configENS1_38merge_sort_block_merge_config_selectorIjN6thrust23THRUST_200600_302600_NS5tupleIffNS6_9null_typeES8_S8_S8_S8_S8_S8_S8_EEEEZZNS1_27merge_sort_block_merge_implIS3_NS6_6detail15normal_iteratorINS6_10device_ptrIjEEEENSD_INSE_IS9_EEEEjNS1_19radix_merge_compareILb0ELb1EjNS0_19identity_decomposerEEEEE10hipError_tT0_T1_T2_jT3_P12ihipStream_tbPNSt15iterator_traitsISN_E10value_typeEPNST_ISO_E10value_typeEPSP_NS1_7vsmem_tEENKUlT_SN_SO_SP_E_clIPjSG_PS9_SI_EESM_S12_SN_SO_SP_EUlS12_E0_NS1_11comp_targetILNS1_3genE10ELNS1_11target_archE1201ELNS1_3gpuE5ELNS1_3repE0EEENS1_38merge_mergepath_config_static_selectorELNS0_4arch9wavefront6targetE0EEEvSO_
    .private_segment_fixed_size: 0
    .sgpr_count:     0
    .sgpr_spill_count: 0
    .symbol:         _ZN7rocprim17ROCPRIM_400000_NS6detail17trampoline_kernelINS0_14default_configENS1_38merge_sort_block_merge_config_selectorIjN6thrust23THRUST_200600_302600_NS5tupleIffNS6_9null_typeES8_S8_S8_S8_S8_S8_S8_EEEEZZNS1_27merge_sort_block_merge_implIS3_NS6_6detail15normal_iteratorINS6_10device_ptrIjEEEENSD_INSE_IS9_EEEEjNS1_19radix_merge_compareILb0ELb1EjNS0_19identity_decomposerEEEEE10hipError_tT0_T1_T2_jT3_P12ihipStream_tbPNSt15iterator_traitsISN_E10value_typeEPNST_ISO_E10value_typeEPSP_NS1_7vsmem_tEENKUlT_SN_SO_SP_E_clIPjSG_PS9_SI_EESM_S12_SN_SO_SP_EUlS12_E0_NS1_11comp_targetILNS1_3genE10ELNS1_11target_archE1201ELNS1_3gpuE5ELNS1_3repE0EEENS1_38merge_mergepath_config_static_selectorELNS0_4arch9wavefront6targetE0EEEvSO_.kd
    .uniform_work_group_size: 1
    .uses_dynamic_stack: false
    .vgpr_count:     0
    .vgpr_spill_count: 0
    .wavefront_size: 32
  - .args:
      - .offset:         0
        .size:           64
        .value_kind:     by_value
    .group_segment_fixed_size: 0
    .kernarg_segment_align: 8
    .kernarg_segment_size: 64
    .language:       OpenCL C
    .language_version:
      - 2
      - 0
    .max_flat_workgroup_size: 256
    .name:           _ZN7rocprim17ROCPRIM_400000_NS6detail17trampoline_kernelINS0_14default_configENS1_38merge_sort_block_merge_config_selectorIjN6thrust23THRUST_200600_302600_NS5tupleIffNS6_9null_typeES8_S8_S8_S8_S8_S8_S8_EEEEZZNS1_27merge_sort_block_merge_implIS3_NS6_6detail15normal_iteratorINS6_10device_ptrIjEEEENSD_INSE_IS9_EEEEjNS1_19radix_merge_compareILb0ELb1EjNS0_19identity_decomposerEEEEE10hipError_tT0_T1_T2_jT3_P12ihipStream_tbPNSt15iterator_traitsISN_E10value_typeEPNST_ISO_E10value_typeEPSP_NS1_7vsmem_tEENKUlT_SN_SO_SP_E_clIPjSG_PS9_SI_EESM_S12_SN_SO_SP_EUlS12_E0_NS1_11comp_targetILNS1_3genE5ELNS1_11target_archE942ELNS1_3gpuE9ELNS1_3repE0EEENS1_38merge_mergepath_config_static_selectorELNS0_4arch9wavefront6targetE0EEEvSO_
    .private_segment_fixed_size: 0
    .sgpr_count:     0
    .sgpr_spill_count: 0
    .symbol:         _ZN7rocprim17ROCPRIM_400000_NS6detail17trampoline_kernelINS0_14default_configENS1_38merge_sort_block_merge_config_selectorIjN6thrust23THRUST_200600_302600_NS5tupleIffNS6_9null_typeES8_S8_S8_S8_S8_S8_S8_EEEEZZNS1_27merge_sort_block_merge_implIS3_NS6_6detail15normal_iteratorINS6_10device_ptrIjEEEENSD_INSE_IS9_EEEEjNS1_19radix_merge_compareILb0ELb1EjNS0_19identity_decomposerEEEEE10hipError_tT0_T1_T2_jT3_P12ihipStream_tbPNSt15iterator_traitsISN_E10value_typeEPNST_ISO_E10value_typeEPSP_NS1_7vsmem_tEENKUlT_SN_SO_SP_E_clIPjSG_PS9_SI_EESM_S12_SN_SO_SP_EUlS12_E0_NS1_11comp_targetILNS1_3genE5ELNS1_11target_archE942ELNS1_3gpuE9ELNS1_3repE0EEENS1_38merge_mergepath_config_static_selectorELNS0_4arch9wavefront6targetE0EEEvSO_.kd
    .uniform_work_group_size: 1
    .uses_dynamic_stack: false
    .vgpr_count:     0
    .vgpr_spill_count: 0
    .wavefront_size: 32
  - .args:
      - .offset:         0
        .size:           64
        .value_kind:     by_value
    .group_segment_fixed_size: 0
    .kernarg_segment_align: 8
    .kernarg_segment_size: 64
    .language:       OpenCL C
    .language_version:
      - 2
      - 0
    .max_flat_workgroup_size: 256
    .name:           _ZN7rocprim17ROCPRIM_400000_NS6detail17trampoline_kernelINS0_14default_configENS1_38merge_sort_block_merge_config_selectorIjN6thrust23THRUST_200600_302600_NS5tupleIffNS6_9null_typeES8_S8_S8_S8_S8_S8_S8_EEEEZZNS1_27merge_sort_block_merge_implIS3_NS6_6detail15normal_iteratorINS6_10device_ptrIjEEEENSD_INSE_IS9_EEEEjNS1_19radix_merge_compareILb0ELb1EjNS0_19identity_decomposerEEEEE10hipError_tT0_T1_T2_jT3_P12ihipStream_tbPNSt15iterator_traitsISN_E10value_typeEPNST_ISO_E10value_typeEPSP_NS1_7vsmem_tEENKUlT_SN_SO_SP_E_clIPjSG_PS9_SI_EESM_S12_SN_SO_SP_EUlS12_E0_NS1_11comp_targetILNS1_3genE4ELNS1_11target_archE910ELNS1_3gpuE8ELNS1_3repE0EEENS1_38merge_mergepath_config_static_selectorELNS0_4arch9wavefront6targetE0EEEvSO_
    .private_segment_fixed_size: 0
    .sgpr_count:     0
    .sgpr_spill_count: 0
    .symbol:         _ZN7rocprim17ROCPRIM_400000_NS6detail17trampoline_kernelINS0_14default_configENS1_38merge_sort_block_merge_config_selectorIjN6thrust23THRUST_200600_302600_NS5tupleIffNS6_9null_typeES8_S8_S8_S8_S8_S8_S8_EEEEZZNS1_27merge_sort_block_merge_implIS3_NS6_6detail15normal_iteratorINS6_10device_ptrIjEEEENSD_INSE_IS9_EEEEjNS1_19radix_merge_compareILb0ELb1EjNS0_19identity_decomposerEEEEE10hipError_tT0_T1_T2_jT3_P12ihipStream_tbPNSt15iterator_traitsISN_E10value_typeEPNST_ISO_E10value_typeEPSP_NS1_7vsmem_tEENKUlT_SN_SO_SP_E_clIPjSG_PS9_SI_EESM_S12_SN_SO_SP_EUlS12_E0_NS1_11comp_targetILNS1_3genE4ELNS1_11target_archE910ELNS1_3gpuE8ELNS1_3repE0EEENS1_38merge_mergepath_config_static_selectorELNS0_4arch9wavefront6targetE0EEEvSO_.kd
    .uniform_work_group_size: 1
    .uses_dynamic_stack: false
    .vgpr_count:     0
    .vgpr_spill_count: 0
    .wavefront_size: 32
  - .args:
      - .offset:         0
        .size:           64
        .value_kind:     by_value
    .group_segment_fixed_size: 0
    .kernarg_segment_align: 8
    .kernarg_segment_size: 64
    .language:       OpenCL C
    .language_version:
      - 2
      - 0
    .max_flat_workgroup_size: 512
    .name:           _ZN7rocprim17ROCPRIM_400000_NS6detail17trampoline_kernelINS0_14default_configENS1_38merge_sort_block_merge_config_selectorIjN6thrust23THRUST_200600_302600_NS5tupleIffNS6_9null_typeES8_S8_S8_S8_S8_S8_S8_EEEEZZNS1_27merge_sort_block_merge_implIS3_NS6_6detail15normal_iteratorINS6_10device_ptrIjEEEENSD_INSE_IS9_EEEEjNS1_19radix_merge_compareILb0ELb1EjNS0_19identity_decomposerEEEEE10hipError_tT0_T1_T2_jT3_P12ihipStream_tbPNSt15iterator_traitsISN_E10value_typeEPNST_ISO_E10value_typeEPSP_NS1_7vsmem_tEENKUlT_SN_SO_SP_E_clIPjSG_PS9_SI_EESM_S12_SN_SO_SP_EUlS12_E0_NS1_11comp_targetILNS1_3genE3ELNS1_11target_archE908ELNS1_3gpuE7ELNS1_3repE0EEENS1_38merge_mergepath_config_static_selectorELNS0_4arch9wavefront6targetE0EEEvSO_
    .private_segment_fixed_size: 0
    .sgpr_count:     0
    .sgpr_spill_count: 0
    .symbol:         _ZN7rocprim17ROCPRIM_400000_NS6detail17trampoline_kernelINS0_14default_configENS1_38merge_sort_block_merge_config_selectorIjN6thrust23THRUST_200600_302600_NS5tupleIffNS6_9null_typeES8_S8_S8_S8_S8_S8_S8_EEEEZZNS1_27merge_sort_block_merge_implIS3_NS6_6detail15normal_iteratorINS6_10device_ptrIjEEEENSD_INSE_IS9_EEEEjNS1_19radix_merge_compareILb0ELb1EjNS0_19identity_decomposerEEEEE10hipError_tT0_T1_T2_jT3_P12ihipStream_tbPNSt15iterator_traitsISN_E10value_typeEPNST_ISO_E10value_typeEPSP_NS1_7vsmem_tEENKUlT_SN_SO_SP_E_clIPjSG_PS9_SI_EESM_S12_SN_SO_SP_EUlS12_E0_NS1_11comp_targetILNS1_3genE3ELNS1_11target_archE908ELNS1_3gpuE7ELNS1_3repE0EEENS1_38merge_mergepath_config_static_selectorELNS0_4arch9wavefront6targetE0EEEvSO_.kd
    .uniform_work_group_size: 1
    .uses_dynamic_stack: false
    .vgpr_count:     0
    .vgpr_spill_count: 0
    .wavefront_size: 32
  - .args:
      - .offset:         0
        .size:           64
        .value_kind:     by_value
    .group_segment_fixed_size: 0
    .kernarg_segment_align: 8
    .kernarg_segment_size: 64
    .language:       OpenCL C
    .language_version:
      - 2
      - 0
    .max_flat_workgroup_size: 256
    .name:           _ZN7rocprim17ROCPRIM_400000_NS6detail17trampoline_kernelINS0_14default_configENS1_38merge_sort_block_merge_config_selectorIjN6thrust23THRUST_200600_302600_NS5tupleIffNS6_9null_typeES8_S8_S8_S8_S8_S8_S8_EEEEZZNS1_27merge_sort_block_merge_implIS3_NS6_6detail15normal_iteratorINS6_10device_ptrIjEEEENSD_INSE_IS9_EEEEjNS1_19radix_merge_compareILb0ELb1EjNS0_19identity_decomposerEEEEE10hipError_tT0_T1_T2_jT3_P12ihipStream_tbPNSt15iterator_traitsISN_E10value_typeEPNST_ISO_E10value_typeEPSP_NS1_7vsmem_tEENKUlT_SN_SO_SP_E_clIPjSG_PS9_SI_EESM_S12_SN_SO_SP_EUlS12_E0_NS1_11comp_targetILNS1_3genE2ELNS1_11target_archE906ELNS1_3gpuE6ELNS1_3repE0EEENS1_38merge_mergepath_config_static_selectorELNS0_4arch9wavefront6targetE0EEEvSO_
    .private_segment_fixed_size: 0
    .sgpr_count:     0
    .sgpr_spill_count: 0
    .symbol:         _ZN7rocprim17ROCPRIM_400000_NS6detail17trampoline_kernelINS0_14default_configENS1_38merge_sort_block_merge_config_selectorIjN6thrust23THRUST_200600_302600_NS5tupleIffNS6_9null_typeES8_S8_S8_S8_S8_S8_S8_EEEEZZNS1_27merge_sort_block_merge_implIS3_NS6_6detail15normal_iteratorINS6_10device_ptrIjEEEENSD_INSE_IS9_EEEEjNS1_19radix_merge_compareILb0ELb1EjNS0_19identity_decomposerEEEEE10hipError_tT0_T1_T2_jT3_P12ihipStream_tbPNSt15iterator_traitsISN_E10value_typeEPNST_ISO_E10value_typeEPSP_NS1_7vsmem_tEENKUlT_SN_SO_SP_E_clIPjSG_PS9_SI_EESM_S12_SN_SO_SP_EUlS12_E0_NS1_11comp_targetILNS1_3genE2ELNS1_11target_archE906ELNS1_3gpuE6ELNS1_3repE0EEENS1_38merge_mergepath_config_static_selectorELNS0_4arch9wavefront6targetE0EEEvSO_.kd
    .uniform_work_group_size: 1
    .uses_dynamic_stack: false
    .vgpr_count:     0
    .vgpr_spill_count: 0
    .wavefront_size: 32
  - .args:
      - .offset:         0
        .size:           64
        .value_kind:     by_value
    .group_segment_fixed_size: 0
    .kernarg_segment_align: 8
    .kernarg_segment_size: 64
    .language:       OpenCL C
    .language_version:
      - 2
      - 0
    .max_flat_workgroup_size: 512
    .name:           _ZN7rocprim17ROCPRIM_400000_NS6detail17trampoline_kernelINS0_14default_configENS1_38merge_sort_block_merge_config_selectorIjN6thrust23THRUST_200600_302600_NS5tupleIffNS6_9null_typeES8_S8_S8_S8_S8_S8_S8_EEEEZZNS1_27merge_sort_block_merge_implIS3_NS6_6detail15normal_iteratorINS6_10device_ptrIjEEEENSD_INSE_IS9_EEEEjNS1_19radix_merge_compareILb0ELb1EjNS0_19identity_decomposerEEEEE10hipError_tT0_T1_T2_jT3_P12ihipStream_tbPNSt15iterator_traitsISN_E10value_typeEPNST_ISO_E10value_typeEPSP_NS1_7vsmem_tEENKUlT_SN_SO_SP_E_clIPjSG_PS9_SI_EESM_S12_SN_SO_SP_EUlS12_E0_NS1_11comp_targetILNS1_3genE9ELNS1_11target_archE1100ELNS1_3gpuE3ELNS1_3repE0EEENS1_38merge_mergepath_config_static_selectorELNS0_4arch9wavefront6targetE0EEEvSO_
    .private_segment_fixed_size: 0
    .sgpr_count:     0
    .sgpr_spill_count: 0
    .symbol:         _ZN7rocprim17ROCPRIM_400000_NS6detail17trampoline_kernelINS0_14default_configENS1_38merge_sort_block_merge_config_selectorIjN6thrust23THRUST_200600_302600_NS5tupleIffNS6_9null_typeES8_S8_S8_S8_S8_S8_S8_EEEEZZNS1_27merge_sort_block_merge_implIS3_NS6_6detail15normal_iteratorINS6_10device_ptrIjEEEENSD_INSE_IS9_EEEEjNS1_19radix_merge_compareILb0ELb1EjNS0_19identity_decomposerEEEEE10hipError_tT0_T1_T2_jT3_P12ihipStream_tbPNSt15iterator_traitsISN_E10value_typeEPNST_ISO_E10value_typeEPSP_NS1_7vsmem_tEENKUlT_SN_SO_SP_E_clIPjSG_PS9_SI_EESM_S12_SN_SO_SP_EUlS12_E0_NS1_11comp_targetILNS1_3genE9ELNS1_11target_archE1100ELNS1_3gpuE3ELNS1_3repE0EEENS1_38merge_mergepath_config_static_selectorELNS0_4arch9wavefront6targetE0EEEvSO_.kd
    .uniform_work_group_size: 1
    .uses_dynamic_stack: false
    .vgpr_count:     0
    .vgpr_spill_count: 0
    .wavefront_size: 32
  - .args:
      - .offset:         0
        .size:           64
        .value_kind:     by_value
    .group_segment_fixed_size: 0
    .kernarg_segment_align: 8
    .kernarg_segment_size: 64
    .language:       OpenCL C
    .language_version:
      - 2
      - 0
    .max_flat_workgroup_size: 1024
    .name:           _ZN7rocprim17ROCPRIM_400000_NS6detail17trampoline_kernelINS0_14default_configENS1_38merge_sort_block_merge_config_selectorIjN6thrust23THRUST_200600_302600_NS5tupleIffNS6_9null_typeES8_S8_S8_S8_S8_S8_S8_EEEEZZNS1_27merge_sort_block_merge_implIS3_NS6_6detail15normal_iteratorINS6_10device_ptrIjEEEENSD_INSE_IS9_EEEEjNS1_19radix_merge_compareILb0ELb1EjNS0_19identity_decomposerEEEEE10hipError_tT0_T1_T2_jT3_P12ihipStream_tbPNSt15iterator_traitsISN_E10value_typeEPNST_ISO_E10value_typeEPSP_NS1_7vsmem_tEENKUlT_SN_SO_SP_E_clIPjSG_PS9_SI_EESM_S12_SN_SO_SP_EUlS12_E0_NS1_11comp_targetILNS1_3genE8ELNS1_11target_archE1030ELNS1_3gpuE2ELNS1_3repE0EEENS1_38merge_mergepath_config_static_selectorELNS0_4arch9wavefront6targetE0EEEvSO_
    .private_segment_fixed_size: 0
    .sgpr_count:     0
    .sgpr_spill_count: 0
    .symbol:         _ZN7rocprim17ROCPRIM_400000_NS6detail17trampoline_kernelINS0_14default_configENS1_38merge_sort_block_merge_config_selectorIjN6thrust23THRUST_200600_302600_NS5tupleIffNS6_9null_typeES8_S8_S8_S8_S8_S8_S8_EEEEZZNS1_27merge_sort_block_merge_implIS3_NS6_6detail15normal_iteratorINS6_10device_ptrIjEEEENSD_INSE_IS9_EEEEjNS1_19radix_merge_compareILb0ELb1EjNS0_19identity_decomposerEEEEE10hipError_tT0_T1_T2_jT3_P12ihipStream_tbPNSt15iterator_traitsISN_E10value_typeEPNST_ISO_E10value_typeEPSP_NS1_7vsmem_tEENKUlT_SN_SO_SP_E_clIPjSG_PS9_SI_EESM_S12_SN_SO_SP_EUlS12_E0_NS1_11comp_targetILNS1_3genE8ELNS1_11target_archE1030ELNS1_3gpuE2ELNS1_3repE0EEENS1_38merge_mergepath_config_static_selectorELNS0_4arch9wavefront6targetE0EEEvSO_.kd
    .uniform_work_group_size: 1
    .uses_dynamic_stack: false
    .vgpr_count:     0
    .vgpr_spill_count: 0
    .wavefront_size: 32
  - .args:
      - .offset:         0
        .size:           48
        .value_kind:     by_value
    .group_segment_fixed_size: 0
    .kernarg_segment_align: 8
    .kernarg_segment_size: 48
    .language:       OpenCL C
    .language_version:
      - 2
      - 0
    .max_flat_workgroup_size: 256
    .name:           _ZN7rocprim17ROCPRIM_400000_NS6detail17trampoline_kernelINS0_14default_configENS1_38merge_sort_block_merge_config_selectorIjN6thrust23THRUST_200600_302600_NS5tupleIffNS6_9null_typeES8_S8_S8_S8_S8_S8_S8_EEEEZZNS1_27merge_sort_block_merge_implIS3_NS6_6detail15normal_iteratorINS6_10device_ptrIjEEEENSD_INSE_IS9_EEEEjNS1_19radix_merge_compareILb0ELb1EjNS0_19identity_decomposerEEEEE10hipError_tT0_T1_T2_jT3_P12ihipStream_tbPNSt15iterator_traitsISN_E10value_typeEPNST_ISO_E10value_typeEPSP_NS1_7vsmem_tEENKUlT_SN_SO_SP_E_clIPjSG_PS9_SI_EESM_S12_SN_SO_SP_EUlS12_E1_NS1_11comp_targetILNS1_3genE0ELNS1_11target_archE4294967295ELNS1_3gpuE0ELNS1_3repE0EEENS1_36merge_oddeven_config_static_selectorELNS0_4arch9wavefront6targetE0EEEvSO_
    .private_segment_fixed_size: 0
    .sgpr_count:     22
    .sgpr_spill_count: 0
    .symbol:         _ZN7rocprim17ROCPRIM_400000_NS6detail17trampoline_kernelINS0_14default_configENS1_38merge_sort_block_merge_config_selectorIjN6thrust23THRUST_200600_302600_NS5tupleIffNS6_9null_typeES8_S8_S8_S8_S8_S8_S8_EEEEZZNS1_27merge_sort_block_merge_implIS3_NS6_6detail15normal_iteratorINS6_10device_ptrIjEEEENSD_INSE_IS9_EEEEjNS1_19radix_merge_compareILb0ELb1EjNS0_19identity_decomposerEEEEE10hipError_tT0_T1_T2_jT3_P12ihipStream_tbPNSt15iterator_traitsISN_E10value_typeEPNST_ISO_E10value_typeEPSP_NS1_7vsmem_tEENKUlT_SN_SO_SP_E_clIPjSG_PS9_SI_EESM_S12_SN_SO_SP_EUlS12_E1_NS1_11comp_targetILNS1_3genE0ELNS1_11target_archE4294967295ELNS1_3gpuE0ELNS1_3repE0EEENS1_36merge_oddeven_config_static_selectorELNS0_4arch9wavefront6targetE0EEEvSO_.kd
    .uniform_work_group_size: 1
    .uses_dynamic_stack: false
    .vgpr_count:     10
    .vgpr_spill_count: 0
    .wavefront_size: 32
  - .args:
      - .offset:         0
        .size:           48
        .value_kind:     by_value
    .group_segment_fixed_size: 0
    .kernarg_segment_align: 8
    .kernarg_segment_size: 48
    .language:       OpenCL C
    .language_version:
      - 2
      - 0
    .max_flat_workgroup_size: 256
    .name:           _ZN7rocprim17ROCPRIM_400000_NS6detail17trampoline_kernelINS0_14default_configENS1_38merge_sort_block_merge_config_selectorIjN6thrust23THRUST_200600_302600_NS5tupleIffNS6_9null_typeES8_S8_S8_S8_S8_S8_S8_EEEEZZNS1_27merge_sort_block_merge_implIS3_NS6_6detail15normal_iteratorINS6_10device_ptrIjEEEENSD_INSE_IS9_EEEEjNS1_19radix_merge_compareILb0ELb1EjNS0_19identity_decomposerEEEEE10hipError_tT0_T1_T2_jT3_P12ihipStream_tbPNSt15iterator_traitsISN_E10value_typeEPNST_ISO_E10value_typeEPSP_NS1_7vsmem_tEENKUlT_SN_SO_SP_E_clIPjSG_PS9_SI_EESM_S12_SN_SO_SP_EUlS12_E1_NS1_11comp_targetILNS1_3genE10ELNS1_11target_archE1201ELNS1_3gpuE5ELNS1_3repE0EEENS1_36merge_oddeven_config_static_selectorELNS0_4arch9wavefront6targetE0EEEvSO_
    .private_segment_fixed_size: 0
    .sgpr_count:     0
    .sgpr_spill_count: 0
    .symbol:         _ZN7rocprim17ROCPRIM_400000_NS6detail17trampoline_kernelINS0_14default_configENS1_38merge_sort_block_merge_config_selectorIjN6thrust23THRUST_200600_302600_NS5tupleIffNS6_9null_typeES8_S8_S8_S8_S8_S8_S8_EEEEZZNS1_27merge_sort_block_merge_implIS3_NS6_6detail15normal_iteratorINS6_10device_ptrIjEEEENSD_INSE_IS9_EEEEjNS1_19radix_merge_compareILb0ELb1EjNS0_19identity_decomposerEEEEE10hipError_tT0_T1_T2_jT3_P12ihipStream_tbPNSt15iterator_traitsISN_E10value_typeEPNST_ISO_E10value_typeEPSP_NS1_7vsmem_tEENKUlT_SN_SO_SP_E_clIPjSG_PS9_SI_EESM_S12_SN_SO_SP_EUlS12_E1_NS1_11comp_targetILNS1_3genE10ELNS1_11target_archE1201ELNS1_3gpuE5ELNS1_3repE0EEENS1_36merge_oddeven_config_static_selectorELNS0_4arch9wavefront6targetE0EEEvSO_.kd
    .uniform_work_group_size: 1
    .uses_dynamic_stack: false
    .vgpr_count:     0
    .vgpr_spill_count: 0
    .wavefront_size: 32
  - .args:
      - .offset:         0
        .size:           48
        .value_kind:     by_value
    .group_segment_fixed_size: 0
    .kernarg_segment_align: 8
    .kernarg_segment_size: 48
    .language:       OpenCL C
    .language_version:
      - 2
      - 0
    .max_flat_workgroup_size: 256
    .name:           _ZN7rocprim17ROCPRIM_400000_NS6detail17trampoline_kernelINS0_14default_configENS1_38merge_sort_block_merge_config_selectorIjN6thrust23THRUST_200600_302600_NS5tupleIffNS6_9null_typeES8_S8_S8_S8_S8_S8_S8_EEEEZZNS1_27merge_sort_block_merge_implIS3_NS6_6detail15normal_iteratorINS6_10device_ptrIjEEEENSD_INSE_IS9_EEEEjNS1_19radix_merge_compareILb0ELb1EjNS0_19identity_decomposerEEEEE10hipError_tT0_T1_T2_jT3_P12ihipStream_tbPNSt15iterator_traitsISN_E10value_typeEPNST_ISO_E10value_typeEPSP_NS1_7vsmem_tEENKUlT_SN_SO_SP_E_clIPjSG_PS9_SI_EESM_S12_SN_SO_SP_EUlS12_E1_NS1_11comp_targetILNS1_3genE5ELNS1_11target_archE942ELNS1_3gpuE9ELNS1_3repE0EEENS1_36merge_oddeven_config_static_selectorELNS0_4arch9wavefront6targetE0EEEvSO_
    .private_segment_fixed_size: 0
    .sgpr_count:     0
    .sgpr_spill_count: 0
    .symbol:         _ZN7rocprim17ROCPRIM_400000_NS6detail17trampoline_kernelINS0_14default_configENS1_38merge_sort_block_merge_config_selectorIjN6thrust23THRUST_200600_302600_NS5tupleIffNS6_9null_typeES8_S8_S8_S8_S8_S8_S8_EEEEZZNS1_27merge_sort_block_merge_implIS3_NS6_6detail15normal_iteratorINS6_10device_ptrIjEEEENSD_INSE_IS9_EEEEjNS1_19radix_merge_compareILb0ELb1EjNS0_19identity_decomposerEEEEE10hipError_tT0_T1_T2_jT3_P12ihipStream_tbPNSt15iterator_traitsISN_E10value_typeEPNST_ISO_E10value_typeEPSP_NS1_7vsmem_tEENKUlT_SN_SO_SP_E_clIPjSG_PS9_SI_EESM_S12_SN_SO_SP_EUlS12_E1_NS1_11comp_targetILNS1_3genE5ELNS1_11target_archE942ELNS1_3gpuE9ELNS1_3repE0EEENS1_36merge_oddeven_config_static_selectorELNS0_4arch9wavefront6targetE0EEEvSO_.kd
    .uniform_work_group_size: 1
    .uses_dynamic_stack: false
    .vgpr_count:     0
    .vgpr_spill_count: 0
    .wavefront_size: 32
  - .args:
      - .offset:         0
        .size:           48
        .value_kind:     by_value
    .group_segment_fixed_size: 0
    .kernarg_segment_align: 8
    .kernarg_segment_size: 48
    .language:       OpenCL C
    .language_version:
      - 2
      - 0
    .max_flat_workgroup_size: 256
    .name:           _ZN7rocprim17ROCPRIM_400000_NS6detail17trampoline_kernelINS0_14default_configENS1_38merge_sort_block_merge_config_selectorIjN6thrust23THRUST_200600_302600_NS5tupleIffNS6_9null_typeES8_S8_S8_S8_S8_S8_S8_EEEEZZNS1_27merge_sort_block_merge_implIS3_NS6_6detail15normal_iteratorINS6_10device_ptrIjEEEENSD_INSE_IS9_EEEEjNS1_19radix_merge_compareILb0ELb1EjNS0_19identity_decomposerEEEEE10hipError_tT0_T1_T2_jT3_P12ihipStream_tbPNSt15iterator_traitsISN_E10value_typeEPNST_ISO_E10value_typeEPSP_NS1_7vsmem_tEENKUlT_SN_SO_SP_E_clIPjSG_PS9_SI_EESM_S12_SN_SO_SP_EUlS12_E1_NS1_11comp_targetILNS1_3genE4ELNS1_11target_archE910ELNS1_3gpuE8ELNS1_3repE0EEENS1_36merge_oddeven_config_static_selectorELNS0_4arch9wavefront6targetE0EEEvSO_
    .private_segment_fixed_size: 0
    .sgpr_count:     0
    .sgpr_spill_count: 0
    .symbol:         _ZN7rocprim17ROCPRIM_400000_NS6detail17trampoline_kernelINS0_14default_configENS1_38merge_sort_block_merge_config_selectorIjN6thrust23THRUST_200600_302600_NS5tupleIffNS6_9null_typeES8_S8_S8_S8_S8_S8_S8_EEEEZZNS1_27merge_sort_block_merge_implIS3_NS6_6detail15normal_iteratorINS6_10device_ptrIjEEEENSD_INSE_IS9_EEEEjNS1_19radix_merge_compareILb0ELb1EjNS0_19identity_decomposerEEEEE10hipError_tT0_T1_T2_jT3_P12ihipStream_tbPNSt15iterator_traitsISN_E10value_typeEPNST_ISO_E10value_typeEPSP_NS1_7vsmem_tEENKUlT_SN_SO_SP_E_clIPjSG_PS9_SI_EESM_S12_SN_SO_SP_EUlS12_E1_NS1_11comp_targetILNS1_3genE4ELNS1_11target_archE910ELNS1_3gpuE8ELNS1_3repE0EEENS1_36merge_oddeven_config_static_selectorELNS0_4arch9wavefront6targetE0EEEvSO_.kd
    .uniform_work_group_size: 1
    .uses_dynamic_stack: false
    .vgpr_count:     0
    .vgpr_spill_count: 0
    .wavefront_size: 32
  - .args:
      - .offset:         0
        .size:           48
        .value_kind:     by_value
    .group_segment_fixed_size: 0
    .kernarg_segment_align: 8
    .kernarg_segment_size: 48
    .language:       OpenCL C
    .language_version:
      - 2
      - 0
    .max_flat_workgroup_size: 256
    .name:           _ZN7rocprim17ROCPRIM_400000_NS6detail17trampoline_kernelINS0_14default_configENS1_38merge_sort_block_merge_config_selectorIjN6thrust23THRUST_200600_302600_NS5tupleIffNS6_9null_typeES8_S8_S8_S8_S8_S8_S8_EEEEZZNS1_27merge_sort_block_merge_implIS3_NS6_6detail15normal_iteratorINS6_10device_ptrIjEEEENSD_INSE_IS9_EEEEjNS1_19radix_merge_compareILb0ELb1EjNS0_19identity_decomposerEEEEE10hipError_tT0_T1_T2_jT3_P12ihipStream_tbPNSt15iterator_traitsISN_E10value_typeEPNST_ISO_E10value_typeEPSP_NS1_7vsmem_tEENKUlT_SN_SO_SP_E_clIPjSG_PS9_SI_EESM_S12_SN_SO_SP_EUlS12_E1_NS1_11comp_targetILNS1_3genE3ELNS1_11target_archE908ELNS1_3gpuE7ELNS1_3repE0EEENS1_36merge_oddeven_config_static_selectorELNS0_4arch9wavefront6targetE0EEEvSO_
    .private_segment_fixed_size: 0
    .sgpr_count:     0
    .sgpr_spill_count: 0
    .symbol:         _ZN7rocprim17ROCPRIM_400000_NS6detail17trampoline_kernelINS0_14default_configENS1_38merge_sort_block_merge_config_selectorIjN6thrust23THRUST_200600_302600_NS5tupleIffNS6_9null_typeES8_S8_S8_S8_S8_S8_S8_EEEEZZNS1_27merge_sort_block_merge_implIS3_NS6_6detail15normal_iteratorINS6_10device_ptrIjEEEENSD_INSE_IS9_EEEEjNS1_19radix_merge_compareILb0ELb1EjNS0_19identity_decomposerEEEEE10hipError_tT0_T1_T2_jT3_P12ihipStream_tbPNSt15iterator_traitsISN_E10value_typeEPNST_ISO_E10value_typeEPSP_NS1_7vsmem_tEENKUlT_SN_SO_SP_E_clIPjSG_PS9_SI_EESM_S12_SN_SO_SP_EUlS12_E1_NS1_11comp_targetILNS1_3genE3ELNS1_11target_archE908ELNS1_3gpuE7ELNS1_3repE0EEENS1_36merge_oddeven_config_static_selectorELNS0_4arch9wavefront6targetE0EEEvSO_.kd
    .uniform_work_group_size: 1
    .uses_dynamic_stack: false
    .vgpr_count:     0
    .vgpr_spill_count: 0
    .wavefront_size: 32
  - .args:
      - .offset:         0
        .size:           48
        .value_kind:     by_value
    .group_segment_fixed_size: 0
    .kernarg_segment_align: 8
    .kernarg_segment_size: 48
    .language:       OpenCL C
    .language_version:
      - 2
      - 0
    .max_flat_workgroup_size: 256
    .name:           _ZN7rocprim17ROCPRIM_400000_NS6detail17trampoline_kernelINS0_14default_configENS1_38merge_sort_block_merge_config_selectorIjN6thrust23THRUST_200600_302600_NS5tupleIffNS6_9null_typeES8_S8_S8_S8_S8_S8_S8_EEEEZZNS1_27merge_sort_block_merge_implIS3_NS6_6detail15normal_iteratorINS6_10device_ptrIjEEEENSD_INSE_IS9_EEEEjNS1_19radix_merge_compareILb0ELb1EjNS0_19identity_decomposerEEEEE10hipError_tT0_T1_T2_jT3_P12ihipStream_tbPNSt15iterator_traitsISN_E10value_typeEPNST_ISO_E10value_typeEPSP_NS1_7vsmem_tEENKUlT_SN_SO_SP_E_clIPjSG_PS9_SI_EESM_S12_SN_SO_SP_EUlS12_E1_NS1_11comp_targetILNS1_3genE2ELNS1_11target_archE906ELNS1_3gpuE6ELNS1_3repE0EEENS1_36merge_oddeven_config_static_selectorELNS0_4arch9wavefront6targetE0EEEvSO_
    .private_segment_fixed_size: 0
    .sgpr_count:     0
    .sgpr_spill_count: 0
    .symbol:         _ZN7rocprim17ROCPRIM_400000_NS6detail17trampoline_kernelINS0_14default_configENS1_38merge_sort_block_merge_config_selectorIjN6thrust23THRUST_200600_302600_NS5tupleIffNS6_9null_typeES8_S8_S8_S8_S8_S8_S8_EEEEZZNS1_27merge_sort_block_merge_implIS3_NS6_6detail15normal_iteratorINS6_10device_ptrIjEEEENSD_INSE_IS9_EEEEjNS1_19radix_merge_compareILb0ELb1EjNS0_19identity_decomposerEEEEE10hipError_tT0_T1_T2_jT3_P12ihipStream_tbPNSt15iterator_traitsISN_E10value_typeEPNST_ISO_E10value_typeEPSP_NS1_7vsmem_tEENKUlT_SN_SO_SP_E_clIPjSG_PS9_SI_EESM_S12_SN_SO_SP_EUlS12_E1_NS1_11comp_targetILNS1_3genE2ELNS1_11target_archE906ELNS1_3gpuE6ELNS1_3repE0EEENS1_36merge_oddeven_config_static_selectorELNS0_4arch9wavefront6targetE0EEEvSO_.kd
    .uniform_work_group_size: 1
    .uses_dynamic_stack: false
    .vgpr_count:     0
    .vgpr_spill_count: 0
    .wavefront_size: 32
  - .args:
      - .offset:         0
        .size:           48
        .value_kind:     by_value
    .group_segment_fixed_size: 0
    .kernarg_segment_align: 8
    .kernarg_segment_size: 48
    .language:       OpenCL C
    .language_version:
      - 2
      - 0
    .max_flat_workgroup_size: 256
    .name:           _ZN7rocprim17ROCPRIM_400000_NS6detail17trampoline_kernelINS0_14default_configENS1_38merge_sort_block_merge_config_selectorIjN6thrust23THRUST_200600_302600_NS5tupleIffNS6_9null_typeES8_S8_S8_S8_S8_S8_S8_EEEEZZNS1_27merge_sort_block_merge_implIS3_NS6_6detail15normal_iteratorINS6_10device_ptrIjEEEENSD_INSE_IS9_EEEEjNS1_19radix_merge_compareILb0ELb1EjNS0_19identity_decomposerEEEEE10hipError_tT0_T1_T2_jT3_P12ihipStream_tbPNSt15iterator_traitsISN_E10value_typeEPNST_ISO_E10value_typeEPSP_NS1_7vsmem_tEENKUlT_SN_SO_SP_E_clIPjSG_PS9_SI_EESM_S12_SN_SO_SP_EUlS12_E1_NS1_11comp_targetILNS1_3genE9ELNS1_11target_archE1100ELNS1_3gpuE3ELNS1_3repE0EEENS1_36merge_oddeven_config_static_selectorELNS0_4arch9wavefront6targetE0EEEvSO_
    .private_segment_fixed_size: 0
    .sgpr_count:     0
    .sgpr_spill_count: 0
    .symbol:         _ZN7rocprim17ROCPRIM_400000_NS6detail17trampoline_kernelINS0_14default_configENS1_38merge_sort_block_merge_config_selectorIjN6thrust23THRUST_200600_302600_NS5tupleIffNS6_9null_typeES8_S8_S8_S8_S8_S8_S8_EEEEZZNS1_27merge_sort_block_merge_implIS3_NS6_6detail15normal_iteratorINS6_10device_ptrIjEEEENSD_INSE_IS9_EEEEjNS1_19radix_merge_compareILb0ELb1EjNS0_19identity_decomposerEEEEE10hipError_tT0_T1_T2_jT3_P12ihipStream_tbPNSt15iterator_traitsISN_E10value_typeEPNST_ISO_E10value_typeEPSP_NS1_7vsmem_tEENKUlT_SN_SO_SP_E_clIPjSG_PS9_SI_EESM_S12_SN_SO_SP_EUlS12_E1_NS1_11comp_targetILNS1_3genE9ELNS1_11target_archE1100ELNS1_3gpuE3ELNS1_3repE0EEENS1_36merge_oddeven_config_static_selectorELNS0_4arch9wavefront6targetE0EEEvSO_.kd
    .uniform_work_group_size: 1
    .uses_dynamic_stack: false
    .vgpr_count:     0
    .vgpr_spill_count: 0
    .wavefront_size: 32
  - .args:
      - .offset:         0
        .size:           48
        .value_kind:     by_value
    .group_segment_fixed_size: 0
    .kernarg_segment_align: 8
    .kernarg_segment_size: 48
    .language:       OpenCL C
    .language_version:
      - 2
      - 0
    .max_flat_workgroup_size: 256
    .name:           _ZN7rocprim17ROCPRIM_400000_NS6detail17trampoline_kernelINS0_14default_configENS1_38merge_sort_block_merge_config_selectorIjN6thrust23THRUST_200600_302600_NS5tupleIffNS6_9null_typeES8_S8_S8_S8_S8_S8_S8_EEEEZZNS1_27merge_sort_block_merge_implIS3_NS6_6detail15normal_iteratorINS6_10device_ptrIjEEEENSD_INSE_IS9_EEEEjNS1_19radix_merge_compareILb0ELb1EjNS0_19identity_decomposerEEEEE10hipError_tT0_T1_T2_jT3_P12ihipStream_tbPNSt15iterator_traitsISN_E10value_typeEPNST_ISO_E10value_typeEPSP_NS1_7vsmem_tEENKUlT_SN_SO_SP_E_clIPjSG_PS9_SI_EESM_S12_SN_SO_SP_EUlS12_E1_NS1_11comp_targetILNS1_3genE8ELNS1_11target_archE1030ELNS1_3gpuE2ELNS1_3repE0EEENS1_36merge_oddeven_config_static_selectorELNS0_4arch9wavefront6targetE0EEEvSO_
    .private_segment_fixed_size: 0
    .sgpr_count:     0
    .sgpr_spill_count: 0
    .symbol:         _ZN7rocprim17ROCPRIM_400000_NS6detail17trampoline_kernelINS0_14default_configENS1_38merge_sort_block_merge_config_selectorIjN6thrust23THRUST_200600_302600_NS5tupleIffNS6_9null_typeES8_S8_S8_S8_S8_S8_S8_EEEEZZNS1_27merge_sort_block_merge_implIS3_NS6_6detail15normal_iteratorINS6_10device_ptrIjEEEENSD_INSE_IS9_EEEEjNS1_19radix_merge_compareILb0ELb1EjNS0_19identity_decomposerEEEEE10hipError_tT0_T1_T2_jT3_P12ihipStream_tbPNSt15iterator_traitsISN_E10value_typeEPNST_ISO_E10value_typeEPSP_NS1_7vsmem_tEENKUlT_SN_SO_SP_E_clIPjSG_PS9_SI_EESM_S12_SN_SO_SP_EUlS12_E1_NS1_11comp_targetILNS1_3genE8ELNS1_11target_archE1030ELNS1_3gpuE2ELNS1_3repE0EEENS1_36merge_oddeven_config_static_selectorELNS0_4arch9wavefront6targetE0EEEvSO_.kd
    .uniform_work_group_size: 1
    .uses_dynamic_stack: false
    .vgpr_count:     0
    .vgpr_spill_count: 0
    .wavefront_size: 32
  - .args:
      - .offset:         0
        .size:           40
        .value_kind:     by_value
    .group_segment_fixed_size: 0
    .kernarg_segment_align: 8
    .kernarg_segment_size: 40
    .language:       OpenCL C
    .language_version:
      - 2
      - 0
    .max_flat_workgroup_size: 128
    .name:           _ZN7rocprim17ROCPRIM_400000_NS6detail17trampoline_kernelINS0_14default_configENS1_38merge_sort_block_merge_config_selectorIjN6thrust23THRUST_200600_302600_NS5tupleIffNS6_9null_typeES8_S8_S8_S8_S8_S8_S8_EEEEZZNS1_27merge_sort_block_merge_implIS3_NS6_6detail15normal_iteratorINS6_10device_ptrIjEEEENSD_INSE_IS9_EEEEjNS1_19radix_merge_compareILb0ELb1EjNS0_19identity_decomposerEEEEE10hipError_tT0_T1_T2_jT3_P12ihipStream_tbPNSt15iterator_traitsISN_E10value_typeEPNST_ISO_E10value_typeEPSP_NS1_7vsmem_tEENKUlT_SN_SO_SP_E_clISG_PjSI_PS9_EESM_S12_SN_SO_SP_EUlS12_E_NS1_11comp_targetILNS1_3genE0ELNS1_11target_archE4294967295ELNS1_3gpuE0ELNS1_3repE0EEENS1_48merge_mergepath_partition_config_static_selectorELNS0_4arch9wavefront6targetE0EEEvSO_
    .private_segment_fixed_size: 0
    .sgpr_count:     10
    .sgpr_spill_count: 0
    .symbol:         _ZN7rocprim17ROCPRIM_400000_NS6detail17trampoline_kernelINS0_14default_configENS1_38merge_sort_block_merge_config_selectorIjN6thrust23THRUST_200600_302600_NS5tupleIffNS6_9null_typeES8_S8_S8_S8_S8_S8_S8_EEEEZZNS1_27merge_sort_block_merge_implIS3_NS6_6detail15normal_iteratorINS6_10device_ptrIjEEEENSD_INSE_IS9_EEEEjNS1_19radix_merge_compareILb0ELb1EjNS0_19identity_decomposerEEEEE10hipError_tT0_T1_T2_jT3_P12ihipStream_tbPNSt15iterator_traitsISN_E10value_typeEPNST_ISO_E10value_typeEPSP_NS1_7vsmem_tEENKUlT_SN_SO_SP_E_clISG_PjSI_PS9_EESM_S12_SN_SO_SP_EUlS12_E_NS1_11comp_targetILNS1_3genE0ELNS1_11target_archE4294967295ELNS1_3gpuE0ELNS1_3repE0EEENS1_48merge_mergepath_partition_config_static_selectorELNS0_4arch9wavefront6targetE0EEEvSO_.kd
    .uniform_work_group_size: 1
    .uses_dynamic_stack: false
    .vgpr_count:     17
    .vgpr_spill_count: 0
    .wavefront_size: 32
  - .args:
      - .offset:         0
        .size:           40
        .value_kind:     by_value
    .group_segment_fixed_size: 0
    .kernarg_segment_align: 8
    .kernarg_segment_size: 40
    .language:       OpenCL C
    .language_version:
      - 2
      - 0
    .max_flat_workgroup_size: 128
    .name:           _ZN7rocprim17ROCPRIM_400000_NS6detail17trampoline_kernelINS0_14default_configENS1_38merge_sort_block_merge_config_selectorIjN6thrust23THRUST_200600_302600_NS5tupleIffNS6_9null_typeES8_S8_S8_S8_S8_S8_S8_EEEEZZNS1_27merge_sort_block_merge_implIS3_NS6_6detail15normal_iteratorINS6_10device_ptrIjEEEENSD_INSE_IS9_EEEEjNS1_19radix_merge_compareILb0ELb1EjNS0_19identity_decomposerEEEEE10hipError_tT0_T1_T2_jT3_P12ihipStream_tbPNSt15iterator_traitsISN_E10value_typeEPNST_ISO_E10value_typeEPSP_NS1_7vsmem_tEENKUlT_SN_SO_SP_E_clISG_PjSI_PS9_EESM_S12_SN_SO_SP_EUlS12_E_NS1_11comp_targetILNS1_3genE10ELNS1_11target_archE1201ELNS1_3gpuE5ELNS1_3repE0EEENS1_48merge_mergepath_partition_config_static_selectorELNS0_4arch9wavefront6targetE0EEEvSO_
    .private_segment_fixed_size: 0
    .sgpr_count:     0
    .sgpr_spill_count: 0
    .symbol:         _ZN7rocprim17ROCPRIM_400000_NS6detail17trampoline_kernelINS0_14default_configENS1_38merge_sort_block_merge_config_selectorIjN6thrust23THRUST_200600_302600_NS5tupleIffNS6_9null_typeES8_S8_S8_S8_S8_S8_S8_EEEEZZNS1_27merge_sort_block_merge_implIS3_NS6_6detail15normal_iteratorINS6_10device_ptrIjEEEENSD_INSE_IS9_EEEEjNS1_19radix_merge_compareILb0ELb1EjNS0_19identity_decomposerEEEEE10hipError_tT0_T1_T2_jT3_P12ihipStream_tbPNSt15iterator_traitsISN_E10value_typeEPNST_ISO_E10value_typeEPSP_NS1_7vsmem_tEENKUlT_SN_SO_SP_E_clISG_PjSI_PS9_EESM_S12_SN_SO_SP_EUlS12_E_NS1_11comp_targetILNS1_3genE10ELNS1_11target_archE1201ELNS1_3gpuE5ELNS1_3repE0EEENS1_48merge_mergepath_partition_config_static_selectorELNS0_4arch9wavefront6targetE0EEEvSO_.kd
    .uniform_work_group_size: 1
    .uses_dynamic_stack: false
    .vgpr_count:     0
    .vgpr_spill_count: 0
    .wavefront_size: 32
  - .args:
      - .offset:         0
        .size:           40
        .value_kind:     by_value
    .group_segment_fixed_size: 0
    .kernarg_segment_align: 8
    .kernarg_segment_size: 40
    .language:       OpenCL C
    .language_version:
      - 2
      - 0
    .max_flat_workgroup_size: 128
    .name:           _ZN7rocprim17ROCPRIM_400000_NS6detail17trampoline_kernelINS0_14default_configENS1_38merge_sort_block_merge_config_selectorIjN6thrust23THRUST_200600_302600_NS5tupleIffNS6_9null_typeES8_S8_S8_S8_S8_S8_S8_EEEEZZNS1_27merge_sort_block_merge_implIS3_NS6_6detail15normal_iteratorINS6_10device_ptrIjEEEENSD_INSE_IS9_EEEEjNS1_19radix_merge_compareILb0ELb1EjNS0_19identity_decomposerEEEEE10hipError_tT0_T1_T2_jT3_P12ihipStream_tbPNSt15iterator_traitsISN_E10value_typeEPNST_ISO_E10value_typeEPSP_NS1_7vsmem_tEENKUlT_SN_SO_SP_E_clISG_PjSI_PS9_EESM_S12_SN_SO_SP_EUlS12_E_NS1_11comp_targetILNS1_3genE5ELNS1_11target_archE942ELNS1_3gpuE9ELNS1_3repE0EEENS1_48merge_mergepath_partition_config_static_selectorELNS0_4arch9wavefront6targetE0EEEvSO_
    .private_segment_fixed_size: 0
    .sgpr_count:     0
    .sgpr_spill_count: 0
    .symbol:         _ZN7rocprim17ROCPRIM_400000_NS6detail17trampoline_kernelINS0_14default_configENS1_38merge_sort_block_merge_config_selectorIjN6thrust23THRUST_200600_302600_NS5tupleIffNS6_9null_typeES8_S8_S8_S8_S8_S8_S8_EEEEZZNS1_27merge_sort_block_merge_implIS3_NS6_6detail15normal_iteratorINS6_10device_ptrIjEEEENSD_INSE_IS9_EEEEjNS1_19radix_merge_compareILb0ELb1EjNS0_19identity_decomposerEEEEE10hipError_tT0_T1_T2_jT3_P12ihipStream_tbPNSt15iterator_traitsISN_E10value_typeEPNST_ISO_E10value_typeEPSP_NS1_7vsmem_tEENKUlT_SN_SO_SP_E_clISG_PjSI_PS9_EESM_S12_SN_SO_SP_EUlS12_E_NS1_11comp_targetILNS1_3genE5ELNS1_11target_archE942ELNS1_3gpuE9ELNS1_3repE0EEENS1_48merge_mergepath_partition_config_static_selectorELNS0_4arch9wavefront6targetE0EEEvSO_.kd
    .uniform_work_group_size: 1
    .uses_dynamic_stack: false
    .vgpr_count:     0
    .vgpr_spill_count: 0
    .wavefront_size: 32
  - .args:
      - .offset:         0
        .size:           40
        .value_kind:     by_value
    .group_segment_fixed_size: 0
    .kernarg_segment_align: 8
    .kernarg_segment_size: 40
    .language:       OpenCL C
    .language_version:
      - 2
      - 0
    .max_flat_workgroup_size: 128
    .name:           _ZN7rocprim17ROCPRIM_400000_NS6detail17trampoline_kernelINS0_14default_configENS1_38merge_sort_block_merge_config_selectorIjN6thrust23THRUST_200600_302600_NS5tupleIffNS6_9null_typeES8_S8_S8_S8_S8_S8_S8_EEEEZZNS1_27merge_sort_block_merge_implIS3_NS6_6detail15normal_iteratorINS6_10device_ptrIjEEEENSD_INSE_IS9_EEEEjNS1_19radix_merge_compareILb0ELb1EjNS0_19identity_decomposerEEEEE10hipError_tT0_T1_T2_jT3_P12ihipStream_tbPNSt15iterator_traitsISN_E10value_typeEPNST_ISO_E10value_typeEPSP_NS1_7vsmem_tEENKUlT_SN_SO_SP_E_clISG_PjSI_PS9_EESM_S12_SN_SO_SP_EUlS12_E_NS1_11comp_targetILNS1_3genE4ELNS1_11target_archE910ELNS1_3gpuE8ELNS1_3repE0EEENS1_48merge_mergepath_partition_config_static_selectorELNS0_4arch9wavefront6targetE0EEEvSO_
    .private_segment_fixed_size: 0
    .sgpr_count:     0
    .sgpr_spill_count: 0
    .symbol:         _ZN7rocprim17ROCPRIM_400000_NS6detail17trampoline_kernelINS0_14default_configENS1_38merge_sort_block_merge_config_selectorIjN6thrust23THRUST_200600_302600_NS5tupleIffNS6_9null_typeES8_S8_S8_S8_S8_S8_S8_EEEEZZNS1_27merge_sort_block_merge_implIS3_NS6_6detail15normal_iteratorINS6_10device_ptrIjEEEENSD_INSE_IS9_EEEEjNS1_19radix_merge_compareILb0ELb1EjNS0_19identity_decomposerEEEEE10hipError_tT0_T1_T2_jT3_P12ihipStream_tbPNSt15iterator_traitsISN_E10value_typeEPNST_ISO_E10value_typeEPSP_NS1_7vsmem_tEENKUlT_SN_SO_SP_E_clISG_PjSI_PS9_EESM_S12_SN_SO_SP_EUlS12_E_NS1_11comp_targetILNS1_3genE4ELNS1_11target_archE910ELNS1_3gpuE8ELNS1_3repE0EEENS1_48merge_mergepath_partition_config_static_selectorELNS0_4arch9wavefront6targetE0EEEvSO_.kd
    .uniform_work_group_size: 1
    .uses_dynamic_stack: false
    .vgpr_count:     0
    .vgpr_spill_count: 0
    .wavefront_size: 32
  - .args:
      - .offset:         0
        .size:           40
        .value_kind:     by_value
    .group_segment_fixed_size: 0
    .kernarg_segment_align: 8
    .kernarg_segment_size: 40
    .language:       OpenCL C
    .language_version:
      - 2
      - 0
    .max_flat_workgroup_size: 128
    .name:           _ZN7rocprim17ROCPRIM_400000_NS6detail17trampoline_kernelINS0_14default_configENS1_38merge_sort_block_merge_config_selectorIjN6thrust23THRUST_200600_302600_NS5tupleIffNS6_9null_typeES8_S8_S8_S8_S8_S8_S8_EEEEZZNS1_27merge_sort_block_merge_implIS3_NS6_6detail15normal_iteratorINS6_10device_ptrIjEEEENSD_INSE_IS9_EEEEjNS1_19radix_merge_compareILb0ELb1EjNS0_19identity_decomposerEEEEE10hipError_tT0_T1_T2_jT3_P12ihipStream_tbPNSt15iterator_traitsISN_E10value_typeEPNST_ISO_E10value_typeEPSP_NS1_7vsmem_tEENKUlT_SN_SO_SP_E_clISG_PjSI_PS9_EESM_S12_SN_SO_SP_EUlS12_E_NS1_11comp_targetILNS1_3genE3ELNS1_11target_archE908ELNS1_3gpuE7ELNS1_3repE0EEENS1_48merge_mergepath_partition_config_static_selectorELNS0_4arch9wavefront6targetE0EEEvSO_
    .private_segment_fixed_size: 0
    .sgpr_count:     0
    .sgpr_spill_count: 0
    .symbol:         _ZN7rocprim17ROCPRIM_400000_NS6detail17trampoline_kernelINS0_14default_configENS1_38merge_sort_block_merge_config_selectorIjN6thrust23THRUST_200600_302600_NS5tupleIffNS6_9null_typeES8_S8_S8_S8_S8_S8_S8_EEEEZZNS1_27merge_sort_block_merge_implIS3_NS6_6detail15normal_iteratorINS6_10device_ptrIjEEEENSD_INSE_IS9_EEEEjNS1_19radix_merge_compareILb0ELb1EjNS0_19identity_decomposerEEEEE10hipError_tT0_T1_T2_jT3_P12ihipStream_tbPNSt15iterator_traitsISN_E10value_typeEPNST_ISO_E10value_typeEPSP_NS1_7vsmem_tEENKUlT_SN_SO_SP_E_clISG_PjSI_PS9_EESM_S12_SN_SO_SP_EUlS12_E_NS1_11comp_targetILNS1_3genE3ELNS1_11target_archE908ELNS1_3gpuE7ELNS1_3repE0EEENS1_48merge_mergepath_partition_config_static_selectorELNS0_4arch9wavefront6targetE0EEEvSO_.kd
    .uniform_work_group_size: 1
    .uses_dynamic_stack: false
    .vgpr_count:     0
    .vgpr_spill_count: 0
    .wavefront_size: 32
  - .args:
      - .offset:         0
        .size:           40
        .value_kind:     by_value
    .group_segment_fixed_size: 0
    .kernarg_segment_align: 8
    .kernarg_segment_size: 40
    .language:       OpenCL C
    .language_version:
      - 2
      - 0
    .max_flat_workgroup_size: 128
    .name:           _ZN7rocprim17ROCPRIM_400000_NS6detail17trampoline_kernelINS0_14default_configENS1_38merge_sort_block_merge_config_selectorIjN6thrust23THRUST_200600_302600_NS5tupleIffNS6_9null_typeES8_S8_S8_S8_S8_S8_S8_EEEEZZNS1_27merge_sort_block_merge_implIS3_NS6_6detail15normal_iteratorINS6_10device_ptrIjEEEENSD_INSE_IS9_EEEEjNS1_19radix_merge_compareILb0ELb1EjNS0_19identity_decomposerEEEEE10hipError_tT0_T1_T2_jT3_P12ihipStream_tbPNSt15iterator_traitsISN_E10value_typeEPNST_ISO_E10value_typeEPSP_NS1_7vsmem_tEENKUlT_SN_SO_SP_E_clISG_PjSI_PS9_EESM_S12_SN_SO_SP_EUlS12_E_NS1_11comp_targetILNS1_3genE2ELNS1_11target_archE906ELNS1_3gpuE6ELNS1_3repE0EEENS1_48merge_mergepath_partition_config_static_selectorELNS0_4arch9wavefront6targetE0EEEvSO_
    .private_segment_fixed_size: 0
    .sgpr_count:     0
    .sgpr_spill_count: 0
    .symbol:         _ZN7rocprim17ROCPRIM_400000_NS6detail17trampoline_kernelINS0_14default_configENS1_38merge_sort_block_merge_config_selectorIjN6thrust23THRUST_200600_302600_NS5tupleIffNS6_9null_typeES8_S8_S8_S8_S8_S8_S8_EEEEZZNS1_27merge_sort_block_merge_implIS3_NS6_6detail15normal_iteratorINS6_10device_ptrIjEEEENSD_INSE_IS9_EEEEjNS1_19radix_merge_compareILb0ELb1EjNS0_19identity_decomposerEEEEE10hipError_tT0_T1_T2_jT3_P12ihipStream_tbPNSt15iterator_traitsISN_E10value_typeEPNST_ISO_E10value_typeEPSP_NS1_7vsmem_tEENKUlT_SN_SO_SP_E_clISG_PjSI_PS9_EESM_S12_SN_SO_SP_EUlS12_E_NS1_11comp_targetILNS1_3genE2ELNS1_11target_archE906ELNS1_3gpuE6ELNS1_3repE0EEENS1_48merge_mergepath_partition_config_static_selectorELNS0_4arch9wavefront6targetE0EEEvSO_.kd
    .uniform_work_group_size: 1
    .uses_dynamic_stack: false
    .vgpr_count:     0
    .vgpr_spill_count: 0
    .wavefront_size: 32
  - .args:
      - .offset:         0
        .size:           40
        .value_kind:     by_value
    .group_segment_fixed_size: 0
    .kernarg_segment_align: 8
    .kernarg_segment_size: 40
    .language:       OpenCL C
    .language_version:
      - 2
      - 0
    .max_flat_workgroup_size: 128
    .name:           _ZN7rocprim17ROCPRIM_400000_NS6detail17trampoline_kernelINS0_14default_configENS1_38merge_sort_block_merge_config_selectorIjN6thrust23THRUST_200600_302600_NS5tupleIffNS6_9null_typeES8_S8_S8_S8_S8_S8_S8_EEEEZZNS1_27merge_sort_block_merge_implIS3_NS6_6detail15normal_iteratorINS6_10device_ptrIjEEEENSD_INSE_IS9_EEEEjNS1_19radix_merge_compareILb0ELb1EjNS0_19identity_decomposerEEEEE10hipError_tT0_T1_T2_jT3_P12ihipStream_tbPNSt15iterator_traitsISN_E10value_typeEPNST_ISO_E10value_typeEPSP_NS1_7vsmem_tEENKUlT_SN_SO_SP_E_clISG_PjSI_PS9_EESM_S12_SN_SO_SP_EUlS12_E_NS1_11comp_targetILNS1_3genE9ELNS1_11target_archE1100ELNS1_3gpuE3ELNS1_3repE0EEENS1_48merge_mergepath_partition_config_static_selectorELNS0_4arch9wavefront6targetE0EEEvSO_
    .private_segment_fixed_size: 0
    .sgpr_count:     0
    .sgpr_spill_count: 0
    .symbol:         _ZN7rocprim17ROCPRIM_400000_NS6detail17trampoline_kernelINS0_14default_configENS1_38merge_sort_block_merge_config_selectorIjN6thrust23THRUST_200600_302600_NS5tupleIffNS6_9null_typeES8_S8_S8_S8_S8_S8_S8_EEEEZZNS1_27merge_sort_block_merge_implIS3_NS6_6detail15normal_iteratorINS6_10device_ptrIjEEEENSD_INSE_IS9_EEEEjNS1_19radix_merge_compareILb0ELb1EjNS0_19identity_decomposerEEEEE10hipError_tT0_T1_T2_jT3_P12ihipStream_tbPNSt15iterator_traitsISN_E10value_typeEPNST_ISO_E10value_typeEPSP_NS1_7vsmem_tEENKUlT_SN_SO_SP_E_clISG_PjSI_PS9_EESM_S12_SN_SO_SP_EUlS12_E_NS1_11comp_targetILNS1_3genE9ELNS1_11target_archE1100ELNS1_3gpuE3ELNS1_3repE0EEENS1_48merge_mergepath_partition_config_static_selectorELNS0_4arch9wavefront6targetE0EEEvSO_.kd
    .uniform_work_group_size: 1
    .uses_dynamic_stack: false
    .vgpr_count:     0
    .vgpr_spill_count: 0
    .wavefront_size: 32
  - .args:
      - .offset:         0
        .size:           40
        .value_kind:     by_value
    .group_segment_fixed_size: 0
    .kernarg_segment_align: 8
    .kernarg_segment_size: 40
    .language:       OpenCL C
    .language_version:
      - 2
      - 0
    .max_flat_workgroup_size: 128
    .name:           _ZN7rocprim17ROCPRIM_400000_NS6detail17trampoline_kernelINS0_14default_configENS1_38merge_sort_block_merge_config_selectorIjN6thrust23THRUST_200600_302600_NS5tupleIffNS6_9null_typeES8_S8_S8_S8_S8_S8_S8_EEEEZZNS1_27merge_sort_block_merge_implIS3_NS6_6detail15normal_iteratorINS6_10device_ptrIjEEEENSD_INSE_IS9_EEEEjNS1_19radix_merge_compareILb0ELb1EjNS0_19identity_decomposerEEEEE10hipError_tT0_T1_T2_jT3_P12ihipStream_tbPNSt15iterator_traitsISN_E10value_typeEPNST_ISO_E10value_typeEPSP_NS1_7vsmem_tEENKUlT_SN_SO_SP_E_clISG_PjSI_PS9_EESM_S12_SN_SO_SP_EUlS12_E_NS1_11comp_targetILNS1_3genE8ELNS1_11target_archE1030ELNS1_3gpuE2ELNS1_3repE0EEENS1_48merge_mergepath_partition_config_static_selectorELNS0_4arch9wavefront6targetE0EEEvSO_
    .private_segment_fixed_size: 0
    .sgpr_count:     0
    .sgpr_spill_count: 0
    .symbol:         _ZN7rocprim17ROCPRIM_400000_NS6detail17trampoline_kernelINS0_14default_configENS1_38merge_sort_block_merge_config_selectorIjN6thrust23THRUST_200600_302600_NS5tupleIffNS6_9null_typeES8_S8_S8_S8_S8_S8_S8_EEEEZZNS1_27merge_sort_block_merge_implIS3_NS6_6detail15normal_iteratorINS6_10device_ptrIjEEEENSD_INSE_IS9_EEEEjNS1_19radix_merge_compareILb0ELb1EjNS0_19identity_decomposerEEEEE10hipError_tT0_T1_T2_jT3_P12ihipStream_tbPNSt15iterator_traitsISN_E10value_typeEPNST_ISO_E10value_typeEPSP_NS1_7vsmem_tEENKUlT_SN_SO_SP_E_clISG_PjSI_PS9_EESM_S12_SN_SO_SP_EUlS12_E_NS1_11comp_targetILNS1_3genE8ELNS1_11target_archE1030ELNS1_3gpuE2ELNS1_3repE0EEENS1_48merge_mergepath_partition_config_static_selectorELNS0_4arch9wavefront6targetE0EEEvSO_.kd
    .uniform_work_group_size: 1
    .uses_dynamic_stack: false
    .vgpr_count:     0
    .vgpr_spill_count: 0
    .wavefront_size: 32
  - .args:
      - .offset:         0
        .size:           64
        .value_kind:     by_value
      - .offset:         64
        .size:           4
        .value_kind:     hidden_block_count_x
      - .offset:         68
        .size:           4
        .value_kind:     hidden_block_count_y
      - .offset:         72
        .size:           4
        .value_kind:     hidden_block_count_z
      - .offset:         76
        .size:           2
        .value_kind:     hidden_group_size_x
      - .offset:         78
        .size:           2
        .value_kind:     hidden_group_size_y
      - .offset:         80
        .size:           2
        .value_kind:     hidden_group_size_z
      - .offset:         82
        .size:           2
        .value_kind:     hidden_remainder_x
      - .offset:         84
        .size:           2
        .value_kind:     hidden_remainder_y
      - .offset:         86
        .size:           2
        .value_kind:     hidden_remainder_z
      - .offset:         104
        .size:           8
        .value_kind:     hidden_global_offset_x
      - .offset:         112
        .size:           8
        .value_kind:     hidden_global_offset_y
      - .offset:         120
        .size:           8
        .value_kind:     hidden_global_offset_z
      - .offset:         128
        .size:           2
        .value_kind:     hidden_grid_dims
    .group_segment_fixed_size: 8448
    .kernarg_segment_align: 8
    .kernarg_segment_size: 320
    .language:       OpenCL C
    .language_version:
      - 2
      - 0
    .max_flat_workgroup_size: 512
    .name:           _ZN7rocprim17ROCPRIM_400000_NS6detail17trampoline_kernelINS0_14default_configENS1_38merge_sort_block_merge_config_selectorIjN6thrust23THRUST_200600_302600_NS5tupleIffNS6_9null_typeES8_S8_S8_S8_S8_S8_S8_EEEEZZNS1_27merge_sort_block_merge_implIS3_NS6_6detail15normal_iteratorINS6_10device_ptrIjEEEENSD_INSE_IS9_EEEEjNS1_19radix_merge_compareILb0ELb1EjNS0_19identity_decomposerEEEEE10hipError_tT0_T1_T2_jT3_P12ihipStream_tbPNSt15iterator_traitsISN_E10value_typeEPNST_ISO_E10value_typeEPSP_NS1_7vsmem_tEENKUlT_SN_SO_SP_E_clISG_PjSI_PS9_EESM_S12_SN_SO_SP_EUlS12_E0_NS1_11comp_targetILNS1_3genE0ELNS1_11target_archE4294967295ELNS1_3gpuE0ELNS1_3repE0EEENS1_38merge_mergepath_config_static_selectorELNS0_4arch9wavefront6targetE0EEEvSO_
    .private_segment_fixed_size: 0
    .sgpr_count:     34
    .sgpr_spill_count: 0
    .symbol:         _ZN7rocprim17ROCPRIM_400000_NS6detail17trampoline_kernelINS0_14default_configENS1_38merge_sort_block_merge_config_selectorIjN6thrust23THRUST_200600_302600_NS5tupleIffNS6_9null_typeES8_S8_S8_S8_S8_S8_S8_EEEEZZNS1_27merge_sort_block_merge_implIS3_NS6_6detail15normal_iteratorINS6_10device_ptrIjEEEENSD_INSE_IS9_EEEEjNS1_19radix_merge_compareILb0ELb1EjNS0_19identity_decomposerEEEEE10hipError_tT0_T1_T2_jT3_P12ihipStream_tbPNSt15iterator_traitsISN_E10value_typeEPNST_ISO_E10value_typeEPSP_NS1_7vsmem_tEENKUlT_SN_SO_SP_E_clISG_PjSI_PS9_EESM_S12_SN_SO_SP_EUlS12_E0_NS1_11comp_targetILNS1_3genE0ELNS1_11target_archE4294967295ELNS1_3gpuE0ELNS1_3repE0EEENS1_38merge_mergepath_config_static_selectorELNS0_4arch9wavefront6targetE0EEEvSO_.kd
    .uniform_work_group_size: 1
    .uses_dynamic_stack: false
    .vgpr_count:     19
    .vgpr_spill_count: 0
    .wavefront_size: 32
  - .args:
      - .offset:         0
        .size:           64
        .value_kind:     by_value
    .group_segment_fixed_size: 0
    .kernarg_segment_align: 8
    .kernarg_segment_size: 64
    .language:       OpenCL C
    .language_version:
      - 2
      - 0
    .max_flat_workgroup_size: 512
    .name:           _ZN7rocprim17ROCPRIM_400000_NS6detail17trampoline_kernelINS0_14default_configENS1_38merge_sort_block_merge_config_selectorIjN6thrust23THRUST_200600_302600_NS5tupleIffNS6_9null_typeES8_S8_S8_S8_S8_S8_S8_EEEEZZNS1_27merge_sort_block_merge_implIS3_NS6_6detail15normal_iteratorINS6_10device_ptrIjEEEENSD_INSE_IS9_EEEEjNS1_19radix_merge_compareILb0ELb1EjNS0_19identity_decomposerEEEEE10hipError_tT0_T1_T2_jT3_P12ihipStream_tbPNSt15iterator_traitsISN_E10value_typeEPNST_ISO_E10value_typeEPSP_NS1_7vsmem_tEENKUlT_SN_SO_SP_E_clISG_PjSI_PS9_EESM_S12_SN_SO_SP_EUlS12_E0_NS1_11comp_targetILNS1_3genE10ELNS1_11target_archE1201ELNS1_3gpuE5ELNS1_3repE0EEENS1_38merge_mergepath_config_static_selectorELNS0_4arch9wavefront6targetE0EEEvSO_
    .private_segment_fixed_size: 0
    .sgpr_count:     0
    .sgpr_spill_count: 0
    .symbol:         _ZN7rocprim17ROCPRIM_400000_NS6detail17trampoline_kernelINS0_14default_configENS1_38merge_sort_block_merge_config_selectorIjN6thrust23THRUST_200600_302600_NS5tupleIffNS6_9null_typeES8_S8_S8_S8_S8_S8_S8_EEEEZZNS1_27merge_sort_block_merge_implIS3_NS6_6detail15normal_iteratorINS6_10device_ptrIjEEEENSD_INSE_IS9_EEEEjNS1_19radix_merge_compareILb0ELb1EjNS0_19identity_decomposerEEEEE10hipError_tT0_T1_T2_jT3_P12ihipStream_tbPNSt15iterator_traitsISN_E10value_typeEPNST_ISO_E10value_typeEPSP_NS1_7vsmem_tEENKUlT_SN_SO_SP_E_clISG_PjSI_PS9_EESM_S12_SN_SO_SP_EUlS12_E0_NS1_11comp_targetILNS1_3genE10ELNS1_11target_archE1201ELNS1_3gpuE5ELNS1_3repE0EEENS1_38merge_mergepath_config_static_selectorELNS0_4arch9wavefront6targetE0EEEvSO_.kd
    .uniform_work_group_size: 1
    .uses_dynamic_stack: false
    .vgpr_count:     0
    .vgpr_spill_count: 0
    .wavefront_size: 32
  - .args:
      - .offset:         0
        .size:           64
        .value_kind:     by_value
    .group_segment_fixed_size: 0
    .kernarg_segment_align: 8
    .kernarg_segment_size: 64
    .language:       OpenCL C
    .language_version:
      - 2
      - 0
    .max_flat_workgroup_size: 256
    .name:           _ZN7rocprim17ROCPRIM_400000_NS6detail17trampoline_kernelINS0_14default_configENS1_38merge_sort_block_merge_config_selectorIjN6thrust23THRUST_200600_302600_NS5tupleIffNS6_9null_typeES8_S8_S8_S8_S8_S8_S8_EEEEZZNS1_27merge_sort_block_merge_implIS3_NS6_6detail15normal_iteratorINS6_10device_ptrIjEEEENSD_INSE_IS9_EEEEjNS1_19radix_merge_compareILb0ELb1EjNS0_19identity_decomposerEEEEE10hipError_tT0_T1_T2_jT3_P12ihipStream_tbPNSt15iterator_traitsISN_E10value_typeEPNST_ISO_E10value_typeEPSP_NS1_7vsmem_tEENKUlT_SN_SO_SP_E_clISG_PjSI_PS9_EESM_S12_SN_SO_SP_EUlS12_E0_NS1_11comp_targetILNS1_3genE5ELNS1_11target_archE942ELNS1_3gpuE9ELNS1_3repE0EEENS1_38merge_mergepath_config_static_selectorELNS0_4arch9wavefront6targetE0EEEvSO_
    .private_segment_fixed_size: 0
    .sgpr_count:     0
    .sgpr_spill_count: 0
    .symbol:         _ZN7rocprim17ROCPRIM_400000_NS6detail17trampoline_kernelINS0_14default_configENS1_38merge_sort_block_merge_config_selectorIjN6thrust23THRUST_200600_302600_NS5tupleIffNS6_9null_typeES8_S8_S8_S8_S8_S8_S8_EEEEZZNS1_27merge_sort_block_merge_implIS3_NS6_6detail15normal_iteratorINS6_10device_ptrIjEEEENSD_INSE_IS9_EEEEjNS1_19radix_merge_compareILb0ELb1EjNS0_19identity_decomposerEEEEE10hipError_tT0_T1_T2_jT3_P12ihipStream_tbPNSt15iterator_traitsISN_E10value_typeEPNST_ISO_E10value_typeEPSP_NS1_7vsmem_tEENKUlT_SN_SO_SP_E_clISG_PjSI_PS9_EESM_S12_SN_SO_SP_EUlS12_E0_NS1_11comp_targetILNS1_3genE5ELNS1_11target_archE942ELNS1_3gpuE9ELNS1_3repE0EEENS1_38merge_mergepath_config_static_selectorELNS0_4arch9wavefront6targetE0EEEvSO_.kd
    .uniform_work_group_size: 1
    .uses_dynamic_stack: false
    .vgpr_count:     0
    .vgpr_spill_count: 0
    .wavefront_size: 32
  - .args:
      - .offset:         0
        .size:           64
        .value_kind:     by_value
    .group_segment_fixed_size: 0
    .kernarg_segment_align: 8
    .kernarg_segment_size: 64
    .language:       OpenCL C
    .language_version:
      - 2
      - 0
    .max_flat_workgroup_size: 256
    .name:           _ZN7rocprim17ROCPRIM_400000_NS6detail17trampoline_kernelINS0_14default_configENS1_38merge_sort_block_merge_config_selectorIjN6thrust23THRUST_200600_302600_NS5tupleIffNS6_9null_typeES8_S8_S8_S8_S8_S8_S8_EEEEZZNS1_27merge_sort_block_merge_implIS3_NS6_6detail15normal_iteratorINS6_10device_ptrIjEEEENSD_INSE_IS9_EEEEjNS1_19radix_merge_compareILb0ELb1EjNS0_19identity_decomposerEEEEE10hipError_tT0_T1_T2_jT3_P12ihipStream_tbPNSt15iterator_traitsISN_E10value_typeEPNST_ISO_E10value_typeEPSP_NS1_7vsmem_tEENKUlT_SN_SO_SP_E_clISG_PjSI_PS9_EESM_S12_SN_SO_SP_EUlS12_E0_NS1_11comp_targetILNS1_3genE4ELNS1_11target_archE910ELNS1_3gpuE8ELNS1_3repE0EEENS1_38merge_mergepath_config_static_selectorELNS0_4arch9wavefront6targetE0EEEvSO_
    .private_segment_fixed_size: 0
    .sgpr_count:     0
    .sgpr_spill_count: 0
    .symbol:         _ZN7rocprim17ROCPRIM_400000_NS6detail17trampoline_kernelINS0_14default_configENS1_38merge_sort_block_merge_config_selectorIjN6thrust23THRUST_200600_302600_NS5tupleIffNS6_9null_typeES8_S8_S8_S8_S8_S8_S8_EEEEZZNS1_27merge_sort_block_merge_implIS3_NS6_6detail15normal_iteratorINS6_10device_ptrIjEEEENSD_INSE_IS9_EEEEjNS1_19radix_merge_compareILb0ELb1EjNS0_19identity_decomposerEEEEE10hipError_tT0_T1_T2_jT3_P12ihipStream_tbPNSt15iterator_traitsISN_E10value_typeEPNST_ISO_E10value_typeEPSP_NS1_7vsmem_tEENKUlT_SN_SO_SP_E_clISG_PjSI_PS9_EESM_S12_SN_SO_SP_EUlS12_E0_NS1_11comp_targetILNS1_3genE4ELNS1_11target_archE910ELNS1_3gpuE8ELNS1_3repE0EEENS1_38merge_mergepath_config_static_selectorELNS0_4arch9wavefront6targetE0EEEvSO_.kd
    .uniform_work_group_size: 1
    .uses_dynamic_stack: false
    .vgpr_count:     0
    .vgpr_spill_count: 0
    .wavefront_size: 32
  - .args:
      - .offset:         0
        .size:           64
        .value_kind:     by_value
    .group_segment_fixed_size: 0
    .kernarg_segment_align: 8
    .kernarg_segment_size: 64
    .language:       OpenCL C
    .language_version:
      - 2
      - 0
    .max_flat_workgroup_size: 512
    .name:           _ZN7rocprim17ROCPRIM_400000_NS6detail17trampoline_kernelINS0_14default_configENS1_38merge_sort_block_merge_config_selectorIjN6thrust23THRUST_200600_302600_NS5tupleIffNS6_9null_typeES8_S8_S8_S8_S8_S8_S8_EEEEZZNS1_27merge_sort_block_merge_implIS3_NS6_6detail15normal_iteratorINS6_10device_ptrIjEEEENSD_INSE_IS9_EEEEjNS1_19radix_merge_compareILb0ELb1EjNS0_19identity_decomposerEEEEE10hipError_tT0_T1_T2_jT3_P12ihipStream_tbPNSt15iterator_traitsISN_E10value_typeEPNST_ISO_E10value_typeEPSP_NS1_7vsmem_tEENKUlT_SN_SO_SP_E_clISG_PjSI_PS9_EESM_S12_SN_SO_SP_EUlS12_E0_NS1_11comp_targetILNS1_3genE3ELNS1_11target_archE908ELNS1_3gpuE7ELNS1_3repE0EEENS1_38merge_mergepath_config_static_selectorELNS0_4arch9wavefront6targetE0EEEvSO_
    .private_segment_fixed_size: 0
    .sgpr_count:     0
    .sgpr_spill_count: 0
    .symbol:         _ZN7rocprim17ROCPRIM_400000_NS6detail17trampoline_kernelINS0_14default_configENS1_38merge_sort_block_merge_config_selectorIjN6thrust23THRUST_200600_302600_NS5tupleIffNS6_9null_typeES8_S8_S8_S8_S8_S8_S8_EEEEZZNS1_27merge_sort_block_merge_implIS3_NS6_6detail15normal_iteratorINS6_10device_ptrIjEEEENSD_INSE_IS9_EEEEjNS1_19radix_merge_compareILb0ELb1EjNS0_19identity_decomposerEEEEE10hipError_tT0_T1_T2_jT3_P12ihipStream_tbPNSt15iterator_traitsISN_E10value_typeEPNST_ISO_E10value_typeEPSP_NS1_7vsmem_tEENKUlT_SN_SO_SP_E_clISG_PjSI_PS9_EESM_S12_SN_SO_SP_EUlS12_E0_NS1_11comp_targetILNS1_3genE3ELNS1_11target_archE908ELNS1_3gpuE7ELNS1_3repE0EEENS1_38merge_mergepath_config_static_selectorELNS0_4arch9wavefront6targetE0EEEvSO_.kd
    .uniform_work_group_size: 1
    .uses_dynamic_stack: false
    .vgpr_count:     0
    .vgpr_spill_count: 0
    .wavefront_size: 32
  - .args:
      - .offset:         0
        .size:           64
        .value_kind:     by_value
    .group_segment_fixed_size: 0
    .kernarg_segment_align: 8
    .kernarg_segment_size: 64
    .language:       OpenCL C
    .language_version:
      - 2
      - 0
    .max_flat_workgroup_size: 256
    .name:           _ZN7rocprim17ROCPRIM_400000_NS6detail17trampoline_kernelINS0_14default_configENS1_38merge_sort_block_merge_config_selectorIjN6thrust23THRUST_200600_302600_NS5tupleIffNS6_9null_typeES8_S8_S8_S8_S8_S8_S8_EEEEZZNS1_27merge_sort_block_merge_implIS3_NS6_6detail15normal_iteratorINS6_10device_ptrIjEEEENSD_INSE_IS9_EEEEjNS1_19radix_merge_compareILb0ELb1EjNS0_19identity_decomposerEEEEE10hipError_tT0_T1_T2_jT3_P12ihipStream_tbPNSt15iterator_traitsISN_E10value_typeEPNST_ISO_E10value_typeEPSP_NS1_7vsmem_tEENKUlT_SN_SO_SP_E_clISG_PjSI_PS9_EESM_S12_SN_SO_SP_EUlS12_E0_NS1_11comp_targetILNS1_3genE2ELNS1_11target_archE906ELNS1_3gpuE6ELNS1_3repE0EEENS1_38merge_mergepath_config_static_selectorELNS0_4arch9wavefront6targetE0EEEvSO_
    .private_segment_fixed_size: 0
    .sgpr_count:     0
    .sgpr_spill_count: 0
    .symbol:         _ZN7rocprim17ROCPRIM_400000_NS6detail17trampoline_kernelINS0_14default_configENS1_38merge_sort_block_merge_config_selectorIjN6thrust23THRUST_200600_302600_NS5tupleIffNS6_9null_typeES8_S8_S8_S8_S8_S8_S8_EEEEZZNS1_27merge_sort_block_merge_implIS3_NS6_6detail15normal_iteratorINS6_10device_ptrIjEEEENSD_INSE_IS9_EEEEjNS1_19radix_merge_compareILb0ELb1EjNS0_19identity_decomposerEEEEE10hipError_tT0_T1_T2_jT3_P12ihipStream_tbPNSt15iterator_traitsISN_E10value_typeEPNST_ISO_E10value_typeEPSP_NS1_7vsmem_tEENKUlT_SN_SO_SP_E_clISG_PjSI_PS9_EESM_S12_SN_SO_SP_EUlS12_E0_NS1_11comp_targetILNS1_3genE2ELNS1_11target_archE906ELNS1_3gpuE6ELNS1_3repE0EEENS1_38merge_mergepath_config_static_selectorELNS0_4arch9wavefront6targetE0EEEvSO_.kd
    .uniform_work_group_size: 1
    .uses_dynamic_stack: false
    .vgpr_count:     0
    .vgpr_spill_count: 0
    .wavefront_size: 32
  - .args:
      - .offset:         0
        .size:           64
        .value_kind:     by_value
    .group_segment_fixed_size: 0
    .kernarg_segment_align: 8
    .kernarg_segment_size: 64
    .language:       OpenCL C
    .language_version:
      - 2
      - 0
    .max_flat_workgroup_size: 512
    .name:           _ZN7rocprim17ROCPRIM_400000_NS6detail17trampoline_kernelINS0_14default_configENS1_38merge_sort_block_merge_config_selectorIjN6thrust23THRUST_200600_302600_NS5tupleIffNS6_9null_typeES8_S8_S8_S8_S8_S8_S8_EEEEZZNS1_27merge_sort_block_merge_implIS3_NS6_6detail15normal_iteratorINS6_10device_ptrIjEEEENSD_INSE_IS9_EEEEjNS1_19radix_merge_compareILb0ELb1EjNS0_19identity_decomposerEEEEE10hipError_tT0_T1_T2_jT3_P12ihipStream_tbPNSt15iterator_traitsISN_E10value_typeEPNST_ISO_E10value_typeEPSP_NS1_7vsmem_tEENKUlT_SN_SO_SP_E_clISG_PjSI_PS9_EESM_S12_SN_SO_SP_EUlS12_E0_NS1_11comp_targetILNS1_3genE9ELNS1_11target_archE1100ELNS1_3gpuE3ELNS1_3repE0EEENS1_38merge_mergepath_config_static_selectorELNS0_4arch9wavefront6targetE0EEEvSO_
    .private_segment_fixed_size: 0
    .sgpr_count:     0
    .sgpr_spill_count: 0
    .symbol:         _ZN7rocprim17ROCPRIM_400000_NS6detail17trampoline_kernelINS0_14default_configENS1_38merge_sort_block_merge_config_selectorIjN6thrust23THRUST_200600_302600_NS5tupleIffNS6_9null_typeES8_S8_S8_S8_S8_S8_S8_EEEEZZNS1_27merge_sort_block_merge_implIS3_NS6_6detail15normal_iteratorINS6_10device_ptrIjEEEENSD_INSE_IS9_EEEEjNS1_19radix_merge_compareILb0ELb1EjNS0_19identity_decomposerEEEEE10hipError_tT0_T1_T2_jT3_P12ihipStream_tbPNSt15iterator_traitsISN_E10value_typeEPNST_ISO_E10value_typeEPSP_NS1_7vsmem_tEENKUlT_SN_SO_SP_E_clISG_PjSI_PS9_EESM_S12_SN_SO_SP_EUlS12_E0_NS1_11comp_targetILNS1_3genE9ELNS1_11target_archE1100ELNS1_3gpuE3ELNS1_3repE0EEENS1_38merge_mergepath_config_static_selectorELNS0_4arch9wavefront6targetE0EEEvSO_.kd
    .uniform_work_group_size: 1
    .uses_dynamic_stack: false
    .vgpr_count:     0
    .vgpr_spill_count: 0
    .wavefront_size: 32
  - .args:
      - .offset:         0
        .size:           64
        .value_kind:     by_value
    .group_segment_fixed_size: 0
    .kernarg_segment_align: 8
    .kernarg_segment_size: 64
    .language:       OpenCL C
    .language_version:
      - 2
      - 0
    .max_flat_workgroup_size: 1024
    .name:           _ZN7rocprim17ROCPRIM_400000_NS6detail17trampoline_kernelINS0_14default_configENS1_38merge_sort_block_merge_config_selectorIjN6thrust23THRUST_200600_302600_NS5tupleIffNS6_9null_typeES8_S8_S8_S8_S8_S8_S8_EEEEZZNS1_27merge_sort_block_merge_implIS3_NS6_6detail15normal_iteratorINS6_10device_ptrIjEEEENSD_INSE_IS9_EEEEjNS1_19radix_merge_compareILb0ELb1EjNS0_19identity_decomposerEEEEE10hipError_tT0_T1_T2_jT3_P12ihipStream_tbPNSt15iterator_traitsISN_E10value_typeEPNST_ISO_E10value_typeEPSP_NS1_7vsmem_tEENKUlT_SN_SO_SP_E_clISG_PjSI_PS9_EESM_S12_SN_SO_SP_EUlS12_E0_NS1_11comp_targetILNS1_3genE8ELNS1_11target_archE1030ELNS1_3gpuE2ELNS1_3repE0EEENS1_38merge_mergepath_config_static_selectorELNS0_4arch9wavefront6targetE0EEEvSO_
    .private_segment_fixed_size: 0
    .sgpr_count:     0
    .sgpr_spill_count: 0
    .symbol:         _ZN7rocprim17ROCPRIM_400000_NS6detail17trampoline_kernelINS0_14default_configENS1_38merge_sort_block_merge_config_selectorIjN6thrust23THRUST_200600_302600_NS5tupleIffNS6_9null_typeES8_S8_S8_S8_S8_S8_S8_EEEEZZNS1_27merge_sort_block_merge_implIS3_NS6_6detail15normal_iteratorINS6_10device_ptrIjEEEENSD_INSE_IS9_EEEEjNS1_19radix_merge_compareILb0ELb1EjNS0_19identity_decomposerEEEEE10hipError_tT0_T1_T2_jT3_P12ihipStream_tbPNSt15iterator_traitsISN_E10value_typeEPNST_ISO_E10value_typeEPSP_NS1_7vsmem_tEENKUlT_SN_SO_SP_E_clISG_PjSI_PS9_EESM_S12_SN_SO_SP_EUlS12_E0_NS1_11comp_targetILNS1_3genE8ELNS1_11target_archE1030ELNS1_3gpuE2ELNS1_3repE0EEENS1_38merge_mergepath_config_static_selectorELNS0_4arch9wavefront6targetE0EEEvSO_.kd
    .uniform_work_group_size: 1
    .uses_dynamic_stack: false
    .vgpr_count:     0
    .vgpr_spill_count: 0
    .wavefront_size: 32
  - .args:
      - .offset:         0
        .size:           48
        .value_kind:     by_value
    .group_segment_fixed_size: 0
    .kernarg_segment_align: 8
    .kernarg_segment_size: 48
    .language:       OpenCL C
    .language_version:
      - 2
      - 0
    .max_flat_workgroup_size: 256
    .name:           _ZN7rocprim17ROCPRIM_400000_NS6detail17trampoline_kernelINS0_14default_configENS1_38merge_sort_block_merge_config_selectorIjN6thrust23THRUST_200600_302600_NS5tupleIffNS6_9null_typeES8_S8_S8_S8_S8_S8_S8_EEEEZZNS1_27merge_sort_block_merge_implIS3_NS6_6detail15normal_iteratorINS6_10device_ptrIjEEEENSD_INSE_IS9_EEEEjNS1_19radix_merge_compareILb0ELb1EjNS0_19identity_decomposerEEEEE10hipError_tT0_T1_T2_jT3_P12ihipStream_tbPNSt15iterator_traitsISN_E10value_typeEPNST_ISO_E10value_typeEPSP_NS1_7vsmem_tEENKUlT_SN_SO_SP_E_clISG_PjSI_PS9_EESM_S12_SN_SO_SP_EUlS12_E1_NS1_11comp_targetILNS1_3genE0ELNS1_11target_archE4294967295ELNS1_3gpuE0ELNS1_3repE0EEENS1_36merge_oddeven_config_static_selectorELNS0_4arch9wavefront6targetE0EEEvSO_
    .private_segment_fixed_size: 0
    .sgpr_count:     22
    .sgpr_spill_count: 0
    .symbol:         _ZN7rocprim17ROCPRIM_400000_NS6detail17trampoline_kernelINS0_14default_configENS1_38merge_sort_block_merge_config_selectorIjN6thrust23THRUST_200600_302600_NS5tupleIffNS6_9null_typeES8_S8_S8_S8_S8_S8_S8_EEEEZZNS1_27merge_sort_block_merge_implIS3_NS6_6detail15normal_iteratorINS6_10device_ptrIjEEEENSD_INSE_IS9_EEEEjNS1_19radix_merge_compareILb0ELb1EjNS0_19identity_decomposerEEEEE10hipError_tT0_T1_T2_jT3_P12ihipStream_tbPNSt15iterator_traitsISN_E10value_typeEPNST_ISO_E10value_typeEPSP_NS1_7vsmem_tEENKUlT_SN_SO_SP_E_clISG_PjSI_PS9_EESM_S12_SN_SO_SP_EUlS12_E1_NS1_11comp_targetILNS1_3genE0ELNS1_11target_archE4294967295ELNS1_3gpuE0ELNS1_3repE0EEENS1_36merge_oddeven_config_static_selectorELNS0_4arch9wavefront6targetE0EEEvSO_.kd
    .uniform_work_group_size: 1
    .uses_dynamic_stack: false
    .vgpr_count:     10
    .vgpr_spill_count: 0
    .wavefront_size: 32
  - .args:
      - .offset:         0
        .size:           48
        .value_kind:     by_value
    .group_segment_fixed_size: 0
    .kernarg_segment_align: 8
    .kernarg_segment_size: 48
    .language:       OpenCL C
    .language_version:
      - 2
      - 0
    .max_flat_workgroup_size: 256
    .name:           _ZN7rocprim17ROCPRIM_400000_NS6detail17trampoline_kernelINS0_14default_configENS1_38merge_sort_block_merge_config_selectorIjN6thrust23THRUST_200600_302600_NS5tupleIffNS6_9null_typeES8_S8_S8_S8_S8_S8_S8_EEEEZZNS1_27merge_sort_block_merge_implIS3_NS6_6detail15normal_iteratorINS6_10device_ptrIjEEEENSD_INSE_IS9_EEEEjNS1_19radix_merge_compareILb0ELb1EjNS0_19identity_decomposerEEEEE10hipError_tT0_T1_T2_jT3_P12ihipStream_tbPNSt15iterator_traitsISN_E10value_typeEPNST_ISO_E10value_typeEPSP_NS1_7vsmem_tEENKUlT_SN_SO_SP_E_clISG_PjSI_PS9_EESM_S12_SN_SO_SP_EUlS12_E1_NS1_11comp_targetILNS1_3genE10ELNS1_11target_archE1201ELNS1_3gpuE5ELNS1_3repE0EEENS1_36merge_oddeven_config_static_selectorELNS0_4arch9wavefront6targetE0EEEvSO_
    .private_segment_fixed_size: 0
    .sgpr_count:     0
    .sgpr_spill_count: 0
    .symbol:         _ZN7rocprim17ROCPRIM_400000_NS6detail17trampoline_kernelINS0_14default_configENS1_38merge_sort_block_merge_config_selectorIjN6thrust23THRUST_200600_302600_NS5tupleIffNS6_9null_typeES8_S8_S8_S8_S8_S8_S8_EEEEZZNS1_27merge_sort_block_merge_implIS3_NS6_6detail15normal_iteratorINS6_10device_ptrIjEEEENSD_INSE_IS9_EEEEjNS1_19radix_merge_compareILb0ELb1EjNS0_19identity_decomposerEEEEE10hipError_tT0_T1_T2_jT3_P12ihipStream_tbPNSt15iterator_traitsISN_E10value_typeEPNST_ISO_E10value_typeEPSP_NS1_7vsmem_tEENKUlT_SN_SO_SP_E_clISG_PjSI_PS9_EESM_S12_SN_SO_SP_EUlS12_E1_NS1_11comp_targetILNS1_3genE10ELNS1_11target_archE1201ELNS1_3gpuE5ELNS1_3repE0EEENS1_36merge_oddeven_config_static_selectorELNS0_4arch9wavefront6targetE0EEEvSO_.kd
    .uniform_work_group_size: 1
    .uses_dynamic_stack: false
    .vgpr_count:     0
    .vgpr_spill_count: 0
    .wavefront_size: 32
  - .args:
      - .offset:         0
        .size:           48
        .value_kind:     by_value
    .group_segment_fixed_size: 0
    .kernarg_segment_align: 8
    .kernarg_segment_size: 48
    .language:       OpenCL C
    .language_version:
      - 2
      - 0
    .max_flat_workgroup_size: 256
    .name:           _ZN7rocprim17ROCPRIM_400000_NS6detail17trampoline_kernelINS0_14default_configENS1_38merge_sort_block_merge_config_selectorIjN6thrust23THRUST_200600_302600_NS5tupleIffNS6_9null_typeES8_S8_S8_S8_S8_S8_S8_EEEEZZNS1_27merge_sort_block_merge_implIS3_NS6_6detail15normal_iteratorINS6_10device_ptrIjEEEENSD_INSE_IS9_EEEEjNS1_19radix_merge_compareILb0ELb1EjNS0_19identity_decomposerEEEEE10hipError_tT0_T1_T2_jT3_P12ihipStream_tbPNSt15iterator_traitsISN_E10value_typeEPNST_ISO_E10value_typeEPSP_NS1_7vsmem_tEENKUlT_SN_SO_SP_E_clISG_PjSI_PS9_EESM_S12_SN_SO_SP_EUlS12_E1_NS1_11comp_targetILNS1_3genE5ELNS1_11target_archE942ELNS1_3gpuE9ELNS1_3repE0EEENS1_36merge_oddeven_config_static_selectorELNS0_4arch9wavefront6targetE0EEEvSO_
    .private_segment_fixed_size: 0
    .sgpr_count:     0
    .sgpr_spill_count: 0
    .symbol:         _ZN7rocprim17ROCPRIM_400000_NS6detail17trampoline_kernelINS0_14default_configENS1_38merge_sort_block_merge_config_selectorIjN6thrust23THRUST_200600_302600_NS5tupleIffNS6_9null_typeES8_S8_S8_S8_S8_S8_S8_EEEEZZNS1_27merge_sort_block_merge_implIS3_NS6_6detail15normal_iteratorINS6_10device_ptrIjEEEENSD_INSE_IS9_EEEEjNS1_19radix_merge_compareILb0ELb1EjNS0_19identity_decomposerEEEEE10hipError_tT0_T1_T2_jT3_P12ihipStream_tbPNSt15iterator_traitsISN_E10value_typeEPNST_ISO_E10value_typeEPSP_NS1_7vsmem_tEENKUlT_SN_SO_SP_E_clISG_PjSI_PS9_EESM_S12_SN_SO_SP_EUlS12_E1_NS1_11comp_targetILNS1_3genE5ELNS1_11target_archE942ELNS1_3gpuE9ELNS1_3repE0EEENS1_36merge_oddeven_config_static_selectorELNS0_4arch9wavefront6targetE0EEEvSO_.kd
    .uniform_work_group_size: 1
    .uses_dynamic_stack: false
    .vgpr_count:     0
    .vgpr_spill_count: 0
    .wavefront_size: 32
  - .args:
      - .offset:         0
        .size:           48
        .value_kind:     by_value
    .group_segment_fixed_size: 0
    .kernarg_segment_align: 8
    .kernarg_segment_size: 48
    .language:       OpenCL C
    .language_version:
      - 2
      - 0
    .max_flat_workgroup_size: 256
    .name:           _ZN7rocprim17ROCPRIM_400000_NS6detail17trampoline_kernelINS0_14default_configENS1_38merge_sort_block_merge_config_selectorIjN6thrust23THRUST_200600_302600_NS5tupleIffNS6_9null_typeES8_S8_S8_S8_S8_S8_S8_EEEEZZNS1_27merge_sort_block_merge_implIS3_NS6_6detail15normal_iteratorINS6_10device_ptrIjEEEENSD_INSE_IS9_EEEEjNS1_19radix_merge_compareILb0ELb1EjNS0_19identity_decomposerEEEEE10hipError_tT0_T1_T2_jT3_P12ihipStream_tbPNSt15iterator_traitsISN_E10value_typeEPNST_ISO_E10value_typeEPSP_NS1_7vsmem_tEENKUlT_SN_SO_SP_E_clISG_PjSI_PS9_EESM_S12_SN_SO_SP_EUlS12_E1_NS1_11comp_targetILNS1_3genE4ELNS1_11target_archE910ELNS1_3gpuE8ELNS1_3repE0EEENS1_36merge_oddeven_config_static_selectorELNS0_4arch9wavefront6targetE0EEEvSO_
    .private_segment_fixed_size: 0
    .sgpr_count:     0
    .sgpr_spill_count: 0
    .symbol:         _ZN7rocprim17ROCPRIM_400000_NS6detail17trampoline_kernelINS0_14default_configENS1_38merge_sort_block_merge_config_selectorIjN6thrust23THRUST_200600_302600_NS5tupleIffNS6_9null_typeES8_S8_S8_S8_S8_S8_S8_EEEEZZNS1_27merge_sort_block_merge_implIS3_NS6_6detail15normal_iteratorINS6_10device_ptrIjEEEENSD_INSE_IS9_EEEEjNS1_19radix_merge_compareILb0ELb1EjNS0_19identity_decomposerEEEEE10hipError_tT0_T1_T2_jT3_P12ihipStream_tbPNSt15iterator_traitsISN_E10value_typeEPNST_ISO_E10value_typeEPSP_NS1_7vsmem_tEENKUlT_SN_SO_SP_E_clISG_PjSI_PS9_EESM_S12_SN_SO_SP_EUlS12_E1_NS1_11comp_targetILNS1_3genE4ELNS1_11target_archE910ELNS1_3gpuE8ELNS1_3repE0EEENS1_36merge_oddeven_config_static_selectorELNS0_4arch9wavefront6targetE0EEEvSO_.kd
    .uniform_work_group_size: 1
    .uses_dynamic_stack: false
    .vgpr_count:     0
    .vgpr_spill_count: 0
    .wavefront_size: 32
  - .args:
      - .offset:         0
        .size:           48
        .value_kind:     by_value
    .group_segment_fixed_size: 0
    .kernarg_segment_align: 8
    .kernarg_segment_size: 48
    .language:       OpenCL C
    .language_version:
      - 2
      - 0
    .max_flat_workgroup_size: 256
    .name:           _ZN7rocprim17ROCPRIM_400000_NS6detail17trampoline_kernelINS0_14default_configENS1_38merge_sort_block_merge_config_selectorIjN6thrust23THRUST_200600_302600_NS5tupleIffNS6_9null_typeES8_S8_S8_S8_S8_S8_S8_EEEEZZNS1_27merge_sort_block_merge_implIS3_NS6_6detail15normal_iteratorINS6_10device_ptrIjEEEENSD_INSE_IS9_EEEEjNS1_19radix_merge_compareILb0ELb1EjNS0_19identity_decomposerEEEEE10hipError_tT0_T1_T2_jT3_P12ihipStream_tbPNSt15iterator_traitsISN_E10value_typeEPNST_ISO_E10value_typeEPSP_NS1_7vsmem_tEENKUlT_SN_SO_SP_E_clISG_PjSI_PS9_EESM_S12_SN_SO_SP_EUlS12_E1_NS1_11comp_targetILNS1_3genE3ELNS1_11target_archE908ELNS1_3gpuE7ELNS1_3repE0EEENS1_36merge_oddeven_config_static_selectorELNS0_4arch9wavefront6targetE0EEEvSO_
    .private_segment_fixed_size: 0
    .sgpr_count:     0
    .sgpr_spill_count: 0
    .symbol:         _ZN7rocprim17ROCPRIM_400000_NS6detail17trampoline_kernelINS0_14default_configENS1_38merge_sort_block_merge_config_selectorIjN6thrust23THRUST_200600_302600_NS5tupleIffNS6_9null_typeES8_S8_S8_S8_S8_S8_S8_EEEEZZNS1_27merge_sort_block_merge_implIS3_NS6_6detail15normal_iteratorINS6_10device_ptrIjEEEENSD_INSE_IS9_EEEEjNS1_19radix_merge_compareILb0ELb1EjNS0_19identity_decomposerEEEEE10hipError_tT0_T1_T2_jT3_P12ihipStream_tbPNSt15iterator_traitsISN_E10value_typeEPNST_ISO_E10value_typeEPSP_NS1_7vsmem_tEENKUlT_SN_SO_SP_E_clISG_PjSI_PS9_EESM_S12_SN_SO_SP_EUlS12_E1_NS1_11comp_targetILNS1_3genE3ELNS1_11target_archE908ELNS1_3gpuE7ELNS1_3repE0EEENS1_36merge_oddeven_config_static_selectorELNS0_4arch9wavefront6targetE0EEEvSO_.kd
    .uniform_work_group_size: 1
    .uses_dynamic_stack: false
    .vgpr_count:     0
    .vgpr_spill_count: 0
    .wavefront_size: 32
  - .args:
      - .offset:         0
        .size:           48
        .value_kind:     by_value
    .group_segment_fixed_size: 0
    .kernarg_segment_align: 8
    .kernarg_segment_size: 48
    .language:       OpenCL C
    .language_version:
      - 2
      - 0
    .max_flat_workgroup_size: 256
    .name:           _ZN7rocprim17ROCPRIM_400000_NS6detail17trampoline_kernelINS0_14default_configENS1_38merge_sort_block_merge_config_selectorIjN6thrust23THRUST_200600_302600_NS5tupleIffNS6_9null_typeES8_S8_S8_S8_S8_S8_S8_EEEEZZNS1_27merge_sort_block_merge_implIS3_NS6_6detail15normal_iteratorINS6_10device_ptrIjEEEENSD_INSE_IS9_EEEEjNS1_19radix_merge_compareILb0ELb1EjNS0_19identity_decomposerEEEEE10hipError_tT0_T1_T2_jT3_P12ihipStream_tbPNSt15iterator_traitsISN_E10value_typeEPNST_ISO_E10value_typeEPSP_NS1_7vsmem_tEENKUlT_SN_SO_SP_E_clISG_PjSI_PS9_EESM_S12_SN_SO_SP_EUlS12_E1_NS1_11comp_targetILNS1_3genE2ELNS1_11target_archE906ELNS1_3gpuE6ELNS1_3repE0EEENS1_36merge_oddeven_config_static_selectorELNS0_4arch9wavefront6targetE0EEEvSO_
    .private_segment_fixed_size: 0
    .sgpr_count:     0
    .sgpr_spill_count: 0
    .symbol:         _ZN7rocprim17ROCPRIM_400000_NS6detail17trampoline_kernelINS0_14default_configENS1_38merge_sort_block_merge_config_selectorIjN6thrust23THRUST_200600_302600_NS5tupleIffNS6_9null_typeES8_S8_S8_S8_S8_S8_S8_EEEEZZNS1_27merge_sort_block_merge_implIS3_NS6_6detail15normal_iteratorINS6_10device_ptrIjEEEENSD_INSE_IS9_EEEEjNS1_19radix_merge_compareILb0ELb1EjNS0_19identity_decomposerEEEEE10hipError_tT0_T1_T2_jT3_P12ihipStream_tbPNSt15iterator_traitsISN_E10value_typeEPNST_ISO_E10value_typeEPSP_NS1_7vsmem_tEENKUlT_SN_SO_SP_E_clISG_PjSI_PS9_EESM_S12_SN_SO_SP_EUlS12_E1_NS1_11comp_targetILNS1_3genE2ELNS1_11target_archE906ELNS1_3gpuE6ELNS1_3repE0EEENS1_36merge_oddeven_config_static_selectorELNS0_4arch9wavefront6targetE0EEEvSO_.kd
    .uniform_work_group_size: 1
    .uses_dynamic_stack: false
    .vgpr_count:     0
    .vgpr_spill_count: 0
    .wavefront_size: 32
  - .args:
      - .offset:         0
        .size:           48
        .value_kind:     by_value
    .group_segment_fixed_size: 0
    .kernarg_segment_align: 8
    .kernarg_segment_size: 48
    .language:       OpenCL C
    .language_version:
      - 2
      - 0
    .max_flat_workgroup_size: 256
    .name:           _ZN7rocprim17ROCPRIM_400000_NS6detail17trampoline_kernelINS0_14default_configENS1_38merge_sort_block_merge_config_selectorIjN6thrust23THRUST_200600_302600_NS5tupleIffNS6_9null_typeES8_S8_S8_S8_S8_S8_S8_EEEEZZNS1_27merge_sort_block_merge_implIS3_NS6_6detail15normal_iteratorINS6_10device_ptrIjEEEENSD_INSE_IS9_EEEEjNS1_19radix_merge_compareILb0ELb1EjNS0_19identity_decomposerEEEEE10hipError_tT0_T1_T2_jT3_P12ihipStream_tbPNSt15iterator_traitsISN_E10value_typeEPNST_ISO_E10value_typeEPSP_NS1_7vsmem_tEENKUlT_SN_SO_SP_E_clISG_PjSI_PS9_EESM_S12_SN_SO_SP_EUlS12_E1_NS1_11comp_targetILNS1_3genE9ELNS1_11target_archE1100ELNS1_3gpuE3ELNS1_3repE0EEENS1_36merge_oddeven_config_static_selectorELNS0_4arch9wavefront6targetE0EEEvSO_
    .private_segment_fixed_size: 0
    .sgpr_count:     0
    .sgpr_spill_count: 0
    .symbol:         _ZN7rocprim17ROCPRIM_400000_NS6detail17trampoline_kernelINS0_14default_configENS1_38merge_sort_block_merge_config_selectorIjN6thrust23THRUST_200600_302600_NS5tupleIffNS6_9null_typeES8_S8_S8_S8_S8_S8_S8_EEEEZZNS1_27merge_sort_block_merge_implIS3_NS6_6detail15normal_iteratorINS6_10device_ptrIjEEEENSD_INSE_IS9_EEEEjNS1_19radix_merge_compareILb0ELb1EjNS0_19identity_decomposerEEEEE10hipError_tT0_T1_T2_jT3_P12ihipStream_tbPNSt15iterator_traitsISN_E10value_typeEPNST_ISO_E10value_typeEPSP_NS1_7vsmem_tEENKUlT_SN_SO_SP_E_clISG_PjSI_PS9_EESM_S12_SN_SO_SP_EUlS12_E1_NS1_11comp_targetILNS1_3genE9ELNS1_11target_archE1100ELNS1_3gpuE3ELNS1_3repE0EEENS1_36merge_oddeven_config_static_selectorELNS0_4arch9wavefront6targetE0EEEvSO_.kd
    .uniform_work_group_size: 1
    .uses_dynamic_stack: false
    .vgpr_count:     0
    .vgpr_spill_count: 0
    .wavefront_size: 32
  - .args:
      - .offset:         0
        .size:           48
        .value_kind:     by_value
    .group_segment_fixed_size: 0
    .kernarg_segment_align: 8
    .kernarg_segment_size: 48
    .language:       OpenCL C
    .language_version:
      - 2
      - 0
    .max_flat_workgroup_size: 256
    .name:           _ZN7rocprim17ROCPRIM_400000_NS6detail17trampoline_kernelINS0_14default_configENS1_38merge_sort_block_merge_config_selectorIjN6thrust23THRUST_200600_302600_NS5tupleIffNS6_9null_typeES8_S8_S8_S8_S8_S8_S8_EEEEZZNS1_27merge_sort_block_merge_implIS3_NS6_6detail15normal_iteratorINS6_10device_ptrIjEEEENSD_INSE_IS9_EEEEjNS1_19radix_merge_compareILb0ELb1EjNS0_19identity_decomposerEEEEE10hipError_tT0_T1_T2_jT3_P12ihipStream_tbPNSt15iterator_traitsISN_E10value_typeEPNST_ISO_E10value_typeEPSP_NS1_7vsmem_tEENKUlT_SN_SO_SP_E_clISG_PjSI_PS9_EESM_S12_SN_SO_SP_EUlS12_E1_NS1_11comp_targetILNS1_3genE8ELNS1_11target_archE1030ELNS1_3gpuE2ELNS1_3repE0EEENS1_36merge_oddeven_config_static_selectorELNS0_4arch9wavefront6targetE0EEEvSO_
    .private_segment_fixed_size: 0
    .sgpr_count:     0
    .sgpr_spill_count: 0
    .symbol:         _ZN7rocprim17ROCPRIM_400000_NS6detail17trampoline_kernelINS0_14default_configENS1_38merge_sort_block_merge_config_selectorIjN6thrust23THRUST_200600_302600_NS5tupleIffNS6_9null_typeES8_S8_S8_S8_S8_S8_S8_EEEEZZNS1_27merge_sort_block_merge_implIS3_NS6_6detail15normal_iteratorINS6_10device_ptrIjEEEENSD_INSE_IS9_EEEEjNS1_19radix_merge_compareILb0ELb1EjNS0_19identity_decomposerEEEEE10hipError_tT0_T1_T2_jT3_P12ihipStream_tbPNSt15iterator_traitsISN_E10value_typeEPNST_ISO_E10value_typeEPSP_NS1_7vsmem_tEENKUlT_SN_SO_SP_E_clISG_PjSI_PS9_EESM_S12_SN_SO_SP_EUlS12_E1_NS1_11comp_targetILNS1_3genE8ELNS1_11target_archE1030ELNS1_3gpuE2ELNS1_3repE0EEENS1_36merge_oddeven_config_static_selectorELNS0_4arch9wavefront6targetE0EEEvSO_.kd
    .uniform_work_group_size: 1
    .uses_dynamic_stack: false
    .vgpr_count:     0
    .vgpr_spill_count: 0
    .wavefront_size: 32
  - .args:
      - .offset:         0
        .size:           40
        .value_kind:     by_value
    .group_segment_fixed_size: 16384
    .kernarg_segment_align: 8
    .kernarg_segment_size: 40
    .language:       OpenCL C
    .language_version:
      - 2
      - 0
    .max_flat_workgroup_size: 512
    .name:           _ZN7rocprim17ROCPRIM_400000_NS6detail17trampoline_kernelINS0_14default_configENS1_35radix_sort_onesweep_config_selectorIjN6thrust23THRUST_200600_302600_NS5tupleIffNS6_9null_typeES8_S8_S8_S8_S8_S8_S8_EEEEZNS1_34radix_sort_onesweep_global_offsetsIS3_Lb0ENS6_6detail15normal_iteratorINS6_10device_ptrIjEEEENSD_INSE_IS9_EEEEjNS0_19identity_decomposerEEE10hipError_tT1_T2_PT3_SN_jT4_jjP12ihipStream_tbEUlT_E_NS1_11comp_targetILNS1_3genE0ELNS1_11target_archE4294967295ELNS1_3gpuE0ELNS1_3repE0EEENS1_52radix_sort_onesweep_histogram_config_static_selectorELNS0_4arch9wavefront6targetE0EEEvSL_
    .private_segment_fixed_size: 0
    .sgpr_count:     16
    .sgpr_spill_count: 0
    .symbol:         _ZN7rocprim17ROCPRIM_400000_NS6detail17trampoline_kernelINS0_14default_configENS1_35radix_sort_onesweep_config_selectorIjN6thrust23THRUST_200600_302600_NS5tupleIffNS6_9null_typeES8_S8_S8_S8_S8_S8_S8_EEEEZNS1_34radix_sort_onesweep_global_offsetsIS3_Lb0ENS6_6detail15normal_iteratorINS6_10device_ptrIjEEEENSD_INSE_IS9_EEEEjNS0_19identity_decomposerEEE10hipError_tT1_T2_PT3_SN_jT4_jjP12ihipStream_tbEUlT_E_NS1_11comp_targetILNS1_3genE0ELNS1_11target_archE4294967295ELNS1_3gpuE0ELNS1_3repE0EEENS1_52radix_sort_onesweep_histogram_config_static_selectorELNS0_4arch9wavefront6targetE0EEEvSL_.kd
    .uniform_work_group_size: 1
    .uses_dynamic_stack: false
    .vgpr_count:     20
    .vgpr_spill_count: 0
    .wavefront_size: 32
  - .args:
      - .offset:         0
        .size:           40
        .value_kind:     by_value
    .group_segment_fixed_size: 0
    .kernarg_segment_align: 8
    .kernarg_segment_size: 40
    .language:       OpenCL C
    .language_version:
      - 2
      - 0
    .max_flat_workgroup_size: 1024
    .name:           _ZN7rocprim17ROCPRIM_400000_NS6detail17trampoline_kernelINS0_14default_configENS1_35radix_sort_onesweep_config_selectorIjN6thrust23THRUST_200600_302600_NS5tupleIffNS6_9null_typeES8_S8_S8_S8_S8_S8_S8_EEEEZNS1_34radix_sort_onesweep_global_offsetsIS3_Lb0ENS6_6detail15normal_iteratorINS6_10device_ptrIjEEEENSD_INSE_IS9_EEEEjNS0_19identity_decomposerEEE10hipError_tT1_T2_PT3_SN_jT4_jjP12ihipStream_tbEUlT_E_NS1_11comp_targetILNS1_3genE6ELNS1_11target_archE950ELNS1_3gpuE13ELNS1_3repE0EEENS1_52radix_sort_onesweep_histogram_config_static_selectorELNS0_4arch9wavefront6targetE0EEEvSL_
    .private_segment_fixed_size: 0
    .sgpr_count:     0
    .sgpr_spill_count: 0
    .symbol:         _ZN7rocprim17ROCPRIM_400000_NS6detail17trampoline_kernelINS0_14default_configENS1_35radix_sort_onesweep_config_selectorIjN6thrust23THRUST_200600_302600_NS5tupleIffNS6_9null_typeES8_S8_S8_S8_S8_S8_S8_EEEEZNS1_34radix_sort_onesweep_global_offsetsIS3_Lb0ENS6_6detail15normal_iteratorINS6_10device_ptrIjEEEENSD_INSE_IS9_EEEEjNS0_19identity_decomposerEEE10hipError_tT1_T2_PT3_SN_jT4_jjP12ihipStream_tbEUlT_E_NS1_11comp_targetILNS1_3genE6ELNS1_11target_archE950ELNS1_3gpuE13ELNS1_3repE0EEENS1_52radix_sort_onesweep_histogram_config_static_selectorELNS0_4arch9wavefront6targetE0EEEvSL_.kd
    .uniform_work_group_size: 1
    .uses_dynamic_stack: false
    .vgpr_count:     0
    .vgpr_spill_count: 0
    .wavefront_size: 32
  - .args:
      - .offset:         0
        .size:           40
        .value_kind:     by_value
    .group_segment_fixed_size: 0
    .kernarg_segment_align: 8
    .kernarg_segment_size: 40
    .language:       OpenCL C
    .language_version:
      - 2
      - 0
    .max_flat_workgroup_size: 1024
    .name:           _ZN7rocprim17ROCPRIM_400000_NS6detail17trampoline_kernelINS0_14default_configENS1_35radix_sort_onesweep_config_selectorIjN6thrust23THRUST_200600_302600_NS5tupleIffNS6_9null_typeES8_S8_S8_S8_S8_S8_S8_EEEEZNS1_34radix_sort_onesweep_global_offsetsIS3_Lb0ENS6_6detail15normal_iteratorINS6_10device_ptrIjEEEENSD_INSE_IS9_EEEEjNS0_19identity_decomposerEEE10hipError_tT1_T2_PT3_SN_jT4_jjP12ihipStream_tbEUlT_E_NS1_11comp_targetILNS1_3genE5ELNS1_11target_archE942ELNS1_3gpuE9ELNS1_3repE0EEENS1_52radix_sort_onesweep_histogram_config_static_selectorELNS0_4arch9wavefront6targetE0EEEvSL_
    .private_segment_fixed_size: 0
    .sgpr_count:     0
    .sgpr_spill_count: 0
    .symbol:         _ZN7rocprim17ROCPRIM_400000_NS6detail17trampoline_kernelINS0_14default_configENS1_35radix_sort_onesweep_config_selectorIjN6thrust23THRUST_200600_302600_NS5tupleIffNS6_9null_typeES8_S8_S8_S8_S8_S8_S8_EEEEZNS1_34radix_sort_onesweep_global_offsetsIS3_Lb0ENS6_6detail15normal_iteratorINS6_10device_ptrIjEEEENSD_INSE_IS9_EEEEjNS0_19identity_decomposerEEE10hipError_tT1_T2_PT3_SN_jT4_jjP12ihipStream_tbEUlT_E_NS1_11comp_targetILNS1_3genE5ELNS1_11target_archE942ELNS1_3gpuE9ELNS1_3repE0EEENS1_52radix_sort_onesweep_histogram_config_static_selectorELNS0_4arch9wavefront6targetE0EEEvSL_.kd
    .uniform_work_group_size: 1
    .uses_dynamic_stack: false
    .vgpr_count:     0
    .vgpr_spill_count: 0
    .wavefront_size: 32
  - .args:
      - .offset:         0
        .size:           40
        .value_kind:     by_value
    .group_segment_fixed_size: 0
    .kernarg_segment_align: 8
    .kernarg_segment_size: 40
    .language:       OpenCL C
    .language_version:
      - 2
      - 0
    .max_flat_workgroup_size: 512
    .name:           _ZN7rocprim17ROCPRIM_400000_NS6detail17trampoline_kernelINS0_14default_configENS1_35radix_sort_onesweep_config_selectorIjN6thrust23THRUST_200600_302600_NS5tupleIffNS6_9null_typeES8_S8_S8_S8_S8_S8_S8_EEEEZNS1_34radix_sort_onesweep_global_offsetsIS3_Lb0ENS6_6detail15normal_iteratorINS6_10device_ptrIjEEEENSD_INSE_IS9_EEEEjNS0_19identity_decomposerEEE10hipError_tT1_T2_PT3_SN_jT4_jjP12ihipStream_tbEUlT_E_NS1_11comp_targetILNS1_3genE2ELNS1_11target_archE906ELNS1_3gpuE6ELNS1_3repE0EEENS1_52radix_sort_onesweep_histogram_config_static_selectorELNS0_4arch9wavefront6targetE0EEEvSL_
    .private_segment_fixed_size: 0
    .sgpr_count:     0
    .sgpr_spill_count: 0
    .symbol:         _ZN7rocprim17ROCPRIM_400000_NS6detail17trampoline_kernelINS0_14default_configENS1_35radix_sort_onesweep_config_selectorIjN6thrust23THRUST_200600_302600_NS5tupleIffNS6_9null_typeES8_S8_S8_S8_S8_S8_S8_EEEEZNS1_34radix_sort_onesweep_global_offsetsIS3_Lb0ENS6_6detail15normal_iteratorINS6_10device_ptrIjEEEENSD_INSE_IS9_EEEEjNS0_19identity_decomposerEEE10hipError_tT1_T2_PT3_SN_jT4_jjP12ihipStream_tbEUlT_E_NS1_11comp_targetILNS1_3genE2ELNS1_11target_archE906ELNS1_3gpuE6ELNS1_3repE0EEENS1_52radix_sort_onesweep_histogram_config_static_selectorELNS0_4arch9wavefront6targetE0EEEvSL_.kd
    .uniform_work_group_size: 1
    .uses_dynamic_stack: false
    .vgpr_count:     0
    .vgpr_spill_count: 0
    .wavefront_size: 32
  - .args:
      - .offset:         0
        .size:           40
        .value_kind:     by_value
    .group_segment_fixed_size: 0
    .kernarg_segment_align: 8
    .kernarg_segment_size: 40
    .language:       OpenCL C
    .language_version:
      - 2
      - 0
    .max_flat_workgroup_size: 512
    .name:           _ZN7rocprim17ROCPRIM_400000_NS6detail17trampoline_kernelINS0_14default_configENS1_35radix_sort_onesweep_config_selectorIjN6thrust23THRUST_200600_302600_NS5tupleIffNS6_9null_typeES8_S8_S8_S8_S8_S8_S8_EEEEZNS1_34radix_sort_onesweep_global_offsetsIS3_Lb0ENS6_6detail15normal_iteratorINS6_10device_ptrIjEEEENSD_INSE_IS9_EEEEjNS0_19identity_decomposerEEE10hipError_tT1_T2_PT3_SN_jT4_jjP12ihipStream_tbEUlT_E_NS1_11comp_targetILNS1_3genE4ELNS1_11target_archE910ELNS1_3gpuE8ELNS1_3repE0EEENS1_52radix_sort_onesweep_histogram_config_static_selectorELNS0_4arch9wavefront6targetE0EEEvSL_
    .private_segment_fixed_size: 0
    .sgpr_count:     0
    .sgpr_spill_count: 0
    .symbol:         _ZN7rocprim17ROCPRIM_400000_NS6detail17trampoline_kernelINS0_14default_configENS1_35radix_sort_onesweep_config_selectorIjN6thrust23THRUST_200600_302600_NS5tupleIffNS6_9null_typeES8_S8_S8_S8_S8_S8_S8_EEEEZNS1_34radix_sort_onesweep_global_offsetsIS3_Lb0ENS6_6detail15normal_iteratorINS6_10device_ptrIjEEEENSD_INSE_IS9_EEEEjNS0_19identity_decomposerEEE10hipError_tT1_T2_PT3_SN_jT4_jjP12ihipStream_tbEUlT_E_NS1_11comp_targetILNS1_3genE4ELNS1_11target_archE910ELNS1_3gpuE8ELNS1_3repE0EEENS1_52radix_sort_onesweep_histogram_config_static_selectorELNS0_4arch9wavefront6targetE0EEEvSL_.kd
    .uniform_work_group_size: 1
    .uses_dynamic_stack: false
    .vgpr_count:     0
    .vgpr_spill_count: 0
    .wavefront_size: 32
  - .args:
      - .offset:         0
        .size:           40
        .value_kind:     by_value
    .group_segment_fixed_size: 0
    .kernarg_segment_align: 8
    .kernarg_segment_size: 40
    .language:       OpenCL C
    .language_version:
      - 2
      - 0
    .max_flat_workgroup_size: 512
    .name:           _ZN7rocprim17ROCPRIM_400000_NS6detail17trampoline_kernelINS0_14default_configENS1_35radix_sort_onesweep_config_selectorIjN6thrust23THRUST_200600_302600_NS5tupleIffNS6_9null_typeES8_S8_S8_S8_S8_S8_S8_EEEEZNS1_34radix_sort_onesweep_global_offsetsIS3_Lb0ENS6_6detail15normal_iteratorINS6_10device_ptrIjEEEENSD_INSE_IS9_EEEEjNS0_19identity_decomposerEEE10hipError_tT1_T2_PT3_SN_jT4_jjP12ihipStream_tbEUlT_E_NS1_11comp_targetILNS1_3genE3ELNS1_11target_archE908ELNS1_3gpuE7ELNS1_3repE0EEENS1_52radix_sort_onesweep_histogram_config_static_selectorELNS0_4arch9wavefront6targetE0EEEvSL_
    .private_segment_fixed_size: 0
    .sgpr_count:     0
    .sgpr_spill_count: 0
    .symbol:         _ZN7rocprim17ROCPRIM_400000_NS6detail17trampoline_kernelINS0_14default_configENS1_35radix_sort_onesweep_config_selectorIjN6thrust23THRUST_200600_302600_NS5tupleIffNS6_9null_typeES8_S8_S8_S8_S8_S8_S8_EEEEZNS1_34radix_sort_onesweep_global_offsetsIS3_Lb0ENS6_6detail15normal_iteratorINS6_10device_ptrIjEEEENSD_INSE_IS9_EEEEjNS0_19identity_decomposerEEE10hipError_tT1_T2_PT3_SN_jT4_jjP12ihipStream_tbEUlT_E_NS1_11comp_targetILNS1_3genE3ELNS1_11target_archE908ELNS1_3gpuE7ELNS1_3repE0EEENS1_52radix_sort_onesweep_histogram_config_static_selectorELNS0_4arch9wavefront6targetE0EEEvSL_.kd
    .uniform_work_group_size: 1
    .uses_dynamic_stack: false
    .vgpr_count:     0
    .vgpr_spill_count: 0
    .wavefront_size: 32
  - .args:
      - .offset:         0
        .size:           40
        .value_kind:     by_value
    .group_segment_fixed_size: 0
    .kernarg_segment_align: 8
    .kernarg_segment_size: 40
    .language:       OpenCL C
    .language_version:
      - 2
      - 0
    .max_flat_workgroup_size: 1024
    .name:           _ZN7rocprim17ROCPRIM_400000_NS6detail17trampoline_kernelINS0_14default_configENS1_35radix_sort_onesweep_config_selectorIjN6thrust23THRUST_200600_302600_NS5tupleIffNS6_9null_typeES8_S8_S8_S8_S8_S8_S8_EEEEZNS1_34radix_sort_onesweep_global_offsetsIS3_Lb0ENS6_6detail15normal_iteratorINS6_10device_ptrIjEEEENSD_INSE_IS9_EEEEjNS0_19identity_decomposerEEE10hipError_tT1_T2_PT3_SN_jT4_jjP12ihipStream_tbEUlT_E_NS1_11comp_targetILNS1_3genE10ELNS1_11target_archE1201ELNS1_3gpuE5ELNS1_3repE0EEENS1_52radix_sort_onesweep_histogram_config_static_selectorELNS0_4arch9wavefront6targetE0EEEvSL_
    .private_segment_fixed_size: 0
    .sgpr_count:     0
    .sgpr_spill_count: 0
    .symbol:         _ZN7rocprim17ROCPRIM_400000_NS6detail17trampoline_kernelINS0_14default_configENS1_35radix_sort_onesweep_config_selectorIjN6thrust23THRUST_200600_302600_NS5tupleIffNS6_9null_typeES8_S8_S8_S8_S8_S8_S8_EEEEZNS1_34radix_sort_onesweep_global_offsetsIS3_Lb0ENS6_6detail15normal_iteratorINS6_10device_ptrIjEEEENSD_INSE_IS9_EEEEjNS0_19identity_decomposerEEE10hipError_tT1_T2_PT3_SN_jT4_jjP12ihipStream_tbEUlT_E_NS1_11comp_targetILNS1_3genE10ELNS1_11target_archE1201ELNS1_3gpuE5ELNS1_3repE0EEENS1_52radix_sort_onesweep_histogram_config_static_selectorELNS0_4arch9wavefront6targetE0EEEvSL_.kd
    .uniform_work_group_size: 1
    .uses_dynamic_stack: false
    .vgpr_count:     0
    .vgpr_spill_count: 0
    .wavefront_size: 32
  - .args:
      - .offset:         0
        .size:           40
        .value_kind:     by_value
    .group_segment_fixed_size: 0
    .kernarg_segment_align: 8
    .kernarg_segment_size: 40
    .language:       OpenCL C
    .language_version:
      - 2
      - 0
    .max_flat_workgroup_size: 1024
    .name:           _ZN7rocprim17ROCPRIM_400000_NS6detail17trampoline_kernelINS0_14default_configENS1_35radix_sort_onesweep_config_selectorIjN6thrust23THRUST_200600_302600_NS5tupleIffNS6_9null_typeES8_S8_S8_S8_S8_S8_S8_EEEEZNS1_34radix_sort_onesweep_global_offsetsIS3_Lb0ENS6_6detail15normal_iteratorINS6_10device_ptrIjEEEENSD_INSE_IS9_EEEEjNS0_19identity_decomposerEEE10hipError_tT1_T2_PT3_SN_jT4_jjP12ihipStream_tbEUlT_E_NS1_11comp_targetILNS1_3genE9ELNS1_11target_archE1100ELNS1_3gpuE3ELNS1_3repE0EEENS1_52radix_sort_onesweep_histogram_config_static_selectorELNS0_4arch9wavefront6targetE0EEEvSL_
    .private_segment_fixed_size: 0
    .sgpr_count:     0
    .sgpr_spill_count: 0
    .symbol:         _ZN7rocprim17ROCPRIM_400000_NS6detail17trampoline_kernelINS0_14default_configENS1_35radix_sort_onesweep_config_selectorIjN6thrust23THRUST_200600_302600_NS5tupleIffNS6_9null_typeES8_S8_S8_S8_S8_S8_S8_EEEEZNS1_34radix_sort_onesweep_global_offsetsIS3_Lb0ENS6_6detail15normal_iteratorINS6_10device_ptrIjEEEENSD_INSE_IS9_EEEEjNS0_19identity_decomposerEEE10hipError_tT1_T2_PT3_SN_jT4_jjP12ihipStream_tbEUlT_E_NS1_11comp_targetILNS1_3genE9ELNS1_11target_archE1100ELNS1_3gpuE3ELNS1_3repE0EEENS1_52radix_sort_onesweep_histogram_config_static_selectorELNS0_4arch9wavefront6targetE0EEEvSL_.kd
    .uniform_work_group_size: 1
    .uses_dynamic_stack: false
    .vgpr_count:     0
    .vgpr_spill_count: 0
    .wavefront_size: 32
  - .args:
      - .offset:         0
        .size:           40
        .value_kind:     by_value
    .group_segment_fixed_size: 0
    .kernarg_segment_align: 8
    .kernarg_segment_size: 40
    .language:       OpenCL C
    .language_version:
      - 2
      - 0
    .max_flat_workgroup_size: 1024
    .name:           _ZN7rocprim17ROCPRIM_400000_NS6detail17trampoline_kernelINS0_14default_configENS1_35radix_sort_onesweep_config_selectorIjN6thrust23THRUST_200600_302600_NS5tupleIffNS6_9null_typeES8_S8_S8_S8_S8_S8_S8_EEEEZNS1_34radix_sort_onesweep_global_offsetsIS3_Lb0ENS6_6detail15normal_iteratorINS6_10device_ptrIjEEEENSD_INSE_IS9_EEEEjNS0_19identity_decomposerEEE10hipError_tT1_T2_PT3_SN_jT4_jjP12ihipStream_tbEUlT_E_NS1_11comp_targetILNS1_3genE8ELNS1_11target_archE1030ELNS1_3gpuE2ELNS1_3repE0EEENS1_52radix_sort_onesweep_histogram_config_static_selectorELNS0_4arch9wavefront6targetE0EEEvSL_
    .private_segment_fixed_size: 0
    .sgpr_count:     0
    .sgpr_spill_count: 0
    .symbol:         _ZN7rocprim17ROCPRIM_400000_NS6detail17trampoline_kernelINS0_14default_configENS1_35radix_sort_onesweep_config_selectorIjN6thrust23THRUST_200600_302600_NS5tupleIffNS6_9null_typeES8_S8_S8_S8_S8_S8_S8_EEEEZNS1_34radix_sort_onesweep_global_offsetsIS3_Lb0ENS6_6detail15normal_iteratorINS6_10device_ptrIjEEEENSD_INSE_IS9_EEEEjNS0_19identity_decomposerEEE10hipError_tT1_T2_PT3_SN_jT4_jjP12ihipStream_tbEUlT_E_NS1_11comp_targetILNS1_3genE8ELNS1_11target_archE1030ELNS1_3gpuE2ELNS1_3repE0EEENS1_52radix_sort_onesweep_histogram_config_static_selectorELNS0_4arch9wavefront6targetE0EEEvSL_.kd
    .uniform_work_group_size: 1
    .uses_dynamic_stack: false
    .vgpr_count:     0
    .vgpr_spill_count: 0
    .wavefront_size: 32
  - .args:
      - .address_space:  global
        .offset:         0
        .size:           8
        .value_kind:     global_buffer
    .group_segment_fixed_size: 64
    .kernarg_segment_align: 8
    .kernarg_segment_size: 8
    .language:       OpenCL C
    .language_version:
      - 2
      - 0
    .max_flat_workgroup_size: 512
    .name:           _ZN7rocprim17ROCPRIM_400000_NS6detail17trampoline_kernelINS0_14default_configENS1_35radix_sort_onesweep_config_selectorIjN6thrust23THRUST_200600_302600_NS5tupleIffNS6_9null_typeES8_S8_S8_S8_S8_S8_S8_EEEEZNS1_34radix_sort_onesweep_global_offsetsIS3_Lb0ENS6_6detail15normal_iteratorINS6_10device_ptrIjEEEENSD_INSE_IS9_EEEEjNS0_19identity_decomposerEEE10hipError_tT1_T2_PT3_SN_jT4_jjP12ihipStream_tbEUlT_E0_NS1_11comp_targetILNS1_3genE0ELNS1_11target_archE4294967295ELNS1_3gpuE0ELNS1_3repE0EEENS1_52radix_sort_onesweep_histogram_config_static_selectorELNS0_4arch9wavefront6targetE0EEEvSL_
    .private_segment_fixed_size: 0
    .sgpr_count:     10
    .sgpr_spill_count: 0
    .symbol:         _ZN7rocprim17ROCPRIM_400000_NS6detail17trampoline_kernelINS0_14default_configENS1_35radix_sort_onesweep_config_selectorIjN6thrust23THRUST_200600_302600_NS5tupleIffNS6_9null_typeES8_S8_S8_S8_S8_S8_S8_EEEEZNS1_34radix_sort_onesweep_global_offsetsIS3_Lb0ENS6_6detail15normal_iteratorINS6_10device_ptrIjEEEENSD_INSE_IS9_EEEEjNS0_19identity_decomposerEEE10hipError_tT1_T2_PT3_SN_jT4_jjP12ihipStream_tbEUlT_E0_NS1_11comp_targetILNS1_3genE0ELNS1_11target_archE4294967295ELNS1_3gpuE0ELNS1_3repE0EEENS1_52radix_sort_onesweep_histogram_config_static_selectorELNS0_4arch9wavefront6targetE0EEEvSL_.kd
    .uniform_work_group_size: 1
    .uses_dynamic_stack: false
    .vgpr_count:     7
    .vgpr_spill_count: 0
    .wavefront_size: 32
  - .args:
      - .address_space:  global
        .offset:         0
        .size:           8
        .value_kind:     global_buffer
    .group_segment_fixed_size: 0
    .kernarg_segment_align: 8
    .kernarg_segment_size: 8
    .language:       OpenCL C
    .language_version:
      - 2
      - 0
    .max_flat_workgroup_size: 1024
    .name:           _ZN7rocprim17ROCPRIM_400000_NS6detail17trampoline_kernelINS0_14default_configENS1_35radix_sort_onesweep_config_selectorIjN6thrust23THRUST_200600_302600_NS5tupleIffNS6_9null_typeES8_S8_S8_S8_S8_S8_S8_EEEEZNS1_34radix_sort_onesweep_global_offsetsIS3_Lb0ENS6_6detail15normal_iteratorINS6_10device_ptrIjEEEENSD_INSE_IS9_EEEEjNS0_19identity_decomposerEEE10hipError_tT1_T2_PT3_SN_jT4_jjP12ihipStream_tbEUlT_E0_NS1_11comp_targetILNS1_3genE6ELNS1_11target_archE950ELNS1_3gpuE13ELNS1_3repE0EEENS1_52radix_sort_onesweep_histogram_config_static_selectorELNS0_4arch9wavefront6targetE0EEEvSL_
    .private_segment_fixed_size: 0
    .sgpr_count:     0
    .sgpr_spill_count: 0
    .symbol:         _ZN7rocprim17ROCPRIM_400000_NS6detail17trampoline_kernelINS0_14default_configENS1_35radix_sort_onesweep_config_selectorIjN6thrust23THRUST_200600_302600_NS5tupleIffNS6_9null_typeES8_S8_S8_S8_S8_S8_S8_EEEEZNS1_34radix_sort_onesweep_global_offsetsIS3_Lb0ENS6_6detail15normal_iteratorINS6_10device_ptrIjEEEENSD_INSE_IS9_EEEEjNS0_19identity_decomposerEEE10hipError_tT1_T2_PT3_SN_jT4_jjP12ihipStream_tbEUlT_E0_NS1_11comp_targetILNS1_3genE6ELNS1_11target_archE950ELNS1_3gpuE13ELNS1_3repE0EEENS1_52radix_sort_onesweep_histogram_config_static_selectorELNS0_4arch9wavefront6targetE0EEEvSL_.kd
    .uniform_work_group_size: 1
    .uses_dynamic_stack: false
    .vgpr_count:     0
    .vgpr_spill_count: 0
    .wavefront_size: 32
  - .args:
      - .address_space:  global
        .offset:         0
        .size:           8
        .value_kind:     global_buffer
    .group_segment_fixed_size: 0
    .kernarg_segment_align: 8
    .kernarg_segment_size: 8
    .language:       OpenCL C
    .language_version:
      - 2
      - 0
    .max_flat_workgroup_size: 1024
    .name:           _ZN7rocprim17ROCPRIM_400000_NS6detail17trampoline_kernelINS0_14default_configENS1_35radix_sort_onesweep_config_selectorIjN6thrust23THRUST_200600_302600_NS5tupleIffNS6_9null_typeES8_S8_S8_S8_S8_S8_S8_EEEEZNS1_34radix_sort_onesweep_global_offsetsIS3_Lb0ENS6_6detail15normal_iteratorINS6_10device_ptrIjEEEENSD_INSE_IS9_EEEEjNS0_19identity_decomposerEEE10hipError_tT1_T2_PT3_SN_jT4_jjP12ihipStream_tbEUlT_E0_NS1_11comp_targetILNS1_3genE5ELNS1_11target_archE942ELNS1_3gpuE9ELNS1_3repE0EEENS1_52radix_sort_onesweep_histogram_config_static_selectorELNS0_4arch9wavefront6targetE0EEEvSL_
    .private_segment_fixed_size: 0
    .sgpr_count:     0
    .sgpr_spill_count: 0
    .symbol:         _ZN7rocprim17ROCPRIM_400000_NS6detail17trampoline_kernelINS0_14default_configENS1_35radix_sort_onesweep_config_selectorIjN6thrust23THRUST_200600_302600_NS5tupleIffNS6_9null_typeES8_S8_S8_S8_S8_S8_S8_EEEEZNS1_34radix_sort_onesweep_global_offsetsIS3_Lb0ENS6_6detail15normal_iteratorINS6_10device_ptrIjEEEENSD_INSE_IS9_EEEEjNS0_19identity_decomposerEEE10hipError_tT1_T2_PT3_SN_jT4_jjP12ihipStream_tbEUlT_E0_NS1_11comp_targetILNS1_3genE5ELNS1_11target_archE942ELNS1_3gpuE9ELNS1_3repE0EEENS1_52radix_sort_onesweep_histogram_config_static_selectorELNS0_4arch9wavefront6targetE0EEEvSL_.kd
    .uniform_work_group_size: 1
    .uses_dynamic_stack: false
    .vgpr_count:     0
    .vgpr_spill_count: 0
    .wavefront_size: 32
  - .args:
      - .address_space:  global
        .offset:         0
        .size:           8
        .value_kind:     global_buffer
    .group_segment_fixed_size: 0
    .kernarg_segment_align: 8
    .kernarg_segment_size: 8
    .language:       OpenCL C
    .language_version:
      - 2
      - 0
    .max_flat_workgroup_size: 512
    .name:           _ZN7rocprim17ROCPRIM_400000_NS6detail17trampoline_kernelINS0_14default_configENS1_35radix_sort_onesweep_config_selectorIjN6thrust23THRUST_200600_302600_NS5tupleIffNS6_9null_typeES8_S8_S8_S8_S8_S8_S8_EEEEZNS1_34radix_sort_onesweep_global_offsetsIS3_Lb0ENS6_6detail15normal_iteratorINS6_10device_ptrIjEEEENSD_INSE_IS9_EEEEjNS0_19identity_decomposerEEE10hipError_tT1_T2_PT3_SN_jT4_jjP12ihipStream_tbEUlT_E0_NS1_11comp_targetILNS1_3genE2ELNS1_11target_archE906ELNS1_3gpuE6ELNS1_3repE0EEENS1_52radix_sort_onesweep_histogram_config_static_selectorELNS0_4arch9wavefront6targetE0EEEvSL_
    .private_segment_fixed_size: 0
    .sgpr_count:     0
    .sgpr_spill_count: 0
    .symbol:         _ZN7rocprim17ROCPRIM_400000_NS6detail17trampoline_kernelINS0_14default_configENS1_35radix_sort_onesweep_config_selectorIjN6thrust23THRUST_200600_302600_NS5tupleIffNS6_9null_typeES8_S8_S8_S8_S8_S8_S8_EEEEZNS1_34radix_sort_onesweep_global_offsetsIS3_Lb0ENS6_6detail15normal_iteratorINS6_10device_ptrIjEEEENSD_INSE_IS9_EEEEjNS0_19identity_decomposerEEE10hipError_tT1_T2_PT3_SN_jT4_jjP12ihipStream_tbEUlT_E0_NS1_11comp_targetILNS1_3genE2ELNS1_11target_archE906ELNS1_3gpuE6ELNS1_3repE0EEENS1_52radix_sort_onesweep_histogram_config_static_selectorELNS0_4arch9wavefront6targetE0EEEvSL_.kd
    .uniform_work_group_size: 1
    .uses_dynamic_stack: false
    .vgpr_count:     0
    .vgpr_spill_count: 0
    .wavefront_size: 32
  - .args:
      - .address_space:  global
        .offset:         0
        .size:           8
        .value_kind:     global_buffer
    .group_segment_fixed_size: 0
    .kernarg_segment_align: 8
    .kernarg_segment_size: 8
    .language:       OpenCL C
    .language_version:
      - 2
      - 0
    .max_flat_workgroup_size: 512
    .name:           _ZN7rocprim17ROCPRIM_400000_NS6detail17trampoline_kernelINS0_14default_configENS1_35radix_sort_onesweep_config_selectorIjN6thrust23THRUST_200600_302600_NS5tupleIffNS6_9null_typeES8_S8_S8_S8_S8_S8_S8_EEEEZNS1_34radix_sort_onesweep_global_offsetsIS3_Lb0ENS6_6detail15normal_iteratorINS6_10device_ptrIjEEEENSD_INSE_IS9_EEEEjNS0_19identity_decomposerEEE10hipError_tT1_T2_PT3_SN_jT4_jjP12ihipStream_tbEUlT_E0_NS1_11comp_targetILNS1_3genE4ELNS1_11target_archE910ELNS1_3gpuE8ELNS1_3repE0EEENS1_52radix_sort_onesweep_histogram_config_static_selectorELNS0_4arch9wavefront6targetE0EEEvSL_
    .private_segment_fixed_size: 0
    .sgpr_count:     0
    .sgpr_spill_count: 0
    .symbol:         _ZN7rocprim17ROCPRIM_400000_NS6detail17trampoline_kernelINS0_14default_configENS1_35radix_sort_onesweep_config_selectorIjN6thrust23THRUST_200600_302600_NS5tupleIffNS6_9null_typeES8_S8_S8_S8_S8_S8_S8_EEEEZNS1_34radix_sort_onesweep_global_offsetsIS3_Lb0ENS6_6detail15normal_iteratorINS6_10device_ptrIjEEEENSD_INSE_IS9_EEEEjNS0_19identity_decomposerEEE10hipError_tT1_T2_PT3_SN_jT4_jjP12ihipStream_tbEUlT_E0_NS1_11comp_targetILNS1_3genE4ELNS1_11target_archE910ELNS1_3gpuE8ELNS1_3repE0EEENS1_52radix_sort_onesweep_histogram_config_static_selectorELNS0_4arch9wavefront6targetE0EEEvSL_.kd
    .uniform_work_group_size: 1
    .uses_dynamic_stack: false
    .vgpr_count:     0
    .vgpr_spill_count: 0
    .wavefront_size: 32
  - .args:
      - .address_space:  global
        .offset:         0
        .size:           8
        .value_kind:     global_buffer
    .group_segment_fixed_size: 0
    .kernarg_segment_align: 8
    .kernarg_segment_size: 8
    .language:       OpenCL C
    .language_version:
      - 2
      - 0
    .max_flat_workgroup_size: 512
    .name:           _ZN7rocprim17ROCPRIM_400000_NS6detail17trampoline_kernelINS0_14default_configENS1_35radix_sort_onesweep_config_selectorIjN6thrust23THRUST_200600_302600_NS5tupleIffNS6_9null_typeES8_S8_S8_S8_S8_S8_S8_EEEEZNS1_34radix_sort_onesweep_global_offsetsIS3_Lb0ENS6_6detail15normal_iteratorINS6_10device_ptrIjEEEENSD_INSE_IS9_EEEEjNS0_19identity_decomposerEEE10hipError_tT1_T2_PT3_SN_jT4_jjP12ihipStream_tbEUlT_E0_NS1_11comp_targetILNS1_3genE3ELNS1_11target_archE908ELNS1_3gpuE7ELNS1_3repE0EEENS1_52radix_sort_onesweep_histogram_config_static_selectorELNS0_4arch9wavefront6targetE0EEEvSL_
    .private_segment_fixed_size: 0
    .sgpr_count:     0
    .sgpr_spill_count: 0
    .symbol:         _ZN7rocprim17ROCPRIM_400000_NS6detail17trampoline_kernelINS0_14default_configENS1_35radix_sort_onesweep_config_selectorIjN6thrust23THRUST_200600_302600_NS5tupleIffNS6_9null_typeES8_S8_S8_S8_S8_S8_S8_EEEEZNS1_34radix_sort_onesweep_global_offsetsIS3_Lb0ENS6_6detail15normal_iteratorINS6_10device_ptrIjEEEENSD_INSE_IS9_EEEEjNS0_19identity_decomposerEEE10hipError_tT1_T2_PT3_SN_jT4_jjP12ihipStream_tbEUlT_E0_NS1_11comp_targetILNS1_3genE3ELNS1_11target_archE908ELNS1_3gpuE7ELNS1_3repE0EEENS1_52radix_sort_onesweep_histogram_config_static_selectorELNS0_4arch9wavefront6targetE0EEEvSL_.kd
    .uniform_work_group_size: 1
    .uses_dynamic_stack: false
    .vgpr_count:     0
    .vgpr_spill_count: 0
    .wavefront_size: 32
  - .args:
      - .address_space:  global
        .offset:         0
        .size:           8
        .value_kind:     global_buffer
    .group_segment_fixed_size: 0
    .kernarg_segment_align: 8
    .kernarg_segment_size: 8
    .language:       OpenCL C
    .language_version:
      - 2
      - 0
    .max_flat_workgroup_size: 1024
    .name:           _ZN7rocprim17ROCPRIM_400000_NS6detail17trampoline_kernelINS0_14default_configENS1_35radix_sort_onesweep_config_selectorIjN6thrust23THRUST_200600_302600_NS5tupleIffNS6_9null_typeES8_S8_S8_S8_S8_S8_S8_EEEEZNS1_34radix_sort_onesweep_global_offsetsIS3_Lb0ENS6_6detail15normal_iteratorINS6_10device_ptrIjEEEENSD_INSE_IS9_EEEEjNS0_19identity_decomposerEEE10hipError_tT1_T2_PT3_SN_jT4_jjP12ihipStream_tbEUlT_E0_NS1_11comp_targetILNS1_3genE10ELNS1_11target_archE1201ELNS1_3gpuE5ELNS1_3repE0EEENS1_52radix_sort_onesweep_histogram_config_static_selectorELNS0_4arch9wavefront6targetE0EEEvSL_
    .private_segment_fixed_size: 0
    .sgpr_count:     0
    .sgpr_spill_count: 0
    .symbol:         _ZN7rocprim17ROCPRIM_400000_NS6detail17trampoline_kernelINS0_14default_configENS1_35radix_sort_onesweep_config_selectorIjN6thrust23THRUST_200600_302600_NS5tupleIffNS6_9null_typeES8_S8_S8_S8_S8_S8_S8_EEEEZNS1_34radix_sort_onesweep_global_offsetsIS3_Lb0ENS6_6detail15normal_iteratorINS6_10device_ptrIjEEEENSD_INSE_IS9_EEEEjNS0_19identity_decomposerEEE10hipError_tT1_T2_PT3_SN_jT4_jjP12ihipStream_tbEUlT_E0_NS1_11comp_targetILNS1_3genE10ELNS1_11target_archE1201ELNS1_3gpuE5ELNS1_3repE0EEENS1_52radix_sort_onesweep_histogram_config_static_selectorELNS0_4arch9wavefront6targetE0EEEvSL_.kd
    .uniform_work_group_size: 1
    .uses_dynamic_stack: false
    .vgpr_count:     0
    .vgpr_spill_count: 0
    .wavefront_size: 32
  - .args:
      - .address_space:  global
        .offset:         0
        .size:           8
        .value_kind:     global_buffer
    .group_segment_fixed_size: 0
    .kernarg_segment_align: 8
    .kernarg_segment_size: 8
    .language:       OpenCL C
    .language_version:
      - 2
      - 0
    .max_flat_workgroup_size: 1024
    .name:           _ZN7rocprim17ROCPRIM_400000_NS6detail17trampoline_kernelINS0_14default_configENS1_35radix_sort_onesweep_config_selectorIjN6thrust23THRUST_200600_302600_NS5tupleIffNS6_9null_typeES8_S8_S8_S8_S8_S8_S8_EEEEZNS1_34radix_sort_onesweep_global_offsetsIS3_Lb0ENS6_6detail15normal_iteratorINS6_10device_ptrIjEEEENSD_INSE_IS9_EEEEjNS0_19identity_decomposerEEE10hipError_tT1_T2_PT3_SN_jT4_jjP12ihipStream_tbEUlT_E0_NS1_11comp_targetILNS1_3genE9ELNS1_11target_archE1100ELNS1_3gpuE3ELNS1_3repE0EEENS1_52radix_sort_onesweep_histogram_config_static_selectorELNS0_4arch9wavefront6targetE0EEEvSL_
    .private_segment_fixed_size: 0
    .sgpr_count:     0
    .sgpr_spill_count: 0
    .symbol:         _ZN7rocprim17ROCPRIM_400000_NS6detail17trampoline_kernelINS0_14default_configENS1_35radix_sort_onesweep_config_selectorIjN6thrust23THRUST_200600_302600_NS5tupleIffNS6_9null_typeES8_S8_S8_S8_S8_S8_S8_EEEEZNS1_34radix_sort_onesweep_global_offsetsIS3_Lb0ENS6_6detail15normal_iteratorINS6_10device_ptrIjEEEENSD_INSE_IS9_EEEEjNS0_19identity_decomposerEEE10hipError_tT1_T2_PT3_SN_jT4_jjP12ihipStream_tbEUlT_E0_NS1_11comp_targetILNS1_3genE9ELNS1_11target_archE1100ELNS1_3gpuE3ELNS1_3repE0EEENS1_52radix_sort_onesweep_histogram_config_static_selectorELNS0_4arch9wavefront6targetE0EEEvSL_.kd
    .uniform_work_group_size: 1
    .uses_dynamic_stack: false
    .vgpr_count:     0
    .vgpr_spill_count: 0
    .wavefront_size: 32
  - .args:
      - .address_space:  global
        .offset:         0
        .size:           8
        .value_kind:     global_buffer
    .group_segment_fixed_size: 0
    .kernarg_segment_align: 8
    .kernarg_segment_size: 8
    .language:       OpenCL C
    .language_version:
      - 2
      - 0
    .max_flat_workgroup_size: 1024
    .name:           _ZN7rocprim17ROCPRIM_400000_NS6detail17trampoline_kernelINS0_14default_configENS1_35radix_sort_onesweep_config_selectorIjN6thrust23THRUST_200600_302600_NS5tupleIffNS6_9null_typeES8_S8_S8_S8_S8_S8_S8_EEEEZNS1_34radix_sort_onesweep_global_offsetsIS3_Lb0ENS6_6detail15normal_iteratorINS6_10device_ptrIjEEEENSD_INSE_IS9_EEEEjNS0_19identity_decomposerEEE10hipError_tT1_T2_PT3_SN_jT4_jjP12ihipStream_tbEUlT_E0_NS1_11comp_targetILNS1_3genE8ELNS1_11target_archE1030ELNS1_3gpuE2ELNS1_3repE0EEENS1_52radix_sort_onesweep_histogram_config_static_selectorELNS0_4arch9wavefront6targetE0EEEvSL_
    .private_segment_fixed_size: 0
    .sgpr_count:     0
    .sgpr_spill_count: 0
    .symbol:         _ZN7rocprim17ROCPRIM_400000_NS6detail17trampoline_kernelINS0_14default_configENS1_35radix_sort_onesweep_config_selectorIjN6thrust23THRUST_200600_302600_NS5tupleIffNS6_9null_typeES8_S8_S8_S8_S8_S8_S8_EEEEZNS1_34radix_sort_onesweep_global_offsetsIS3_Lb0ENS6_6detail15normal_iteratorINS6_10device_ptrIjEEEENSD_INSE_IS9_EEEEjNS0_19identity_decomposerEEE10hipError_tT1_T2_PT3_SN_jT4_jjP12ihipStream_tbEUlT_E0_NS1_11comp_targetILNS1_3genE8ELNS1_11target_archE1030ELNS1_3gpuE2ELNS1_3repE0EEENS1_52radix_sort_onesweep_histogram_config_static_selectorELNS0_4arch9wavefront6targetE0EEEvSL_.kd
    .uniform_work_group_size: 1
    .uses_dynamic_stack: false
    .vgpr_count:     0
    .vgpr_spill_count: 0
    .wavefront_size: 32
  - .args:
      - .offset:         0
        .size:           40
        .value_kind:     by_value
      - .offset:         40
        .size:           4
        .value_kind:     hidden_block_count_x
      - .offset:         44
        .size:           4
        .value_kind:     hidden_block_count_y
      - .offset:         48
        .size:           4
        .value_kind:     hidden_block_count_z
      - .offset:         52
        .size:           2
        .value_kind:     hidden_group_size_x
      - .offset:         54
        .size:           2
        .value_kind:     hidden_group_size_y
      - .offset:         56
        .size:           2
        .value_kind:     hidden_group_size_z
      - .offset:         58
        .size:           2
        .value_kind:     hidden_remainder_x
      - .offset:         60
        .size:           2
        .value_kind:     hidden_remainder_y
      - .offset:         62
        .size:           2
        .value_kind:     hidden_remainder_z
      - .offset:         80
        .size:           8
        .value_kind:     hidden_global_offset_x
      - .offset:         88
        .size:           8
        .value_kind:     hidden_global_offset_y
      - .offset:         96
        .size:           8
        .value_kind:     hidden_global_offset_z
      - .offset:         104
        .size:           2
        .value_kind:     hidden_grid_dims
    .group_segment_fixed_size: 0
    .kernarg_segment_align: 8
    .kernarg_segment_size: 296
    .language:       OpenCL C
    .language_version:
      - 2
      - 0
    .max_flat_workgroup_size: 128
    .name:           _ZN7rocprim17ROCPRIM_400000_NS6detail17trampoline_kernelINS0_14default_configENS1_25transform_config_selectorIjLb0EEEZNS1_14transform_implILb0ES3_S5_N6thrust23THRUST_200600_302600_NS6detail15normal_iteratorINS8_10device_ptrIjEEEEPjNS0_8identityIjEEEE10hipError_tT2_T3_mT4_P12ihipStream_tbEUlT_E_NS1_11comp_targetILNS1_3genE0ELNS1_11target_archE4294967295ELNS1_3gpuE0ELNS1_3repE0EEENS1_30default_config_static_selectorELNS0_4arch9wavefront6targetE0EEEvT1_
    .private_segment_fixed_size: 0
    .sgpr_count:     17
    .sgpr_spill_count: 0
    .symbol:         _ZN7rocprim17ROCPRIM_400000_NS6detail17trampoline_kernelINS0_14default_configENS1_25transform_config_selectorIjLb0EEEZNS1_14transform_implILb0ES3_S5_N6thrust23THRUST_200600_302600_NS6detail15normal_iteratorINS8_10device_ptrIjEEEEPjNS0_8identityIjEEEE10hipError_tT2_T3_mT4_P12ihipStream_tbEUlT_E_NS1_11comp_targetILNS1_3genE0ELNS1_11target_archE4294967295ELNS1_3gpuE0ELNS1_3repE0EEENS1_30default_config_static_selectorELNS0_4arch9wavefront6targetE0EEEvT1_.kd
    .uniform_work_group_size: 1
    .uses_dynamic_stack: false
    .vgpr_count:     7
    .vgpr_spill_count: 0
    .wavefront_size: 32
  - .args:
      - .offset:         0
        .size:           40
        .value_kind:     by_value
    .group_segment_fixed_size: 0
    .kernarg_segment_align: 8
    .kernarg_segment_size: 40
    .language:       OpenCL C
    .language_version:
      - 2
      - 0
    .max_flat_workgroup_size: 512
    .name:           _ZN7rocprim17ROCPRIM_400000_NS6detail17trampoline_kernelINS0_14default_configENS1_25transform_config_selectorIjLb0EEEZNS1_14transform_implILb0ES3_S5_N6thrust23THRUST_200600_302600_NS6detail15normal_iteratorINS8_10device_ptrIjEEEEPjNS0_8identityIjEEEE10hipError_tT2_T3_mT4_P12ihipStream_tbEUlT_E_NS1_11comp_targetILNS1_3genE5ELNS1_11target_archE942ELNS1_3gpuE9ELNS1_3repE0EEENS1_30default_config_static_selectorELNS0_4arch9wavefront6targetE0EEEvT1_
    .private_segment_fixed_size: 0
    .sgpr_count:     0
    .sgpr_spill_count: 0
    .symbol:         _ZN7rocprim17ROCPRIM_400000_NS6detail17trampoline_kernelINS0_14default_configENS1_25transform_config_selectorIjLb0EEEZNS1_14transform_implILb0ES3_S5_N6thrust23THRUST_200600_302600_NS6detail15normal_iteratorINS8_10device_ptrIjEEEEPjNS0_8identityIjEEEE10hipError_tT2_T3_mT4_P12ihipStream_tbEUlT_E_NS1_11comp_targetILNS1_3genE5ELNS1_11target_archE942ELNS1_3gpuE9ELNS1_3repE0EEENS1_30default_config_static_selectorELNS0_4arch9wavefront6targetE0EEEvT1_.kd
    .uniform_work_group_size: 1
    .uses_dynamic_stack: false
    .vgpr_count:     0
    .vgpr_spill_count: 0
    .wavefront_size: 32
  - .args:
      - .offset:         0
        .size:           40
        .value_kind:     by_value
    .group_segment_fixed_size: 0
    .kernarg_segment_align: 8
    .kernarg_segment_size: 40
    .language:       OpenCL C
    .language_version:
      - 2
      - 0
    .max_flat_workgroup_size: 1024
    .name:           _ZN7rocprim17ROCPRIM_400000_NS6detail17trampoline_kernelINS0_14default_configENS1_25transform_config_selectorIjLb0EEEZNS1_14transform_implILb0ES3_S5_N6thrust23THRUST_200600_302600_NS6detail15normal_iteratorINS8_10device_ptrIjEEEEPjNS0_8identityIjEEEE10hipError_tT2_T3_mT4_P12ihipStream_tbEUlT_E_NS1_11comp_targetILNS1_3genE4ELNS1_11target_archE910ELNS1_3gpuE8ELNS1_3repE0EEENS1_30default_config_static_selectorELNS0_4arch9wavefront6targetE0EEEvT1_
    .private_segment_fixed_size: 0
    .sgpr_count:     0
    .sgpr_spill_count: 0
    .symbol:         _ZN7rocprim17ROCPRIM_400000_NS6detail17trampoline_kernelINS0_14default_configENS1_25transform_config_selectorIjLb0EEEZNS1_14transform_implILb0ES3_S5_N6thrust23THRUST_200600_302600_NS6detail15normal_iteratorINS8_10device_ptrIjEEEEPjNS0_8identityIjEEEE10hipError_tT2_T3_mT4_P12ihipStream_tbEUlT_E_NS1_11comp_targetILNS1_3genE4ELNS1_11target_archE910ELNS1_3gpuE8ELNS1_3repE0EEENS1_30default_config_static_selectorELNS0_4arch9wavefront6targetE0EEEvT1_.kd
    .uniform_work_group_size: 1
    .uses_dynamic_stack: false
    .vgpr_count:     0
    .vgpr_spill_count: 0
    .wavefront_size: 32
  - .args:
      - .offset:         0
        .size:           40
        .value_kind:     by_value
    .group_segment_fixed_size: 0
    .kernarg_segment_align: 8
    .kernarg_segment_size: 40
    .language:       OpenCL C
    .language_version:
      - 2
      - 0
    .max_flat_workgroup_size: 128
    .name:           _ZN7rocprim17ROCPRIM_400000_NS6detail17trampoline_kernelINS0_14default_configENS1_25transform_config_selectorIjLb0EEEZNS1_14transform_implILb0ES3_S5_N6thrust23THRUST_200600_302600_NS6detail15normal_iteratorINS8_10device_ptrIjEEEEPjNS0_8identityIjEEEE10hipError_tT2_T3_mT4_P12ihipStream_tbEUlT_E_NS1_11comp_targetILNS1_3genE3ELNS1_11target_archE908ELNS1_3gpuE7ELNS1_3repE0EEENS1_30default_config_static_selectorELNS0_4arch9wavefront6targetE0EEEvT1_
    .private_segment_fixed_size: 0
    .sgpr_count:     0
    .sgpr_spill_count: 0
    .symbol:         _ZN7rocprim17ROCPRIM_400000_NS6detail17trampoline_kernelINS0_14default_configENS1_25transform_config_selectorIjLb0EEEZNS1_14transform_implILb0ES3_S5_N6thrust23THRUST_200600_302600_NS6detail15normal_iteratorINS8_10device_ptrIjEEEEPjNS0_8identityIjEEEE10hipError_tT2_T3_mT4_P12ihipStream_tbEUlT_E_NS1_11comp_targetILNS1_3genE3ELNS1_11target_archE908ELNS1_3gpuE7ELNS1_3repE0EEENS1_30default_config_static_selectorELNS0_4arch9wavefront6targetE0EEEvT1_.kd
    .uniform_work_group_size: 1
    .uses_dynamic_stack: false
    .vgpr_count:     0
    .vgpr_spill_count: 0
    .wavefront_size: 32
  - .args:
      - .offset:         0
        .size:           40
        .value_kind:     by_value
    .group_segment_fixed_size: 0
    .kernarg_segment_align: 8
    .kernarg_segment_size: 40
    .language:       OpenCL C
    .language_version:
      - 2
      - 0
    .max_flat_workgroup_size: 1024
    .name:           _ZN7rocprim17ROCPRIM_400000_NS6detail17trampoline_kernelINS0_14default_configENS1_25transform_config_selectorIjLb0EEEZNS1_14transform_implILb0ES3_S5_N6thrust23THRUST_200600_302600_NS6detail15normal_iteratorINS8_10device_ptrIjEEEEPjNS0_8identityIjEEEE10hipError_tT2_T3_mT4_P12ihipStream_tbEUlT_E_NS1_11comp_targetILNS1_3genE2ELNS1_11target_archE906ELNS1_3gpuE6ELNS1_3repE0EEENS1_30default_config_static_selectorELNS0_4arch9wavefront6targetE0EEEvT1_
    .private_segment_fixed_size: 0
    .sgpr_count:     0
    .sgpr_spill_count: 0
    .symbol:         _ZN7rocprim17ROCPRIM_400000_NS6detail17trampoline_kernelINS0_14default_configENS1_25transform_config_selectorIjLb0EEEZNS1_14transform_implILb0ES3_S5_N6thrust23THRUST_200600_302600_NS6detail15normal_iteratorINS8_10device_ptrIjEEEEPjNS0_8identityIjEEEE10hipError_tT2_T3_mT4_P12ihipStream_tbEUlT_E_NS1_11comp_targetILNS1_3genE2ELNS1_11target_archE906ELNS1_3gpuE6ELNS1_3repE0EEENS1_30default_config_static_selectorELNS0_4arch9wavefront6targetE0EEEvT1_.kd
    .uniform_work_group_size: 1
    .uses_dynamic_stack: false
    .vgpr_count:     0
    .vgpr_spill_count: 0
    .wavefront_size: 32
  - .args:
      - .offset:         0
        .size:           40
        .value_kind:     by_value
    .group_segment_fixed_size: 0
    .kernarg_segment_align: 8
    .kernarg_segment_size: 40
    .language:       OpenCL C
    .language_version:
      - 2
      - 0
    .max_flat_workgroup_size: 1024
    .name:           _ZN7rocprim17ROCPRIM_400000_NS6detail17trampoline_kernelINS0_14default_configENS1_25transform_config_selectorIjLb0EEEZNS1_14transform_implILb0ES3_S5_N6thrust23THRUST_200600_302600_NS6detail15normal_iteratorINS8_10device_ptrIjEEEEPjNS0_8identityIjEEEE10hipError_tT2_T3_mT4_P12ihipStream_tbEUlT_E_NS1_11comp_targetILNS1_3genE10ELNS1_11target_archE1201ELNS1_3gpuE5ELNS1_3repE0EEENS1_30default_config_static_selectorELNS0_4arch9wavefront6targetE0EEEvT1_
    .private_segment_fixed_size: 0
    .sgpr_count:     0
    .sgpr_spill_count: 0
    .symbol:         _ZN7rocprim17ROCPRIM_400000_NS6detail17trampoline_kernelINS0_14default_configENS1_25transform_config_selectorIjLb0EEEZNS1_14transform_implILb0ES3_S5_N6thrust23THRUST_200600_302600_NS6detail15normal_iteratorINS8_10device_ptrIjEEEEPjNS0_8identityIjEEEE10hipError_tT2_T3_mT4_P12ihipStream_tbEUlT_E_NS1_11comp_targetILNS1_3genE10ELNS1_11target_archE1201ELNS1_3gpuE5ELNS1_3repE0EEENS1_30default_config_static_selectorELNS0_4arch9wavefront6targetE0EEEvT1_.kd
    .uniform_work_group_size: 1
    .uses_dynamic_stack: false
    .vgpr_count:     0
    .vgpr_spill_count: 0
    .wavefront_size: 32
  - .args:
      - .offset:         0
        .size:           40
        .value_kind:     by_value
    .group_segment_fixed_size: 0
    .kernarg_segment_align: 8
    .kernarg_segment_size: 40
    .language:       OpenCL C
    .language_version:
      - 2
      - 0
    .max_flat_workgroup_size: 512
    .name:           _ZN7rocprim17ROCPRIM_400000_NS6detail17trampoline_kernelINS0_14default_configENS1_25transform_config_selectorIjLb0EEEZNS1_14transform_implILb0ES3_S5_N6thrust23THRUST_200600_302600_NS6detail15normal_iteratorINS8_10device_ptrIjEEEEPjNS0_8identityIjEEEE10hipError_tT2_T3_mT4_P12ihipStream_tbEUlT_E_NS1_11comp_targetILNS1_3genE10ELNS1_11target_archE1200ELNS1_3gpuE4ELNS1_3repE0EEENS1_30default_config_static_selectorELNS0_4arch9wavefront6targetE0EEEvT1_
    .private_segment_fixed_size: 0
    .sgpr_count:     0
    .sgpr_spill_count: 0
    .symbol:         _ZN7rocprim17ROCPRIM_400000_NS6detail17trampoline_kernelINS0_14default_configENS1_25transform_config_selectorIjLb0EEEZNS1_14transform_implILb0ES3_S5_N6thrust23THRUST_200600_302600_NS6detail15normal_iteratorINS8_10device_ptrIjEEEEPjNS0_8identityIjEEEE10hipError_tT2_T3_mT4_P12ihipStream_tbEUlT_E_NS1_11comp_targetILNS1_3genE10ELNS1_11target_archE1200ELNS1_3gpuE4ELNS1_3repE0EEENS1_30default_config_static_selectorELNS0_4arch9wavefront6targetE0EEEvT1_.kd
    .uniform_work_group_size: 1
    .uses_dynamic_stack: false
    .vgpr_count:     0
    .vgpr_spill_count: 0
    .wavefront_size: 32
  - .args:
      - .offset:         0
        .size:           40
        .value_kind:     by_value
    .group_segment_fixed_size: 0
    .kernarg_segment_align: 8
    .kernarg_segment_size: 40
    .language:       OpenCL C
    .language_version:
      - 2
      - 0
    .max_flat_workgroup_size: 64
    .name:           _ZN7rocprim17ROCPRIM_400000_NS6detail17trampoline_kernelINS0_14default_configENS1_25transform_config_selectorIjLb0EEEZNS1_14transform_implILb0ES3_S5_N6thrust23THRUST_200600_302600_NS6detail15normal_iteratorINS8_10device_ptrIjEEEEPjNS0_8identityIjEEEE10hipError_tT2_T3_mT4_P12ihipStream_tbEUlT_E_NS1_11comp_targetILNS1_3genE9ELNS1_11target_archE1100ELNS1_3gpuE3ELNS1_3repE0EEENS1_30default_config_static_selectorELNS0_4arch9wavefront6targetE0EEEvT1_
    .private_segment_fixed_size: 0
    .sgpr_count:     0
    .sgpr_spill_count: 0
    .symbol:         _ZN7rocprim17ROCPRIM_400000_NS6detail17trampoline_kernelINS0_14default_configENS1_25transform_config_selectorIjLb0EEEZNS1_14transform_implILb0ES3_S5_N6thrust23THRUST_200600_302600_NS6detail15normal_iteratorINS8_10device_ptrIjEEEEPjNS0_8identityIjEEEE10hipError_tT2_T3_mT4_P12ihipStream_tbEUlT_E_NS1_11comp_targetILNS1_3genE9ELNS1_11target_archE1100ELNS1_3gpuE3ELNS1_3repE0EEENS1_30default_config_static_selectorELNS0_4arch9wavefront6targetE0EEEvT1_.kd
    .uniform_work_group_size: 1
    .uses_dynamic_stack: false
    .vgpr_count:     0
    .vgpr_spill_count: 0
    .wavefront_size: 32
  - .args:
      - .offset:         0
        .size:           40
        .value_kind:     by_value
    .group_segment_fixed_size: 0
    .kernarg_segment_align: 8
    .kernarg_segment_size: 40
    .language:       OpenCL C
    .language_version:
      - 2
      - 0
    .max_flat_workgroup_size: 256
    .name:           _ZN7rocprim17ROCPRIM_400000_NS6detail17trampoline_kernelINS0_14default_configENS1_25transform_config_selectorIjLb0EEEZNS1_14transform_implILb0ES3_S5_N6thrust23THRUST_200600_302600_NS6detail15normal_iteratorINS8_10device_ptrIjEEEEPjNS0_8identityIjEEEE10hipError_tT2_T3_mT4_P12ihipStream_tbEUlT_E_NS1_11comp_targetILNS1_3genE8ELNS1_11target_archE1030ELNS1_3gpuE2ELNS1_3repE0EEENS1_30default_config_static_selectorELNS0_4arch9wavefront6targetE0EEEvT1_
    .private_segment_fixed_size: 0
    .sgpr_count:     0
    .sgpr_spill_count: 0
    .symbol:         _ZN7rocprim17ROCPRIM_400000_NS6detail17trampoline_kernelINS0_14default_configENS1_25transform_config_selectorIjLb0EEEZNS1_14transform_implILb0ES3_S5_N6thrust23THRUST_200600_302600_NS6detail15normal_iteratorINS8_10device_ptrIjEEEEPjNS0_8identityIjEEEE10hipError_tT2_T3_mT4_P12ihipStream_tbEUlT_E_NS1_11comp_targetILNS1_3genE8ELNS1_11target_archE1030ELNS1_3gpuE2ELNS1_3repE0EEENS1_30default_config_static_selectorELNS0_4arch9wavefront6targetE0EEEvT1_.kd
    .uniform_work_group_size: 1
    .uses_dynamic_stack: false
    .vgpr_count:     0
    .vgpr_spill_count: 0
    .wavefront_size: 32
  - .args:
      - .offset:         0
        .size:           40
        .value_kind:     by_value
      - .offset:         40
        .size:           4
        .value_kind:     hidden_block_count_x
      - .offset:         44
        .size:           4
        .value_kind:     hidden_block_count_y
      - .offset:         48
        .size:           4
        .value_kind:     hidden_block_count_z
      - .offset:         52
        .size:           2
        .value_kind:     hidden_group_size_x
      - .offset:         54
        .size:           2
        .value_kind:     hidden_group_size_y
      - .offset:         56
        .size:           2
        .value_kind:     hidden_group_size_z
      - .offset:         58
        .size:           2
        .value_kind:     hidden_remainder_x
      - .offset:         60
        .size:           2
        .value_kind:     hidden_remainder_y
      - .offset:         62
        .size:           2
        .value_kind:     hidden_remainder_z
      - .offset:         80
        .size:           8
        .value_kind:     hidden_global_offset_x
      - .offset:         88
        .size:           8
        .value_kind:     hidden_global_offset_y
      - .offset:         96
        .size:           8
        .value_kind:     hidden_global_offset_z
      - .offset:         104
        .size:           2
        .value_kind:     hidden_grid_dims
    .group_segment_fixed_size: 0
    .kernarg_segment_align: 8
    .kernarg_segment_size: 296
    .language:       OpenCL C
    .language_version:
      - 2
      - 0
    .max_flat_workgroup_size: 128
    .name:           _ZN7rocprim17ROCPRIM_400000_NS6detail17trampoline_kernelINS0_14default_configENS1_25transform_config_selectorIN6thrust23THRUST_200600_302600_NS5tupleIffNS6_9null_typeES8_S8_S8_S8_S8_S8_S8_EELb0EEEZNS1_14transform_implILb0ES3_SA_NS6_6detail15normal_iteratorINS6_10device_ptrIS9_EEEEPS9_NS0_8identityIS9_EEEE10hipError_tT2_T3_mT4_P12ihipStream_tbEUlT_E_NS1_11comp_targetILNS1_3genE0ELNS1_11target_archE4294967295ELNS1_3gpuE0ELNS1_3repE0EEENS1_30default_config_static_selectorELNS0_4arch9wavefront6targetE0EEEvT1_
    .private_segment_fixed_size: 0
    .sgpr_count:     14
    .sgpr_spill_count: 0
    .symbol:         _ZN7rocprim17ROCPRIM_400000_NS6detail17trampoline_kernelINS0_14default_configENS1_25transform_config_selectorIN6thrust23THRUST_200600_302600_NS5tupleIffNS6_9null_typeES8_S8_S8_S8_S8_S8_S8_EELb0EEEZNS1_14transform_implILb0ES3_SA_NS6_6detail15normal_iteratorINS6_10device_ptrIS9_EEEEPS9_NS0_8identityIS9_EEEE10hipError_tT2_T3_mT4_P12ihipStream_tbEUlT_E_NS1_11comp_targetILNS1_3genE0ELNS1_11target_archE4294967295ELNS1_3gpuE0ELNS1_3repE0EEENS1_30default_config_static_selectorELNS0_4arch9wavefront6targetE0EEEvT1_.kd
    .uniform_work_group_size: 1
    .uses_dynamic_stack: false
    .vgpr_count:     4
    .vgpr_spill_count: 0
    .wavefront_size: 32
  - .args:
      - .offset:         0
        .size:           40
        .value_kind:     by_value
    .group_segment_fixed_size: 0
    .kernarg_segment_align: 8
    .kernarg_segment_size: 40
    .language:       OpenCL C
    .language_version:
      - 2
      - 0
    .max_flat_workgroup_size: 512
    .name:           _ZN7rocprim17ROCPRIM_400000_NS6detail17trampoline_kernelINS0_14default_configENS1_25transform_config_selectorIN6thrust23THRUST_200600_302600_NS5tupleIffNS6_9null_typeES8_S8_S8_S8_S8_S8_S8_EELb0EEEZNS1_14transform_implILb0ES3_SA_NS6_6detail15normal_iteratorINS6_10device_ptrIS9_EEEEPS9_NS0_8identityIS9_EEEE10hipError_tT2_T3_mT4_P12ihipStream_tbEUlT_E_NS1_11comp_targetILNS1_3genE5ELNS1_11target_archE942ELNS1_3gpuE9ELNS1_3repE0EEENS1_30default_config_static_selectorELNS0_4arch9wavefront6targetE0EEEvT1_
    .private_segment_fixed_size: 0
    .sgpr_count:     0
    .sgpr_spill_count: 0
    .symbol:         _ZN7rocprim17ROCPRIM_400000_NS6detail17trampoline_kernelINS0_14default_configENS1_25transform_config_selectorIN6thrust23THRUST_200600_302600_NS5tupleIffNS6_9null_typeES8_S8_S8_S8_S8_S8_S8_EELb0EEEZNS1_14transform_implILb0ES3_SA_NS6_6detail15normal_iteratorINS6_10device_ptrIS9_EEEEPS9_NS0_8identityIS9_EEEE10hipError_tT2_T3_mT4_P12ihipStream_tbEUlT_E_NS1_11comp_targetILNS1_3genE5ELNS1_11target_archE942ELNS1_3gpuE9ELNS1_3repE0EEENS1_30default_config_static_selectorELNS0_4arch9wavefront6targetE0EEEvT1_.kd
    .uniform_work_group_size: 1
    .uses_dynamic_stack: false
    .vgpr_count:     0
    .vgpr_spill_count: 0
    .wavefront_size: 32
  - .args:
      - .offset:         0
        .size:           40
        .value_kind:     by_value
    .group_segment_fixed_size: 0
    .kernarg_segment_align: 8
    .kernarg_segment_size: 40
    .language:       OpenCL C
    .language_version:
      - 2
      - 0
    .max_flat_workgroup_size: 256
    .name:           _ZN7rocprim17ROCPRIM_400000_NS6detail17trampoline_kernelINS0_14default_configENS1_25transform_config_selectorIN6thrust23THRUST_200600_302600_NS5tupleIffNS6_9null_typeES8_S8_S8_S8_S8_S8_S8_EELb0EEEZNS1_14transform_implILb0ES3_SA_NS6_6detail15normal_iteratorINS6_10device_ptrIS9_EEEEPS9_NS0_8identityIS9_EEEE10hipError_tT2_T3_mT4_P12ihipStream_tbEUlT_E_NS1_11comp_targetILNS1_3genE4ELNS1_11target_archE910ELNS1_3gpuE8ELNS1_3repE0EEENS1_30default_config_static_selectorELNS0_4arch9wavefront6targetE0EEEvT1_
    .private_segment_fixed_size: 0
    .sgpr_count:     0
    .sgpr_spill_count: 0
    .symbol:         _ZN7rocprim17ROCPRIM_400000_NS6detail17trampoline_kernelINS0_14default_configENS1_25transform_config_selectorIN6thrust23THRUST_200600_302600_NS5tupleIffNS6_9null_typeES8_S8_S8_S8_S8_S8_S8_EELb0EEEZNS1_14transform_implILb0ES3_SA_NS6_6detail15normal_iteratorINS6_10device_ptrIS9_EEEEPS9_NS0_8identityIS9_EEEE10hipError_tT2_T3_mT4_P12ihipStream_tbEUlT_E_NS1_11comp_targetILNS1_3genE4ELNS1_11target_archE910ELNS1_3gpuE8ELNS1_3repE0EEENS1_30default_config_static_selectorELNS0_4arch9wavefront6targetE0EEEvT1_.kd
    .uniform_work_group_size: 1
    .uses_dynamic_stack: false
    .vgpr_count:     0
    .vgpr_spill_count: 0
    .wavefront_size: 32
  - .args:
      - .offset:         0
        .size:           40
        .value_kind:     by_value
    .group_segment_fixed_size: 0
    .kernarg_segment_align: 8
    .kernarg_segment_size: 40
    .language:       OpenCL C
    .language_version:
      - 2
      - 0
    .max_flat_workgroup_size: 128
    .name:           _ZN7rocprim17ROCPRIM_400000_NS6detail17trampoline_kernelINS0_14default_configENS1_25transform_config_selectorIN6thrust23THRUST_200600_302600_NS5tupleIffNS6_9null_typeES8_S8_S8_S8_S8_S8_S8_EELb0EEEZNS1_14transform_implILb0ES3_SA_NS6_6detail15normal_iteratorINS6_10device_ptrIS9_EEEEPS9_NS0_8identityIS9_EEEE10hipError_tT2_T3_mT4_P12ihipStream_tbEUlT_E_NS1_11comp_targetILNS1_3genE3ELNS1_11target_archE908ELNS1_3gpuE7ELNS1_3repE0EEENS1_30default_config_static_selectorELNS0_4arch9wavefront6targetE0EEEvT1_
    .private_segment_fixed_size: 0
    .sgpr_count:     0
    .sgpr_spill_count: 0
    .symbol:         _ZN7rocprim17ROCPRIM_400000_NS6detail17trampoline_kernelINS0_14default_configENS1_25transform_config_selectorIN6thrust23THRUST_200600_302600_NS5tupleIffNS6_9null_typeES8_S8_S8_S8_S8_S8_S8_EELb0EEEZNS1_14transform_implILb0ES3_SA_NS6_6detail15normal_iteratorINS6_10device_ptrIS9_EEEEPS9_NS0_8identityIS9_EEEE10hipError_tT2_T3_mT4_P12ihipStream_tbEUlT_E_NS1_11comp_targetILNS1_3genE3ELNS1_11target_archE908ELNS1_3gpuE7ELNS1_3repE0EEENS1_30default_config_static_selectorELNS0_4arch9wavefront6targetE0EEEvT1_.kd
    .uniform_work_group_size: 1
    .uses_dynamic_stack: false
    .vgpr_count:     0
    .vgpr_spill_count: 0
    .wavefront_size: 32
  - .args:
      - .offset:         0
        .size:           40
        .value_kind:     by_value
    .group_segment_fixed_size: 0
    .kernarg_segment_align: 8
    .kernarg_segment_size: 40
    .language:       OpenCL C
    .language_version:
      - 2
      - 0
    .max_flat_workgroup_size: 512
    .name:           _ZN7rocprim17ROCPRIM_400000_NS6detail17trampoline_kernelINS0_14default_configENS1_25transform_config_selectorIN6thrust23THRUST_200600_302600_NS5tupleIffNS6_9null_typeES8_S8_S8_S8_S8_S8_S8_EELb0EEEZNS1_14transform_implILb0ES3_SA_NS6_6detail15normal_iteratorINS6_10device_ptrIS9_EEEEPS9_NS0_8identityIS9_EEEE10hipError_tT2_T3_mT4_P12ihipStream_tbEUlT_E_NS1_11comp_targetILNS1_3genE2ELNS1_11target_archE906ELNS1_3gpuE6ELNS1_3repE0EEENS1_30default_config_static_selectorELNS0_4arch9wavefront6targetE0EEEvT1_
    .private_segment_fixed_size: 0
    .sgpr_count:     0
    .sgpr_spill_count: 0
    .symbol:         _ZN7rocprim17ROCPRIM_400000_NS6detail17trampoline_kernelINS0_14default_configENS1_25transform_config_selectorIN6thrust23THRUST_200600_302600_NS5tupleIffNS6_9null_typeES8_S8_S8_S8_S8_S8_S8_EELb0EEEZNS1_14transform_implILb0ES3_SA_NS6_6detail15normal_iteratorINS6_10device_ptrIS9_EEEEPS9_NS0_8identityIS9_EEEE10hipError_tT2_T3_mT4_P12ihipStream_tbEUlT_E_NS1_11comp_targetILNS1_3genE2ELNS1_11target_archE906ELNS1_3gpuE6ELNS1_3repE0EEENS1_30default_config_static_selectorELNS0_4arch9wavefront6targetE0EEEvT1_.kd
    .uniform_work_group_size: 1
    .uses_dynamic_stack: false
    .vgpr_count:     0
    .vgpr_spill_count: 0
    .wavefront_size: 32
  - .args:
      - .offset:         0
        .size:           40
        .value_kind:     by_value
    .group_segment_fixed_size: 0
    .kernarg_segment_align: 8
    .kernarg_segment_size: 40
    .language:       OpenCL C
    .language_version:
      - 2
      - 0
    .max_flat_workgroup_size: 1024
    .name:           _ZN7rocprim17ROCPRIM_400000_NS6detail17trampoline_kernelINS0_14default_configENS1_25transform_config_selectorIN6thrust23THRUST_200600_302600_NS5tupleIffNS6_9null_typeES8_S8_S8_S8_S8_S8_S8_EELb0EEEZNS1_14transform_implILb0ES3_SA_NS6_6detail15normal_iteratorINS6_10device_ptrIS9_EEEEPS9_NS0_8identityIS9_EEEE10hipError_tT2_T3_mT4_P12ihipStream_tbEUlT_E_NS1_11comp_targetILNS1_3genE10ELNS1_11target_archE1201ELNS1_3gpuE5ELNS1_3repE0EEENS1_30default_config_static_selectorELNS0_4arch9wavefront6targetE0EEEvT1_
    .private_segment_fixed_size: 0
    .sgpr_count:     0
    .sgpr_spill_count: 0
    .symbol:         _ZN7rocprim17ROCPRIM_400000_NS6detail17trampoline_kernelINS0_14default_configENS1_25transform_config_selectorIN6thrust23THRUST_200600_302600_NS5tupleIffNS6_9null_typeES8_S8_S8_S8_S8_S8_S8_EELb0EEEZNS1_14transform_implILb0ES3_SA_NS6_6detail15normal_iteratorINS6_10device_ptrIS9_EEEEPS9_NS0_8identityIS9_EEEE10hipError_tT2_T3_mT4_P12ihipStream_tbEUlT_E_NS1_11comp_targetILNS1_3genE10ELNS1_11target_archE1201ELNS1_3gpuE5ELNS1_3repE0EEENS1_30default_config_static_selectorELNS0_4arch9wavefront6targetE0EEEvT1_.kd
    .uniform_work_group_size: 1
    .uses_dynamic_stack: false
    .vgpr_count:     0
    .vgpr_spill_count: 0
    .wavefront_size: 32
  - .args:
      - .offset:         0
        .size:           40
        .value_kind:     by_value
    .group_segment_fixed_size: 0
    .kernarg_segment_align: 8
    .kernarg_segment_size: 40
    .language:       OpenCL C
    .language_version:
      - 2
      - 0
    .max_flat_workgroup_size: 512
    .name:           _ZN7rocprim17ROCPRIM_400000_NS6detail17trampoline_kernelINS0_14default_configENS1_25transform_config_selectorIN6thrust23THRUST_200600_302600_NS5tupleIffNS6_9null_typeES8_S8_S8_S8_S8_S8_S8_EELb0EEEZNS1_14transform_implILb0ES3_SA_NS6_6detail15normal_iteratorINS6_10device_ptrIS9_EEEEPS9_NS0_8identityIS9_EEEE10hipError_tT2_T3_mT4_P12ihipStream_tbEUlT_E_NS1_11comp_targetILNS1_3genE10ELNS1_11target_archE1200ELNS1_3gpuE4ELNS1_3repE0EEENS1_30default_config_static_selectorELNS0_4arch9wavefront6targetE0EEEvT1_
    .private_segment_fixed_size: 0
    .sgpr_count:     0
    .sgpr_spill_count: 0
    .symbol:         _ZN7rocprim17ROCPRIM_400000_NS6detail17trampoline_kernelINS0_14default_configENS1_25transform_config_selectorIN6thrust23THRUST_200600_302600_NS5tupleIffNS6_9null_typeES8_S8_S8_S8_S8_S8_S8_EELb0EEEZNS1_14transform_implILb0ES3_SA_NS6_6detail15normal_iteratorINS6_10device_ptrIS9_EEEEPS9_NS0_8identityIS9_EEEE10hipError_tT2_T3_mT4_P12ihipStream_tbEUlT_E_NS1_11comp_targetILNS1_3genE10ELNS1_11target_archE1200ELNS1_3gpuE4ELNS1_3repE0EEENS1_30default_config_static_selectorELNS0_4arch9wavefront6targetE0EEEvT1_.kd
    .uniform_work_group_size: 1
    .uses_dynamic_stack: false
    .vgpr_count:     0
    .vgpr_spill_count: 0
    .wavefront_size: 32
  - .args:
      - .offset:         0
        .size:           40
        .value_kind:     by_value
    .group_segment_fixed_size: 0
    .kernarg_segment_align: 8
    .kernarg_segment_size: 40
    .language:       OpenCL C
    .language_version:
      - 2
      - 0
    .max_flat_workgroup_size: 512
    .name:           _ZN7rocprim17ROCPRIM_400000_NS6detail17trampoline_kernelINS0_14default_configENS1_25transform_config_selectorIN6thrust23THRUST_200600_302600_NS5tupleIffNS6_9null_typeES8_S8_S8_S8_S8_S8_S8_EELb0EEEZNS1_14transform_implILb0ES3_SA_NS6_6detail15normal_iteratorINS6_10device_ptrIS9_EEEEPS9_NS0_8identityIS9_EEEE10hipError_tT2_T3_mT4_P12ihipStream_tbEUlT_E_NS1_11comp_targetILNS1_3genE9ELNS1_11target_archE1100ELNS1_3gpuE3ELNS1_3repE0EEENS1_30default_config_static_selectorELNS0_4arch9wavefront6targetE0EEEvT1_
    .private_segment_fixed_size: 0
    .sgpr_count:     0
    .sgpr_spill_count: 0
    .symbol:         _ZN7rocprim17ROCPRIM_400000_NS6detail17trampoline_kernelINS0_14default_configENS1_25transform_config_selectorIN6thrust23THRUST_200600_302600_NS5tupleIffNS6_9null_typeES8_S8_S8_S8_S8_S8_S8_EELb0EEEZNS1_14transform_implILb0ES3_SA_NS6_6detail15normal_iteratorINS6_10device_ptrIS9_EEEEPS9_NS0_8identityIS9_EEEE10hipError_tT2_T3_mT4_P12ihipStream_tbEUlT_E_NS1_11comp_targetILNS1_3genE9ELNS1_11target_archE1100ELNS1_3gpuE3ELNS1_3repE0EEENS1_30default_config_static_selectorELNS0_4arch9wavefront6targetE0EEEvT1_.kd
    .uniform_work_group_size: 1
    .uses_dynamic_stack: false
    .vgpr_count:     0
    .vgpr_spill_count: 0
    .wavefront_size: 32
  - .args:
      - .offset:         0
        .size:           40
        .value_kind:     by_value
    .group_segment_fixed_size: 0
    .kernarg_segment_align: 8
    .kernarg_segment_size: 40
    .language:       OpenCL C
    .language_version:
      - 2
      - 0
    .max_flat_workgroup_size: 512
    .name:           _ZN7rocprim17ROCPRIM_400000_NS6detail17trampoline_kernelINS0_14default_configENS1_25transform_config_selectorIN6thrust23THRUST_200600_302600_NS5tupleIffNS6_9null_typeES8_S8_S8_S8_S8_S8_S8_EELb0EEEZNS1_14transform_implILb0ES3_SA_NS6_6detail15normal_iteratorINS6_10device_ptrIS9_EEEEPS9_NS0_8identityIS9_EEEE10hipError_tT2_T3_mT4_P12ihipStream_tbEUlT_E_NS1_11comp_targetILNS1_3genE8ELNS1_11target_archE1030ELNS1_3gpuE2ELNS1_3repE0EEENS1_30default_config_static_selectorELNS0_4arch9wavefront6targetE0EEEvT1_
    .private_segment_fixed_size: 0
    .sgpr_count:     0
    .sgpr_spill_count: 0
    .symbol:         _ZN7rocprim17ROCPRIM_400000_NS6detail17trampoline_kernelINS0_14default_configENS1_25transform_config_selectorIN6thrust23THRUST_200600_302600_NS5tupleIffNS6_9null_typeES8_S8_S8_S8_S8_S8_S8_EELb0EEEZNS1_14transform_implILb0ES3_SA_NS6_6detail15normal_iteratorINS6_10device_ptrIS9_EEEEPS9_NS0_8identityIS9_EEEE10hipError_tT2_T3_mT4_P12ihipStream_tbEUlT_E_NS1_11comp_targetILNS1_3genE8ELNS1_11target_archE1030ELNS1_3gpuE2ELNS1_3repE0EEENS1_30default_config_static_selectorELNS0_4arch9wavefront6targetE0EEEvT1_.kd
    .uniform_work_group_size: 1
    .uses_dynamic_stack: false
    .vgpr_count:     0
    .vgpr_spill_count: 0
    .wavefront_size: 32
  - .args:
      - .offset:         0
        .size:           88
        .value_kind:     by_value
      - .offset:         88
        .size:           4
        .value_kind:     hidden_block_count_x
      - .offset:         92
        .size:           4
        .value_kind:     hidden_block_count_y
      - .offset:         96
        .size:           4
        .value_kind:     hidden_block_count_z
      - .offset:         100
        .size:           2
        .value_kind:     hidden_group_size_x
      - .offset:         102
        .size:           2
        .value_kind:     hidden_group_size_y
      - .offset:         104
        .size:           2
        .value_kind:     hidden_group_size_z
      - .offset:         106
        .size:           2
        .value_kind:     hidden_remainder_x
      - .offset:         108
        .size:           2
        .value_kind:     hidden_remainder_y
      - .offset:         110
        .size:           2
        .value_kind:     hidden_remainder_z
      - .offset:         128
        .size:           8
        .value_kind:     hidden_global_offset_x
      - .offset:         136
        .size:           8
        .value_kind:     hidden_global_offset_y
      - .offset:         144
        .size:           8
        .value_kind:     hidden_global_offset_z
      - .offset:         152
        .size:           2
        .value_kind:     hidden_grid_dims
    .group_segment_fixed_size: 51280
    .kernarg_segment_align: 8
    .kernarg_segment_size: 344
    .language:       OpenCL C
    .language_version:
      - 2
      - 0
    .max_flat_workgroup_size: 512
    .name:           _ZN7rocprim17ROCPRIM_400000_NS6detail17trampoline_kernelINS0_14default_configENS1_35radix_sort_onesweep_config_selectorIjN6thrust23THRUST_200600_302600_NS5tupleIffNS6_9null_typeES8_S8_S8_S8_S8_S8_S8_EEEEZZNS1_29radix_sort_onesweep_iterationIS3_Lb0ENS6_6detail15normal_iteratorINS6_10device_ptrIjEEEESG_NSD_INSE_IS9_EEEESI_jNS0_19identity_decomposerENS1_16block_id_wrapperIjLb1EEEEE10hipError_tT1_PNSt15iterator_traitsISN_E10value_typeET2_T3_PNSO_IST_E10value_typeET4_T5_PSY_SZ_PNS1_23onesweep_lookback_stateEbbT6_jjT7_P12ihipStream_tbENKUlT_T0_SN_SS_E_clISG_SG_SI_SI_EEDaS16_S17_SN_SS_EUlS16_E_NS1_11comp_targetILNS1_3genE0ELNS1_11target_archE4294967295ELNS1_3gpuE0ELNS1_3repE0EEENS1_47radix_sort_onesweep_sort_config_static_selectorELNS0_4arch9wavefront6targetE0EEEvSN_
    .private_segment_fixed_size: 0
    .sgpr_count:     45
    .sgpr_spill_count: 0
    .symbol:         _ZN7rocprim17ROCPRIM_400000_NS6detail17trampoline_kernelINS0_14default_configENS1_35radix_sort_onesweep_config_selectorIjN6thrust23THRUST_200600_302600_NS5tupleIffNS6_9null_typeES8_S8_S8_S8_S8_S8_S8_EEEEZZNS1_29radix_sort_onesweep_iterationIS3_Lb0ENS6_6detail15normal_iteratorINS6_10device_ptrIjEEEESG_NSD_INSE_IS9_EEEESI_jNS0_19identity_decomposerENS1_16block_id_wrapperIjLb1EEEEE10hipError_tT1_PNSt15iterator_traitsISN_E10value_typeET2_T3_PNSO_IST_E10value_typeET4_T5_PSY_SZ_PNS1_23onesweep_lookback_stateEbbT6_jjT7_P12ihipStream_tbENKUlT_T0_SN_SS_E_clISG_SG_SI_SI_EEDaS16_S17_SN_SS_EUlS16_E_NS1_11comp_targetILNS1_3genE0ELNS1_11target_archE4294967295ELNS1_3gpuE0ELNS1_3repE0EEENS1_47radix_sort_onesweep_sort_config_static_selectorELNS0_4arch9wavefront6targetE0EEEvSN_.kd
    .uniform_work_group_size: 1
    .uses_dynamic_stack: false
    .vgpr_count:     58
    .vgpr_spill_count: 0
    .wavefront_size: 32
  - .args:
      - .offset:         0
        .size:           88
        .value_kind:     by_value
    .group_segment_fixed_size: 0
    .kernarg_segment_align: 8
    .kernarg_segment_size: 88
    .language:       OpenCL C
    .language_version:
      - 2
      - 0
    .max_flat_workgroup_size: 1024
    .name:           _ZN7rocprim17ROCPRIM_400000_NS6detail17trampoline_kernelINS0_14default_configENS1_35radix_sort_onesweep_config_selectorIjN6thrust23THRUST_200600_302600_NS5tupleIffNS6_9null_typeES8_S8_S8_S8_S8_S8_S8_EEEEZZNS1_29radix_sort_onesweep_iterationIS3_Lb0ENS6_6detail15normal_iteratorINS6_10device_ptrIjEEEESG_NSD_INSE_IS9_EEEESI_jNS0_19identity_decomposerENS1_16block_id_wrapperIjLb1EEEEE10hipError_tT1_PNSt15iterator_traitsISN_E10value_typeET2_T3_PNSO_IST_E10value_typeET4_T5_PSY_SZ_PNS1_23onesweep_lookback_stateEbbT6_jjT7_P12ihipStream_tbENKUlT_T0_SN_SS_E_clISG_SG_SI_SI_EEDaS16_S17_SN_SS_EUlS16_E_NS1_11comp_targetILNS1_3genE6ELNS1_11target_archE950ELNS1_3gpuE13ELNS1_3repE0EEENS1_47radix_sort_onesweep_sort_config_static_selectorELNS0_4arch9wavefront6targetE0EEEvSN_
    .private_segment_fixed_size: 0
    .sgpr_count:     0
    .sgpr_spill_count: 0
    .symbol:         _ZN7rocprim17ROCPRIM_400000_NS6detail17trampoline_kernelINS0_14default_configENS1_35radix_sort_onesweep_config_selectorIjN6thrust23THRUST_200600_302600_NS5tupleIffNS6_9null_typeES8_S8_S8_S8_S8_S8_S8_EEEEZZNS1_29radix_sort_onesweep_iterationIS3_Lb0ENS6_6detail15normal_iteratorINS6_10device_ptrIjEEEESG_NSD_INSE_IS9_EEEESI_jNS0_19identity_decomposerENS1_16block_id_wrapperIjLb1EEEEE10hipError_tT1_PNSt15iterator_traitsISN_E10value_typeET2_T3_PNSO_IST_E10value_typeET4_T5_PSY_SZ_PNS1_23onesweep_lookback_stateEbbT6_jjT7_P12ihipStream_tbENKUlT_T0_SN_SS_E_clISG_SG_SI_SI_EEDaS16_S17_SN_SS_EUlS16_E_NS1_11comp_targetILNS1_3genE6ELNS1_11target_archE950ELNS1_3gpuE13ELNS1_3repE0EEENS1_47radix_sort_onesweep_sort_config_static_selectorELNS0_4arch9wavefront6targetE0EEEvSN_.kd
    .uniform_work_group_size: 1
    .uses_dynamic_stack: false
    .vgpr_count:     0
    .vgpr_spill_count: 0
    .wavefront_size: 32
  - .args:
      - .offset:         0
        .size:           88
        .value_kind:     by_value
    .group_segment_fixed_size: 0
    .kernarg_segment_align: 8
    .kernarg_segment_size: 88
    .language:       OpenCL C
    .language_version:
      - 2
      - 0
    .max_flat_workgroup_size: 1024
    .name:           _ZN7rocprim17ROCPRIM_400000_NS6detail17trampoline_kernelINS0_14default_configENS1_35radix_sort_onesweep_config_selectorIjN6thrust23THRUST_200600_302600_NS5tupleIffNS6_9null_typeES8_S8_S8_S8_S8_S8_S8_EEEEZZNS1_29radix_sort_onesweep_iterationIS3_Lb0ENS6_6detail15normal_iteratorINS6_10device_ptrIjEEEESG_NSD_INSE_IS9_EEEESI_jNS0_19identity_decomposerENS1_16block_id_wrapperIjLb1EEEEE10hipError_tT1_PNSt15iterator_traitsISN_E10value_typeET2_T3_PNSO_IST_E10value_typeET4_T5_PSY_SZ_PNS1_23onesweep_lookback_stateEbbT6_jjT7_P12ihipStream_tbENKUlT_T0_SN_SS_E_clISG_SG_SI_SI_EEDaS16_S17_SN_SS_EUlS16_E_NS1_11comp_targetILNS1_3genE5ELNS1_11target_archE942ELNS1_3gpuE9ELNS1_3repE0EEENS1_47radix_sort_onesweep_sort_config_static_selectorELNS0_4arch9wavefront6targetE0EEEvSN_
    .private_segment_fixed_size: 0
    .sgpr_count:     0
    .sgpr_spill_count: 0
    .symbol:         _ZN7rocprim17ROCPRIM_400000_NS6detail17trampoline_kernelINS0_14default_configENS1_35radix_sort_onesweep_config_selectorIjN6thrust23THRUST_200600_302600_NS5tupleIffNS6_9null_typeES8_S8_S8_S8_S8_S8_S8_EEEEZZNS1_29radix_sort_onesweep_iterationIS3_Lb0ENS6_6detail15normal_iteratorINS6_10device_ptrIjEEEESG_NSD_INSE_IS9_EEEESI_jNS0_19identity_decomposerENS1_16block_id_wrapperIjLb1EEEEE10hipError_tT1_PNSt15iterator_traitsISN_E10value_typeET2_T3_PNSO_IST_E10value_typeET4_T5_PSY_SZ_PNS1_23onesweep_lookback_stateEbbT6_jjT7_P12ihipStream_tbENKUlT_T0_SN_SS_E_clISG_SG_SI_SI_EEDaS16_S17_SN_SS_EUlS16_E_NS1_11comp_targetILNS1_3genE5ELNS1_11target_archE942ELNS1_3gpuE9ELNS1_3repE0EEENS1_47radix_sort_onesweep_sort_config_static_selectorELNS0_4arch9wavefront6targetE0EEEvSN_.kd
    .uniform_work_group_size: 1
    .uses_dynamic_stack: false
    .vgpr_count:     0
    .vgpr_spill_count: 0
    .wavefront_size: 32
  - .args:
      - .offset:         0
        .size:           88
        .value_kind:     by_value
    .group_segment_fixed_size: 0
    .kernarg_segment_align: 8
    .kernarg_segment_size: 88
    .language:       OpenCL C
    .language_version:
      - 2
      - 0
    .max_flat_workgroup_size: 512
    .name:           _ZN7rocprim17ROCPRIM_400000_NS6detail17trampoline_kernelINS0_14default_configENS1_35radix_sort_onesweep_config_selectorIjN6thrust23THRUST_200600_302600_NS5tupleIffNS6_9null_typeES8_S8_S8_S8_S8_S8_S8_EEEEZZNS1_29radix_sort_onesweep_iterationIS3_Lb0ENS6_6detail15normal_iteratorINS6_10device_ptrIjEEEESG_NSD_INSE_IS9_EEEESI_jNS0_19identity_decomposerENS1_16block_id_wrapperIjLb1EEEEE10hipError_tT1_PNSt15iterator_traitsISN_E10value_typeET2_T3_PNSO_IST_E10value_typeET4_T5_PSY_SZ_PNS1_23onesweep_lookback_stateEbbT6_jjT7_P12ihipStream_tbENKUlT_T0_SN_SS_E_clISG_SG_SI_SI_EEDaS16_S17_SN_SS_EUlS16_E_NS1_11comp_targetILNS1_3genE2ELNS1_11target_archE906ELNS1_3gpuE6ELNS1_3repE0EEENS1_47radix_sort_onesweep_sort_config_static_selectorELNS0_4arch9wavefront6targetE0EEEvSN_
    .private_segment_fixed_size: 0
    .sgpr_count:     0
    .sgpr_spill_count: 0
    .symbol:         _ZN7rocprim17ROCPRIM_400000_NS6detail17trampoline_kernelINS0_14default_configENS1_35radix_sort_onesweep_config_selectorIjN6thrust23THRUST_200600_302600_NS5tupleIffNS6_9null_typeES8_S8_S8_S8_S8_S8_S8_EEEEZZNS1_29radix_sort_onesweep_iterationIS3_Lb0ENS6_6detail15normal_iteratorINS6_10device_ptrIjEEEESG_NSD_INSE_IS9_EEEESI_jNS0_19identity_decomposerENS1_16block_id_wrapperIjLb1EEEEE10hipError_tT1_PNSt15iterator_traitsISN_E10value_typeET2_T3_PNSO_IST_E10value_typeET4_T5_PSY_SZ_PNS1_23onesweep_lookback_stateEbbT6_jjT7_P12ihipStream_tbENKUlT_T0_SN_SS_E_clISG_SG_SI_SI_EEDaS16_S17_SN_SS_EUlS16_E_NS1_11comp_targetILNS1_3genE2ELNS1_11target_archE906ELNS1_3gpuE6ELNS1_3repE0EEENS1_47radix_sort_onesweep_sort_config_static_selectorELNS0_4arch9wavefront6targetE0EEEvSN_.kd
    .uniform_work_group_size: 1
    .uses_dynamic_stack: false
    .vgpr_count:     0
    .vgpr_spill_count: 0
    .wavefront_size: 32
  - .args:
      - .offset:         0
        .size:           88
        .value_kind:     by_value
    .group_segment_fixed_size: 0
    .kernarg_segment_align: 8
    .kernarg_segment_size: 88
    .language:       OpenCL C
    .language_version:
      - 2
      - 0
    .max_flat_workgroup_size: 512
    .name:           _ZN7rocprim17ROCPRIM_400000_NS6detail17trampoline_kernelINS0_14default_configENS1_35radix_sort_onesweep_config_selectorIjN6thrust23THRUST_200600_302600_NS5tupleIffNS6_9null_typeES8_S8_S8_S8_S8_S8_S8_EEEEZZNS1_29radix_sort_onesweep_iterationIS3_Lb0ENS6_6detail15normal_iteratorINS6_10device_ptrIjEEEESG_NSD_INSE_IS9_EEEESI_jNS0_19identity_decomposerENS1_16block_id_wrapperIjLb1EEEEE10hipError_tT1_PNSt15iterator_traitsISN_E10value_typeET2_T3_PNSO_IST_E10value_typeET4_T5_PSY_SZ_PNS1_23onesweep_lookback_stateEbbT6_jjT7_P12ihipStream_tbENKUlT_T0_SN_SS_E_clISG_SG_SI_SI_EEDaS16_S17_SN_SS_EUlS16_E_NS1_11comp_targetILNS1_3genE4ELNS1_11target_archE910ELNS1_3gpuE8ELNS1_3repE0EEENS1_47radix_sort_onesweep_sort_config_static_selectorELNS0_4arch9wavefront6targetE0EEEvSN_
    .private_segment_fixed_size: 0
    .sgpr_count:     0
    .sgpr_spill_count: 0
    .symbol:         _ZN7rocprim17ROCPRIM_400000_NS6detail17trampoline_kernelINS0_14default_configENS1_35radix_sort_onesweep_config_selectorIjN6thrust23THRUST_200600_302600_NS5tupleIffNS6_9null_typeES8_S8_S8_S8_S8_S8_S8_EEEEZZNS1_29radix_sort_onesweep_iterationIS3_Lb0ENS6_6detail15normal_iteratorINS6_10device_ptrIjEEEESG_NSD_INSE_IS9_EEEESI_jNS0_19identity_decomposerENS1_16block_id_wrapperIjLb1EEEEE10hipError_tT1_PNSt15iterator_traitsISN_E10value_typeET2_T3_PNSO_IST_E10value_typeET4_T5_PSY_SZ_PNS1_23onesweep_lookback_stateEbbT6_jjT7_P12ihipStream_tbENKUlT_T0_SN_SS_E_clISG_SG_SI_SI_EEDaS16_S17_SN_SS_EUlS16_E_NS1_11comp_targetILNS1_3genE4ELNS1_11target_archE910ELNS1_3gpuE8ELNS1_3repE0EEENS1_47radix_sort_onesweep_sort_config_static_selectorELNS0_4arch9wavefront6targetE0EEEvSN_.kd
    .uniform_work_group_size: 1
    .uses_dynamic_stack: false
    .vgpr_count:     0
    .vgpr_spill_count: 0
    .wavefront_size: 32
  - .args:
      - .offset:         0
        .size:           88
        .value_kind:     by_value
    .group_segment_fixed_size: 0
    .kernarg_segment_align: 8
    .kernarg_segment_size: 88
    .language:       OpenCL C
    .language_version:
      - 2
      - 0
    .max_flat_workgroup_size: 512
    .name:           _ZN7rocprim17ROCPRIM_400000_NS6detail17trampoline_kernelINS0_14default_configENS1_35radix_sort_onesweep_config_selectorIjN6thrust23THRUST_200600_302600_NS5tupleIffNS6_9null_typeES8_S8_S8_S8_S8_S8_S8_EEEEZZNS1_29radix_sort_onesweep_iterationIS3_Lb0ENS6_6detail15normal_iteratorINS6_10device_ptrIjEEEESG_NSD_INSE_IS9_EEEESI_jNS0_19identity_decomposerENS1_16block_id_wrapperIjLb1EEEEE10hipError_tT1_PNSt15iterator_traitsISN_E10value_typeET2_T3_PNSO_IST_E10value_typeET4_T5_PSY_SZ_PNS1_23onesweep_lookback_stateEbbT6_jjT7_P12ihipStream_tbENKUlT_T0_SN_SS_E_clISG_SG_SI_SI_EEDaS16_S17_SN_SS_EUlS16_E_NS1_11comp_targetILNS1_3genE3ELNS1_11target_archE908ELNS1_3gpuE7ELNS1_3repE0EEENS1_47radix_sort_onesweep_sort_config_static_selectorELNS0_4arch9wavefront6targetE0EEEvSN_
    .private_segment_fixed_size: 0
    .sgpr_count:     0
    .sgpr_spill_count: 0
    .symbol:         _ZN7rocprim17ROCPRIM_400000_NS6detail17trampoline_kernelINS0_14default_configENS1_35radix_sort_onesweep_config_selectorIjN6thrust23THRUST_200600_302600_NS5tupleIffNS6_9null_typeES8_S8_S8_S8_S8_S8_S8_EEEEZZNS1_29radix_sort_onesweep_iterationIS3_Lb0ENS6_6detail15normal_iteratorINS6_10device_ptrIjEEEESG_NSD_INSE_IS9_EEEESI_jNS0_19identity_decomposerENS1_16block_id_wrapperIjLb1EEEEE10hipError_tT1_PNSt15iterator_traitsISN_E10value_typeET2_T3_PNSO_IST_E10value_typeET4_T5_PSY_SZ_PNS1_23onesweep_lookback_stateEbbT6_jjT7_P12ihipStream_tbENKUlT_T0_SN_SS_E_clISG_SG_SI_SI_EEDaS16_S17_SN_SS_EUlS16_E_NS1_11comp_targetILNS1_3genE3ELNS1_11target_archE908ELNS1_3gpuE7ELNS1_3repE0EEENS1_47radix_sort_onesweep_sort_config_static_selectorELNS0_4arch9wavefront6targetE0EEEvSN_.kd
    .uniform_work_group_size: 1
    .uses_dynamic_stack: false
    .vgpr_count:     0
    .vgpr_spill_count: 0
    .wavefront_size: 32
  - .args:
      - .offset:         0
        .size:           88
        .value_kind:     by_value
    .group_segment_fixed_size: 0
    .kernarg_segment_align: 8
    .kernarg_segment_size: 88
    .language:       OpenCL C
    .language_version:
      - 2
      - 0
    .max_flat_workgroup_size: 1024
    .name:           _ZN7rocprim17ROCPRIM_400000_NS6detail17trampoline_kernelINS0_14default_configENS1_35radix_sort_onesweep_config_selectorIjN6thrust23THRUST_200600_302600_NS5tupleIffNS6_9null_typeES8_S8_S8_S8_S8_S8_S8_EEEEZZNS1_29radix_sort_onesweep_iterationIS3_Lb0ENS6_6detail15normal_iteratorINS6_10device_ptrIjEEEESG_NSD_INSE_IS9_EEEESI_jNS0_19identity_decomposerENS1_16block_id_wrapperIjLb1EEEEE10hipError_tT1_PNSt15iterator_traitsISN_E10value_typeET2_T3_PNSO_IST_E10value_typeET4_T5_PSY_SZ_PNS1_23onesweep_lookback_stateEbbT6_jjT7_P12ihipStream_tbENKUlT_T0_SN_SS_E_clISG_SG_SI_SI_EEDaS16_S17_SN_SS_EUlS16_E_NS1_11comp_targetILNS1_3genE10ELNS1_11target_archE1201ELNS1_3gpuE5ELNS1_3repE0EEENS1_47radix_sort_onesweep_sort_config_static_selectorELNS0_4arch9wavefront6targetE0EEEvSN_
    .private_segment_fixed_size: 0
    .sgpr_count:     0
    .sgpr_spill_count: 0
    .symbol:         _ZN7rocprim17ROCPRIM_400000_NS6detail17trampoline_kernelINS0_14default_configENS1_35radix_sort_onesweep_config_selectorIjN6thrust23THRUST_200600_302600_NS5tupleIffNS6_9null_typeES8_S8_S8_S8_S8_S8_S8_EEEEZZNS1_29radix_sort_onesweep_iterationIS3_Lb0ENS6_6detail15normal_iteratorINS6_10device_ptrIjEEEESG_NSD_INSE_IS9_EEEESI_jNS0_19identity_decomposerENS1_16block_id_wrapperIjLb1EEEEE10hipError_tT1_PNSt15iterator_traitsISN_E10value_typeET2_T3_PNSO_IST_E10value_typeET4_T5_PSY_SZ_PNS1_23onesweep_lookback_stateEbbT6_jjT7_P12ihipStream_tbENKUlT_T0_SN_SS_E_clISG_SG_SI_SI_EEDaS16_S17_SN_SS_EUlS16_E_NS1_11comp_targetILNS1_3genE10ELNS1_11target_archE1201ELNS1_3gpuE5ELNS1_3repE0EEENS1_47radix_sort_onesweep_sort_config_static_selectorELNS0_4arch9wavefront6targetE0EEEvSN_.kd
    .uniform_work_group_size: 1
    .uses_dynamic_stack: false
    .vgpr_count:     0
    .vgpr_spill_count: 0
    .wavefront_size: 32
  - .args:
      - .offset:         0
        .size:           88
        .value_kind:     by_value
    .group_segment_fixed_size: 0
    .kernarg_segment_align: 8
    .kernarg_segment_size: 88
    .language:       OpenCL C
    .language_version:
      - 2
      - 0
    .max_flat_workgroup_size: 1024
    .name:           _ZN7rocprim17ROCPRIM_400000_NS6detail17trampoline_kernelINS0_14default_configENS1_35radix_sort_onesweep_config_selectorIjN6thrust23THRUST_200600_302600_NS5tupleIffNS6_9null_typeES8_S8_S8_S8_S8_S8_S8_EEEEZZNS1_29radix_sort_onesweep_iterationIS3_Lb0ENS6_6detail15normal_iteratorINS6_10device_ptrIjEEEESG_NSD_INSE_IS9_EEEESI_jNS0_19identity_decomposerENS1_16block_id_wrapperIjLb1EEEEE10hipError_tT1_PNSt15iterator_traitsISN_E10value_typeET2_T3_PNSO_IST_E10value_typeET4_T5_PSY_SZ_PNS1_23onesweep_lookback_stateEbbT6_jjT7_P12ihipStream_tbENKUlT_T0_SN_SS_E_clISG_SG_SI_SI_EEDaS16_S17_SN_SS_EUlS16_E_NS1_11comp_targetILNS1_3genE9ELNS1_11target_archE1100ELNS1_3gpuE3ELNS1_3repE0EEENS1_47radix_sort_onesweep_sort_config_static_selectorELNS0_4arch9wavefront6targetE0EEEvSN_
    .private_segment_fixed_size: 0
    .sgpr_count:     0
    .sgpr_spill_count: 0
    .symbol:         _ZN7rocprim17ROCPRIM_400000_NS6detail17trampoline_kernelINS0_14default_configENS1_35radix_sort_onesweep_config_selectorIjN6thrust23THRUST_200600_302600_NS5tupleIffNS6_9null_typeES8_S8_S8_S8_S8_S8_S8_EEEEZZNS1_29radix_sort_onesweep_iterationIS3_Lb0ENS6_6detail15normal_iteratorINS6_10device_ptrIjEEEESG_NSD_INSE_IS9_EEEESI_jNS0_19identity_decomposerENS1_16block_id_wrapperIjLb1EEEEE10hipError_tT1_PNSt15iterator_traitsISN_E10value_typeET2_T3_PNSO_IST_E10value_typeET4_T5_PSY_SZ_PNS1_23onesweep_lookback_stateEbbT6_jjT7_P12ihipStream_tbENKUlT_T0_SN_SS_E_clISG_SG_SI_SI_EEDaS16_S17_SN_SS_EUlS16_E_NS1_11comp_targetILNS1_3genE9ELNS1_11target_archE1100ELNS1_3gpuE3ELNS1_3repE0EEENS1_47radix_sort_onesweep_sort_config_static_selectorELNS0_4arch9wavefront6targetE0EEEvSN_.kd
    .uniform_work_group_size: 1
    .uses_dynamic_stack: false
    .vgpr_count:     0
    .vgpr_spill_count: 0
    .wavefront_size: 32
  - .args:
      - .offset:         0
        .size:           88
        .value_kind:     by_value
    .group_segment_fixed_size: 0
    .kernarg_segment_align: 8
    .kernarg_segment_size: 88
    .language:       OpenCL C
    .language_version:
      - 2
      - 0
    .max_flat_workgroup_size: 1024
    .name:           _ZN7rocprim17ROCPRIM_400000_NS6detail17trampoline_kernelINS0_14default_configENS1_35radix_sort_onesweep_config_selectorIjN6thrust23THRUST_200600_302600_NS5tupleIffNS6_9null_typeES8_S8_S8_S8_S8_S8_S8_EEEEZZNS1_29radix_sort_onesweep_iterationIS3_Lb0ENS6_6detail15normal_iteratorINS6_10device_ptrIjEEEESG_NSD_INSE_IS9_EEEESI_jNS0_19identity_decomposerENS1_16block_id_wrapperIjLb1EEEEE10hipError_tT1_PNSt15iterator_traitsISN_E10value_typeET2_T3_PNSO_IST_E10value_typeET4_T5_PSY_SZ_PNS1_23onesweep_lookback_stateEbbT6_jjT7_P12ihipStream_tbENKUlT_T0_SN_SS_E_clISG_SG_SI_SI_EEDaS16_S17_SN_SS_EUlS16_E_NS1_11comp_targetILNS1_3genE8ELNS1_11target_archE1030ELNS1_3gpuE2ELNS1_3repE0EEENS1_47radix_sort_onesweep_sort_config_static_selectorELNS0_4arch9wavefront6targetE0EEEvSN_
    .private_segment_fixed_size: 0
    .sgpr_count:     0
    .sgpr_spill_count: 0
    .symbol:         _ZN7rocprim17ROCPRIM_400000_NS6detail17trampoline_kernelINS0_14default_configENS1_35radix_sort_onesweep_config_selectorIjN6thrust23THRUST_200600_302600_NS5tupleIffNS6_9null_typeES8_S8_S8_S8_S8_S8_S8_EEEEZZNS1_29radix_sort_onesweep_iterationIS3_Lb0ENS6_6detail15normal_iteratorINS6_10device_ptrIjEEEESG_NSD_INSE_IS9_EEEESI_jNS0_19identity_decomposerENS1_16block_id_wrapperIjLb1EEEEE10hipError_tT1_PNSt15iterator_traitsISN_E10value_typeET2_T3_PNSO_IST_E10value_typeET4_T5_PSY_SZ_PNS1_23onesweep_lookback_stateEbbT6_jjT7_P12ihipStream_tbENKUlT_T0_SN_SS_E_clISG_SG_SI_SI_EEDaS16_S17_SN_SS_EUlS16_E_NS1_11comp_targetILNS1_3genE8ELNS1_11target_archE1030ELNS1_3gpuE2ELNS1_3repE0EEENS1_47radix_sort_onesweep_sort_config_static_selectorELNS0_4arch9wavefront6targetE0EEEvSN_.kd
    .uniform_work_group_size: 1
    .uses_dynamic_stack: false
    .vgpr_count:     0
    .vgpr_spill_count: 0
    .wavefront_size: 32
  - .args:
      - .offset:         0
        .size:           88
        .value_kind:     by_value
      - .offset:         88
        .size:           4
        .value_kind:     hidden_block_count_x
      - .offset:         92
        .size:           4
        .value_kind:     hidden_block_count_y
      - .offset:         96
        .size:           4
        .value_kind:     hidden_block_count_z
      - .offset:         100
        .size:           2
        .value_kind:     hidden_group_size_x
      - .offset:         102
        .size:           2
        .value_kind:     hidden_group_size_y
      - .offset:         104
        .size:           2
        .value_kind:     hidden_group_size_z
      - .offset:         106
        .size:           2
        .value_kind:     hidden_remainder_x
      - .offset:         108
        .size:           2
        .value_kind:     hidden_remainder_y
      - .offset:         110
        .size:           2
        .value_kind:     hidden_remainder_z
      - .offset:         128
        .size:           8
        .value_kind:     hidden_global_offset_x
      - .offset:         136
        .size:           8
        .value_kind:     hidden_global_offset_y
      - .offset:         144
        .size:           8
        .value_kind:     hidden_global_offset_z
      - .offset:         152
        .size:           2
        .value_kind:     hidden_grid_dims
    .group_segment_fixed_size: 51280
    .kernarg_segment_align: 8
    .kernarg_segment_size: 344
    .language:       OpenCL C
    .language_version:
      - 2
      - 0
    .max_flat_workgroup_size: 512
    .name:           _ZN7rocprim17ROCPRIM_400000_NS6detail17trampoline_kernelINS0_14default_configENS1_35radix_sort_onesweep_config_selectorIjN6thrust23THRUST_200600_302600_NS5tupleIffNS6_9null_typeES8_S8_S8_S8_S8_S8_S8_EEEEZZNS1_29radix_sort_onesweep_iterationIS3_Lb0ENS6_6detail15normal_iteratorINS6_10device_ptrIjEEEESG_NSD_INSE_IS9_EEEESI_jNS0_19identity_decomposerENS1_16block_id_wrapperIjLb1EEEEE10hipError_tT1_PNSt15iterator_traitsISN_E10value_typeET2_T3_PNSO_IST_E10value_typeET4_T5_PSY_SZ_PNS1_23onesweep_lookback_stateEbbT6_jjT7_P12ihipStream_tbENKUlT_T0_SN_SS_E_clISG_PjSI_PS9_EEDaS16_S17_SN_SS_EUlS16_E_NS1_11comp_targetILNS1_3genE0ELNS1_11target_archE4294967295ELNS1_3gpuE0ELNS1_3repE0EEENS1_47radix_sort_onesweep_sort_config_static_selectorELNS0_4arch9wavefront6targetE0EEEvSN_
    .private_segment_fixed_size: 0
    .sgpr_count:     45
    .sgpr_spill_count: 0
    .symbol:         _ZN7rocprim17ROCPRIM_400000_NS6detail17trampoline_kernelINS0_14default_configENS1_35radix_sort_onesweep_config_selectorIjN6thrust23THRUST_200600_302600_NS5tupleIffNS6_9null_typeES8_S8_S8_S8_S8_S8_S8_EEEEZZNS1_29radix_sort_onesweep_iterationIS3_Lb0ENS6_6detail15normal_iteratorINS6_10device_ptrIjEEEESG_NSD_INSE_IS9_EEEESI_jNS0_19identity_decomposerENS1_16block_id_wrapperIjLb1EEEEE10hipError_tT1_PNSt15iterator_traitsISN_E10value_typeET2_T3_PNSO_IST_E10value_typeET4_T5_PSY_SZ_PNS1_23onesweep_lookback_stateEbbT6_jjT7_P12ihipStream_tbENKUlT_T0_SN_SS_E_clISG_PjSI_PS9_EEDaS16_S17_SN_SS_EUlS16_E_NS1_11comp_targetILNS1_3genE0ELNS1_11target_archE4294967295ELNS1_3gpuE0ELNS1_3repE0EEENS1_47radix_sort_onesweep_sort_config_static_selectorELNS0_4arch9wavefront6targetE0EEEvSN_.kd
    .uniform_work_group_size: 1
    .uses_dynamic_stack: false
    .vgpr_count:     58
    .vgpr_spill_count: 0
    .wavefront_size: 32
  - .args:
      - .offset:         0
        .size:           88
        .value_kind:     by_value
    .group_segment_fixed_size: 0
    .kernarg_segment_align: 8
    .kernarg_segment_size: 88
    .language:       OpenCL C
    .language_version:
      - 2
      - 0
    .max_flat_workgroup_size: 1024
    .name:           _ZN7rocprim17ROCPRIM_400000_NS6detail17trampoline_kernelINS0_14default_configENS1_35radix_sort_onesweep_config_selectorIjN6thrust23THRUST_200600_302600_NS5tupleIffNS6_9null_typeES8_S8_S8_S8_S8_S8_S8_EEEEZZNS1_29radix_sort_onesweep_iterationIS3_Lb0ENS6_6detail15normal_iteratorINS6_10device_ptrIjEEEESG_NSD_INSE_IS9_EEEESI_jNS0_19identity_decomposerENS1_16block_id_wrapperIjLb1EEEEE10hipError_tT1_PNSt15iterator_traitsISN_E10value_typeET2_T3_PNSO_IST_E10value_typeET4_T5_PSY_SZ_PNS1_23onesweep_lookback_stateEbbT6_jjT7_P12ihipStream_tbENKUlT_T0_SN_SS_E_clISG_PjSI_PS9_EEDaS16_S17_SN_SS_EUlS16_E_NS1_11comp_targetILNS1_3genE6ELNS1_11target_archE950ELNS1_3gpuE13ELNS1_3repE0EEENS1_47radix_sort_onesweep_sort_config_static_selectorELNS0_4arch9wavefront6targetE0EEEvSN_
    .private_segment_fixed_size: 0
    .sgpr_count:     0
    .sgpr_spill_count: 0
    .symbol:         _ZN7rocprim17ROCPRIM_400000_NS6detail17trampoline_kernelINS0_14default_configENS1_35radix_sort_onesweep_config_selectorIjN6thrust23THRUST_200600_302600_NS5tupleIffNS6_9null_typeES8_S8_S8_S8_S8_S8_S8_EEEEZZNS1_29radix_sort_onesweep_iterationIS3_Lb0ENS6_6detail15normal_iteratorINS6_10device_ptrIjEEEESG_NSD_INSE_IS9_EEEESI_jNS0_19identity_decomposerENS1_16block_id_wrapperIjLb1EEEEE10hipError_tT1_PNSt15iterator_traitsISN_E10value_typeET2_T3_PNSO_IST_E10value_typeET4_T5_PSY_SZ_PNS1_23onesweep_lookback_stateEbbT6_jjT7_P12ihipStream_tbENKUlT_T0_SN_SS_E_clISG_PjSI_PS9_EEDaS16_S17_SN_SS_EUlS16_E_NS1_11comp_targetILNS1_3genE6ELNS1_11target_archE950ELNS1_3gpuE13ELNS1_3repE0EEENS1_47radix_sort_onesweep_sort_config_static_selectorELNS0_4arch9wavefront6targetE0EEEvSN_.kd
    .uniform_work_group_size: 1
    .uses_dynamic_stack: false
    .vgpr_count:     0
    .vgpr_spill_count: 0
    .wavefront_size: 32
  - .args:
      - .offset:         0
        .size:           88
        .value_kind:     by_value
    .group_segment_fixed_size: 0
    .kernarg_segment_align: 8
    .kernarg_segment_size: 88
    .language:       OpenCL C
    .language_version:
      - 2
      - 0
    .max_flat_workgroup_size: 1024
    .name:           _ZN7rocprim17ROCPRIM_400000_NS6detail17trampoline_kernelINS0_14default_configENS1_35radix_sort_onesweep_config_selectorIjN6thrust23THRUST_200600_302600_NS5tupleIffNS6_9null_typeES8_S8_S8_S8_S8_S8_S8_EEEEZZNS1_29radix_sort_onesweep_iterationIS3_Lb0ENS6_6detail15normal_iteratorINS6_10device_ptrIjEEEESG_NSD_INSE_IS9_EEEESI_jNS0_19identity_decomposerENS1_16block_id_wrapperIjLb1EEEEE10hipError_tT1_PNSt15iterator_traitsISN_E10value_typeET2_T3_PNSO_IST_E10value_typeET4_T5_PSY_SZ_PNS1_23onesweep_lookback_stateEbbT6_jjT7_P12ihipStream_tbENKUlT_T0_SN_SS_E_clISG_PjSI_PS9_EEDaS16_S17_SN_SS_EUlS16_E_NS1_11comp_targetILNS1_3genE5ELNS1_11target_archE942ELNS1_3gpuE9ELNS1_3repE0EEENS1_47radix_sort_onesweep_sort_config_static_selectorELNS0_4arch9wavefront6targetE0EEEvSN_
    .private_segment_fixed_size: 0
    .sgpr_count:     0
    .sgpr_spill_count: 0
    .symbol:         _ZN7rocprim17ROCPRIM_400000_NS6detail17trampoline_kernelINS0_14default_configENS1_35radix_sort_onesweep_config_selectorIjN6thrust23THRUST_200600_302600_NS5tupleIffNS6_9null_typeES8_S8_S8_S8_S8_S8_S8_EEEEZZNS1_29radix_sort_onesweep_iterationIS3_Lb0ENS6_6detail15normal_iteratorINS6_10device_ptrIjEEEESG_NSD_INSE_IS9_EEEESI_jNS0_19identity_decomposerENS1_16block_id_wrapperIjLb1EEEEE10hipError_tT1_PNSt15iterator_traitsISN_E10value_typeET2_T3_PNSO_IST_E10value_typeET4_T5_PSY_SZ_PNS1_23onesweep_lookback_stateEbbT6_jjT7_P12ihipStream_tbENKUlT_T0_SN_SS_E_clISG_PjSI_PS9_EEDaS16_S17_SN_SS_EUlS16_E_NS1_11comp_targetILNS1_3genE5ELNS1_11target_archE942ELNS1_3gpuE9ELNS1_3repE0EEENS1_47radix_sort_onesweep_sort_config_static_selectorELNS0_4arch9wavefront6targetE0EEEvSN_.kd
    .uniform_work_group_size: 1
    .uses_dynamic_stack: false
    .vgpr_count:     0
    .vgpr_spill_count: 0
    .wavefront_size: 32
  - .args:
      - .offset:         0
        .size:           88
        .value_kind:     by_value
    .group_segment_fixed_size: 0
    .kernarg_segment_align: 8
    .kernarg_segment_size: 88
    .language:       OpenCL C
    .language_version:
      - 2
      - 0
    .max_flat_workgroup_size: 512
    .name:           _ZN7rocprim17ROCPRIM_400000_NS6detail17trampoline_kernelINS0_14default_configENS1_35radix_sort_onesweep_config_selectorIjN6thrust23THRUST_200600_302600_NS5tupleIffNS6_9null_typeES8_S8_S8_S8_S8_S8_S8_EEEEZZNS1_29radix_sort_onesweep_iterationIS3_Lb0ENS6_6detail15normal_iteratorINS6_10device_ptrIjEEEESG_NSD_INSE_IS9_EEEESI_jNS0_19identity_decomposerENS1_16block_id_wrapperIjLb1EEEEE10hipError_tT1_PNSt15iterator_traitsISN_E10value_typeET2_T3_PNSO_IST_E10value_typeET4_T5_PSY_SZ_PNS1_23onesweep_lookback_stateEbbT6_jjT7_P12ihipStream_tbENKUlT_T0_SN_SS_E_clISG_PjSI_PS9_EEDaS16_S17_SN_SS_EUlS16_E_NS1_11comp_targetILNS1_3genE2ELNS1_11target_archE906ELNS1_3gpuE6ELNS1_3repE0EEENS1_47radix_sort_onesweep_sort_config_static_selectorELNS0_4arch9wavefront6targetE0EEEvSN_
    .private_segment_fixed_size: 0
    .sgpr_count:     0
    .sgpr_spill_count: 0
    .symbol:         _ZN7rocprim17ROCPRIM_400000_NS6detail17trampoline_kernelINS0_14default_configENS1_35radix_sort_onesweep_config_selectorIjN6thrust23THRUST_200600_302600_NS5tupleIffNS6_9null_typeES8_S8_S8_S8_S8_S8_S8_EEEEZZNS1_29radix_sort_onesweep_iterationIS3_Lb0ENS6_6detail15normal_iteratorINS6_10device_ptrIjEEEESG_NSD_INSE_IS9_EEEESI_jNS0_19identity_decomposerENS1_16block_id_wrapperIjLb1EEEEE10hipError_tT1_PNSt15iterator_traitsISN_E10value_typeET2_T3_PNSO_IST_E10value_typeET4_T5_PSY_SZ_PNS1_23onesweep_lookback_stateEbbT6_jjT7_P12ihipStream_tbENKUlT_T0_SN_SS_E_clISG_PjSI_PS9_EEDaS16_S17_SN_SS_EUlS16_E_NS1_11comp_targetILNS1_3genE2ELNS1_11target_archE906ELNS1_3gpuE6ELNS1_3repE0EEENS1_47radix_sort_onesweep_sort_config_static_selectorELNS0_4arch9wavefront6targetE0EEEvSN_.kd
    .uniform_work_group_size: 1
    .uses_dynamic_stack: false
    .vgpr_count:     0
    .vgpr_spill_count: 0
    .wavefront_size: 32
  - .args:
      - .offset:         0
        .size:           88
        .value_kind:     by_value
    .group_segment_fixed_size: 0
    .kernarg_segment_align: 8
    .kernarg_segment_size: 88
    .language:       OpenCL C
    .language_version:
      - 2
      - 0
    .max_flat_workgroup_size: 512
    .name:           _ZN7rocprim17ROCPRIM_400000_NS6detail17trampoline_kernelINS0_14default_configENS1_35radix_sort_onesweep_config_selectorIjN6thrust23THRUST_200600_302600_NS5tupleIffNS6_9null_typeES8_S8_S8_S8_S8_S8_S8_EEEEZZNS1_29radix_sort_onesweep_iterationIS3_Lb0ENS6_6detail15normal_iteratorINS6_10device_ptrIjEEEESG_NSD_INSE_IS9_EEEESI_jNS0_19identity_decomposerENS1_16block_id_wrapperIjLb1EEEEE10hipError_tT1_PNSt15iterator_traitsISN_E10value_typeET2_T3_PNSO_IST_E10value_typeET4_T5_PSY_SZ_PNS1_23onesweep_lookback_stateEbbT6_jjT7_P12ihipStream_tbENKUlT_T0_SN_SS_E_clISG_PjSI_PS9_EEDaS16_S17_SN_SS_EUlS16_E_NS1_11comp_targetILNS1_3genE4ELNS1_11target_archE910ELNS1_3gpuE8ELNS1_3repE0EEENS1_47radix_sort_onesweep_sort_config_static_selectorELNS0_4arch9wavefront6targetE0EEEvSN_
    .private_segment_fixed_size: 0
    .sgpr_count:     0
    .sgpr_spill_count: 0
    .symbol:         _ZN7rocprim17ROCPRIM_400000_NS6detail17trampoline_kernelINS0_14default_configENS1_35radix_sort_onesweep_config_selectorIjN6thrust23THRUST_200600_302600_NS5tupleIffNS6_9null_typeES8_S8_S8_S8_S8_S8_S8_EEEEZZNS1_29radix_sort_onesweep_iterationIS3_Lb0ENS6_6detail15normal_iteratorINS6_10device_ptrIjEEEESG_NSD_INSE_IS9_EEEESI_jNS0_19identity_decomposerENS1_16block_id_wrapperIjLb1EEEEE10hipError_tT1_PNSt15iterator_traitsISN_E10value_typeET2_T3_PNSO_IST_E10value_typeET4_T5_PSY_SZ_PNS1_23onesweep_lookback_stateEbbT6_jjT7_P12ihipStream_tbENKUlT_T0_SN_SS_E_clISG_PjSI_PS9_EEDaS16_S17_SN_SS_EUlS16_E_NS1_11comp_targetILNS1_3genE4ELNS1_11target_archE910ELNS1_3gpuE8ELNS1_3repE0EEENS1_47radix_sort_onesweep_sort_config_static_selectorELNS0_4arch9wavefront6targetE0EEEvSN_.kd
    .uniform_work_group_size: 1
    .uses_dynamic_stack: false
    .vgpr_count:     0
    .vgpr_spill_count: 0
    .wavefront_size: 32
  - .args:
      - .offset:         0
        .size:           88
        .value_kind:     by_value
    .group_segment_fixed_size: 0
    .kernarg_segment_align: 8
    .kernarg_segment_size: 88
    .language:       OpenCL C
    .language_version:
      - 2
      - 0
    .max_flat_workgroup_size: 512
    .name:           _ZN7rocprim17ROCPRIM_400000_NS6detail17trampoline_kernelINS0_14default_configENS1_35radix_sort_onesweep_config_selectorIjN6thrust23THRUST_200600_302600_NS5tupleIffNS6_9null_typeES8_S8_S8_S8_S8_S8_S8_EEEEZZNS1_29radix_sort_onesweep_iterationIS3_Lb0ENS6_6detail15normal_iteratorINS6_10device_ptrIjEEEESG_NSD_INSE_IS9_EEEESI_jNS0_19identity_decomposerENS1_16block_id_wrapperIjLb1EEEEE10hipError_tT1_PNSt15iterator_traitsISN_E10value_typeET2_T3_PNSO_IST_E10value_typeET4_T5_PSY_SZ_PNS1_23onesweep_lookback_stateEbbT6_jjT7_P12ihipStream_tbENKUlT_T0_SN_SS_E_clISG_PjSI_PS9_EEDaS16_S17_SN_SS_EUlS16_E_NS1_11comp_targetILNS1_3genE3ELNS1_11target_archE908ELNS1_3gpuE7ELNS1_3repE0EEENS1_47radix_sort_onesweep_sort_config_static_selectorELNS0_4arch9wavefront6targetE0EEEvSN_
    .private_segment_fixed_size: 0
    .sgpr_count:     0
    .sgpr_spill_count: 0
    .symbol:         _ZN7rocprim17ROCPRIM_400000_NS6detail17trampoline_kernelINS0_14default_configENS1_35radix_sort_onesweep_config_selectorIjN6thrust23THRUST_200600_302600_NS5tupleIffNS6_9null_typeES8_S8_S8_S8_S8_S8_S8_EEEEZZNS1_29radix_sort_onesweep_iterationIS3_Lb0ENS6_6detail15normal_iteratorINS6_10device_ptrIjEEEESG_NSD_INSE_IS9_EEEESI_jNS0_19identity_decomposerENS1_16block_id_wrapperIjLb1EEEEE10hipError_tT1_PNSt15iterator_traitsISN_E10value_typeET2_T3_PNSO_IST_E10value_typeET4_T5_PSY_SZ_PNS1_23onesweep_lookback_stateEbbT6_jjT7_P12ihipStream_tbENKUlT_T0_SN_SS_E_clISG_PjSI_PS9_EEDaS16_S17_SN_SS_EUlS16_E_NS1_11comp_targetILNS1_3genE3ELNS1_11target_archE908ELNS1_3gpuE7ELNS1_3repE0EEENS1_47radix_sort_onesweep_sort_config_static_selectorELNS0_4arch9wavefront6targetE0EEEvSN_.kd
    .uniform_work_group_size: 1
    .uses_dynamic_stack: false
    .vgpr_count:     0
    .vgpr_spill_count: 0
    .wavefront_size: 32
  - .args:
      - .offset:         0
        .size:           88
        .value_kind:     by_value
    .group_segment_fixed_size: 0
    .kernarg_segment_align: 8
    .kernarg_segment_size: 88
    .language:       OpenCL C
    .language_version:
      - 2
      - 0
    .max_flat_workgroup_size: 1024
    .name:           _ZN7rocprim17ROCPRIM_400000_NS6detail17trampoline_kernelINS0_14default_configENS1_35radix_sort_onesweep_config_selectorIjN6thrust23THRUST_200600_302600_NS5tupleIffNS6_9null_typeES8_S8_S8_S8_S8_S8_S8_EEEEZZNS1_29radix_sort_onesweep_iterationIS3_Lb0ENS6_6detail15normal_iteratorINS6_10device_ptrIjEEEESG_NSD_INSE_IS9_EEEESI_jNS0_19identity_decomposerENS1_16block_id_wrapperIjLb1EEEEE10hipError_tT1_PNSt15iterator_traitsISN_E10value_typeET2_T3_PNSO_IST_E10value_typeET4_T5_PSY_SZ_PNS1_23onesweep_lookback_stateEbbT6_jjT7_P12ihipStream_tbENKUlT_T0_SN_SS_E_clISG_PjSI_PS9_EEDaS16_S17_SN_SS_EUlS16_E_NS1_11comp_targetILNS1_3genE10ELNS1_11target_archE1201ELNS1_3gpuE5ELNS1_3repE0EEENS1_47radix_sort_onesweep_sort_config_static_selectorELNS0_4arch9wavefront6targetE0EEEvSN_
    .private_segment_fixed_size: 0
    .sgpr_count:     0
    .sgpr_spill_count: 0
    .symbol:         _ZN7rocprim17ROCPRIM_400000_NS6detail17trampoline_kernelINS0_14default_configENS1_35radix_sort_onesweep_config_selectorIjN6thrust23THRUST_200600_302600_NS5tupleIffNS6_9null_typeES8_S8_S8_S8_S8_S8_S8_EEEEZZNS1_29radix_sort_onesweep_iterationIS3_Lb0ENS6_6detail15normal_iteratorINS6_10device_ptrIjEEEESG_NSD_INSE_IS9_EEEESI_jNS0_19identity_decomposerENS1_16block_id_wrapperIjLb1EEEEE10hipError_tT1_PNSt15iterator_traitsISN_E10value_typeET2_T3_PNSO_IST_E10value_typeET4_T5_PSY_SZ_PNS1_23onesweep_lookback_stateEbbT6_jjT7_P12ihipStream_tbENKUlT_T0_SN_SS_E_clISG_PjSI_PS9_EEDaS16_S17_SN_SS_EUlS16_E_NS1_11comp_targetILNS1_3genE10ELNS1_11target_archE1201ELNS1_3gpuE5ELNS1_3repE0EEENS1_47radix_sort_onesweep_sort_config_static_selectorELNS0_4arch9wavefront6targetE0EEEvSN_.kd
    .uniform_work_group_size: 1
    .uses_dynamic_stack: false
    .vgpr_count:     0
    .vgpr_spill_count: 0
    .wavefront_size: 32
  - .args:
      - .offset:         0
        .size:           88
        .value_kind:     by_value
    .group_segment_fixed_size: 0
    .kernarg_segment_align: 8
    .kernarg_segment_size: 88
    .language:       OpenCL C
    .language_version:
      - 2
      - 0
    .max_flat_workgroup_size: 1024
    .name:           _ZN7rocprim17ROCPRIM_400000_NS6detail17trampoline_kernelINS0_14default_configENS1_35radix_sort_onesweep_config_selectorIjN6thrust23THRUST_200600_302600_NS5tupleIffNS6_9null_typeES8_S8_S8_S8_S8_S8_S8_EEEEZZNS1_29radix_sort_onesweep_iterationIS3_Lb0ENS6_6detail15normal_iteratorINS6_10device_ptrIjEEEESG_NSD_INSE_IS9_EEEESI_jNS0_19identity_decomposerENS1_16block_id_wrapperIjLb1EEEEE10hipError_tT1_PNSt15iterator_traitsISN_E10value_typeET2_T3_PNSO_IST_E10value_typeET4_T5_PSY_SZ_PNS1_23onesweep_lookback_stateEbbT6_jjT7_P12ihipStream_tbENKUlT_T0_SN_SS_E_clISG_PjSI_PS9_EEDaS16_S17_SN_SS_EUlS16_E_NS1_11comp_targetILNS1_3genE9ELNS1_11target_archE1100ELNS1_3gpuE3ELNS1_3repE0EEENS1_47radix_sort_onesweep_sort_config_static_selectorELNS0_4arch9wavefront6targetE0EEEvSN_
    .private_segment_fixed_size: 0
    .sgpr_count:     0
    .sgpr_spill_count: 0
    .symbol:         _ZN7rocprim17ROCPRIM_400000_NS6detail17trampoline_kernelINS0_14default_configENS1_35radix_sort_onesweep_config_selectorIjN6thrust23THRUST_200600_302600_NS5tupleIffNS6_9null_typeES8_S8_S8_S8_S8_S8_S8_EEEEZZNS1_29radix_sort_onesweep_iterationIS3_Lb0ENS6_6detail15normal_iteratorINS6_10device_ptrIjEEEESG_NSD_INSE_IS9_EEEESI_jNS0_19identity_decomposerENS1_16block_id_wrapperIjLb1EEEEE10hipError_tT1_PNSt15iterator_traitsISN_E10value_typeET2_T3_PNSO_IST_E10value_typeET4_T5_PSY_SZ_PNS1_23onesweep_lookback_stateEbbT6_jjT7_P12ihipStream_tbENKUlT_T0_SN_SS_E_clISG_PjSI_PS9_EEDaS16_S17_SN_SS_EUlS16_E_NS1_11comp_targetILNS1_3genE9ELNS1_11target_archE1100ELNS1_3gpuE3ELNS1_3repE0EEENS1_47radix_sort_onesweep_sort_config_static_selectorELNS0_4arch9wavefront6targetE0EEEvSN_.kd
    .uniform_work_group_size: 1
    .uses_dynamic_stack: false
    .vgpr_count:     0
    .vgpr_spill_count: 0
    .wavefront_size: 32
  - .args:
      - .offset:         0
        .size:           88
        .value_kind:     by_value
    .group_segment_fixed_size: 0
    .kernarg_segment_align: 8
    .kernarg_segment_size: 88
    .language:       OpenCL C
    .language_version:
      - 2
      - 0
    .max_flat_workgroup_size: 1024
    .name:           _ZN7rocprim17ROCPRIM_400000_NS6detail17trampoline_kernelINS0_14default_configENS1_35radix_sort_onesweep_config_selectorIjN6thrust23THRUST_200600_302600_NS5tupleIffNS6_9null_typeES8_S8_S8_S8_S8_S8_S8_EEEEZZNS1_29radix_sort_onesweep_iterationIS3_Lb0ENS6_6detail15normal_iteratorINS6_10device_ptrIjEEEESG_NSD_INSE_IS9_EEEESI_jNS0_19identity_decomposerENS1_16block_id_wrapperIjLb1EEEEE10hipError_tT1_PNSt15iterator_traitsISN_E10value_typeET2_T3_PNSO_IST_E10value_typeET4_T5_PSY_SZ_PNS1_23onesweep_lookback_stateEbbT6_jjT7_P12ihipStream_tbENKUlT_T0_SN_SS_E_clISG_PjSI_PS9_EEDaS16_S17_SN_SS_EUlS16_E_NS1_11comp_targetILNS1_3genE8ELNS1_11target_archE1030ELNS1_3gpuE2ELNS1_3repE0EEENS1_47radix_sort_onesweep_sort_config_static_selectorELNS0_4arch9wavefront6targetE0EEEvSN_
    .private_segment_fixed_size: 0
    .sgpr_count:     0
    .sgpr_spill_count: 0
    .symbol:         _ZN7rocprim17ROCPRIM_400000_NS6detail17trampoline_kernelINS0_14default_configENS1_35radix_sort_onesweep_config_selectorIjN6thrust23THRUST_200600_302600_NS5tupleIffNS6_9null_typeES8_S8_S8_S8_S8_S8_S8_EEEEZZNS1_29radix_sort_onesweep_iterationIS3_Lb0ENS6_6detail15normal_iteratorINS6_10device_ptrIjEEEESG_NSD_INSE_IS9_EEEESI_jNS0_19identity_decomposerENS1_16block_id_wrapperIjLb1EEEEE10hipError_tT1_PNSt15iterator_traitsISN_E10value_typeET2_T3_PNSO_IST_E10value_typeET4_T5_PSY_SZ_PNS1_23onesweep_lookback_stateEbbT6_jjT7_P12ihipStream_tbENKUlT_T0_SN_SS_E_clISG_PjSI_PS9_EEDaS16_S17_SN_SS_EUlS16_E_NS1_11comp_targetILNS1_3genE8ELNS1_11target_archE1030ELNS1_3gpuE2ELNS1_3repE0EEENS1_47radix_sort_onesweep_sort_config_static_selectorELNS0_4arch9wavefront6targetE0EEEvSN_.kd
    .uniform_work_group_size: 1
    .uses_dynamic_stack: false
    .vgpr_count:     0
    .vgpr_spill_count: 0
    .wavefront_size: 32
  - .args:
      - .offset:         0
        .size:           88
        .value_kind:     by_value
      - .offset:         88
        .size:           4
        .value_kind:     hidden_block_count_x
      - .offset:         92
        .size:           4
        .value_kind:     hidden_block_count_y
      - .offset:         96
        .size:           4
        .value_kind:     hidden_block_count_z
      - .offset:         100
        .size:           2
        .value_kind:     hidden_group_size_x
      - .offset:         102
        .size:           2
        .value_kind:     hidden_group_size_y
      - .offset:         104
        .size:           2
        .value_kind:     hidden_group_size_z
      - .offset:         106
        .size:           2
        .value_kind:     hidden_remainder_x
      - .offset:         108
        .size:           2
        .value_kind:     hidden_remainder_y
      - .offset:         110
        .size:           2
        .value_kind:     hidden_remainder_z
      - .offset:         128
        .size:           8
        .value_kind:     hidden_global_offset_x
      - .offset:         136
        .size:           8
        .value_kind:     hidden_global_offset_y
      - .offset:         144
        .size:           8
        .value_kind:     hidden_global_offset_z
      - .offset:         152
        .size:           2
        .value_kind:     hidden_grid_dims
    .group_segment_fixed_size: 51280
    .kernarg_segment_align: 8
    .kernarg_segment_size: 344
    .language:       OpenCL C
    .language_version:
      - 2
      - 0
    .max_flat_workgroup_size: 512
    .name:           _ZN7rocprim17ROCPRIM_400000_NS6detail17trampoline_kernelINS0_14default_configENS1_35radix_sort_onesweep_config_selectorIjN6thrust23THRUST_200600_302600_NS5tupleIffNS6_9null_typeES8_S8_S8_S8_S8_S8_S8_EEEEZZNS1_29radix_sort_onesweep_iterationIS3_Lb0ENS6_6detail15normal_iteratorINS6_10device_ptrIjEEEESG_NSD_INSE_IS9_EEEESI_jNS0_19identity_decomposerENS1_16block_id_wrapperIjLb1EEEEE10hipError_tT1_PNSt15iterator_traitsISN_E10value_typeET2_T3_PNSO_IST_E10value_typeET4_T5_PSY_SZ_PNS1_23onesweep_lookback_stateEbbT6_jjT7_P12ihipStream_tbENKUlT_T0_SN_SS_E_clIPjSG_PS9_SI_EEDaS16_S17_SN_SS_EUlS16_E_NS1_11comp_targetILNS1_3genE0ELNS1_11target_archE4294967295ELNS1_3gpuE0ELNS1_3repE0EEENS1_47radix_sort_onesweep_sort_config_static_selectorELNS0_4arch9wavefront6targetE0EEEvSN_
    .private_segment_fixed_size: 0
    .sgpr_count:     45
    .sgpr_spill_count: 0
    .symbol:         _ZN7rocprim17ROCPRIM_400000_NS6detail17trampoline_kernelINS0_14default_configENS1_35radix_sort_onesweep_config_selectorIjN6thrust23THRUST_200600_302600_NS5tupleIffNS6_9null_typeES8_S8_S8_S8_S8_S8_S8_EEEEZZNS1_29radix_sort_onesweep_iterationIS3_Lb0ENS6_6detail15normal_iteratorINS6_10device_ptrIjEEEESG_NSD_INSE_IS9_EEEESI_jNS0_19identity_decomposerENS1_16block_id_wrapperIjLb1EEEEE10hipError_tT1_PNSt15iterator_traitsISN_E10value_typeET2_T3_PNSO_IST_E10value_typeET4_T5_PSY_SZ_PNS1_23onesweep_lookback_stateEbbT6_jjT7_P12ihipStream_tbENKUlT_T0_SN_SS_E_clIPjSG_PS9_SI_EEDaS16_S17_SN_SS_EUlS16_E_NS1_11comp_targetILNS1_3genE0ELNS1_11target_archE4294967295ELNS1_3gpuE0ELNS1_3repE0EEENS1_47radix_sort_onesweep_sort_config_static_selectorELNS0_4arch9wavefront6targetE0EEEvSN_.kd
    .uniform_work_group_size: 1
    .uses_dynamic_stack: false
    .vgpr_count:     65
    .vgpr_spill_count: 0
    .wavefront_size: 32
  - .args:
      - .offset:         0
        .size:           88
        .value_kind:     by_value
    .group_segment_fixed_size: 0
    .kernarg_segment_align: 8
    .kernarg_segment_size: 88
    .language:       OpenCL C
    .language_version:
      - 2
      - 0
    .max_flat_workgroup_size: 1024
    .name:           _ZN7rocprim17ROCPRIM_400000_NS6detail17trampoline_kernelINS0_14default_configENS1_35radix_sort_onesweep_config_selectorIjN6thrust23THRUST_200600_302600_NS5tupleIffNS6_9null_typeES8_S8_S8_S8_S8_S8_S8_EEEEZZNS1_29radix_sort_onesweep_iterationIS3_Lb0ENS6_6detail15normal_iteratorINS6_10device_ptrIjEEEESG_NSD_INSE_IS9_EEEESI_jNS0_19identity_decomposerENS1_16block_id_wrapperIjLb1EEEEE10hipError_tT1_PNSt15iterator_traitsISN_E10value_typeET2_T3_PNSO_IST_E10value_typeET4_T5_PSY_SZ_PNS1_23onesweep_lookback_stateEbbT6_jjT7_P12ihipStream_tbENKUlT_T0_SN_SS_E_clIPjSG_PS9_SI_EEDaS16_S17_SN_SS_EUlS16_E_NS1_11comp_targetILNS1_3genE6ELNS1_11target_archE950ELNS1_3gpuE13ELNS1_3repE0EEENS1_47radix_sort_onesweep_sort_config_static_selectorELNS0_4arch9wavefront6targetE0EEEvSN_
    .private_segment_fixed_size: 0
    .sgpr_count:     0
    .sgpr_spill_count: 0
    .symbol:         _ZN7rocprim17ROCPRIM_400000_NS6detail17trampoline_kernelINS0_14default_configENS1_35radix_sort_onesweep_config_selectorIjN6thrust23THRUST_200600_302600_NS5tupleIffNS6_9null_typeES8_S8_S8_S8_S8_S8_S8_EEEEZZNS1_29radix_sort_onesweep_iterationIS3_Lb0ENS6_6detail15normal_iteratorINS6_10device_ptrIjEEEESG_NSD_INSE_IS9_EEEESI_jNS0_19identity_decomposerENS1_16block_id_wrapperIjLb1EEEEE10hipError_tT1_PNSt15iterator_traitsISN_E10value_typeET2_T3_PNSO_IST_E10value_typeET4_T5_PSY_SZ_PNS1_23onesweep_lookback_stateEbbT6_jjT7_P12ihipStream_tbENKUlT_T0_SN_SS_E_clIPjSG_PS9_SI_EEDaS16_S17_SN_SS_EUlS16_E_NS1_11comp_targetILNS1_3genE6ELNS1_11target_archE950ELNS1_3gpuE13ELNS1_3repE0EEENS1_47radix_sort_onesweep_sort_config_static_selectorELNS0_4arch9wavefront6targetE0EEEvSN_.kd
    .uniform_work_group_size: 1
    .uses_dynamic_stack: false
    .vgpr_count:     0
    .vgpr_spill_count: 0
    .wavefront_size: 32
  - .args:
      - .offset:         0
        .size:           88
        .value_kind:     by_value
    .group_segment_fixed_size: 0
    .kernarg_segment_align: 8
    .kernarg_segment_size: 88
    .language:       OpenCL C
    .language_version:
      - 2
      - 0
    .max_flat_workgroup_size: 1024
    .name:           _ZN7rocprim17ROCPRIM_400000_NS6detail17trampoline_kernelINS0_14default_configENS1_35radix_sort_onesweep_config_selectorIjN6thrust23THRUST_200600_302600_NS5tupleIffNS6_9null_typeES8_S8_S8_S8_S8_S8_S8_EEEEZZNS1_29radix_sort_onesweep_iterationIS3_Lb0ENS6_6detail15normal_iteratorINS6_10device_ptrIjEEEESG_NSD_INSE_IS9_EEEESI_jNS0_19identity_decomposerENS1_16block_id_wrapperIjLb1EEEEE10hipError_tT1_PNSt15iterator_traitsISN_E10value_typeET2_T3_PNSO_IST_E10value_typeET4_T5_PSY_SZ_PNS1_23onesweep_lookback_stateEbbT6_jjT7_P12ihipStream_tbENKUlT_T0_SN_SS_E_clIPjSG_PS9_SI_EEDaS16_S17_SN_SS_EUlS16_E_NS1_11comp_targetILNS1_3genE5ELNS1_11target_archE942ELNS1_3gpuE9ELNS1_3repE0EEENS1_47radix_sort_onesweep_sort_config_static_selectorELNS0_4arch9wavefront6targetE0EEEvSN_
    .private_segment_fixed_size: 0
    .sgpr_count:     0
    .sgpr_spill_count: 0
    .symbol:         _ZN7rocprim17ROCPRIM_400000_NS6detail17trampoline_kernelINS0_14default_configENS1_35radix_sort_onesweep_config_selectorIjN6thrust23THRUST_200600_302600_NS5tupleIffNS6_9null_typeES8_S8_S8_S8_S8_S8_S8_EEEEZZNS1_29radix_sort_onesweep_iterationIS3_Lb0ENS6_6detail15normal_iteratorINS6_10device_ptrIjEEEESG_NSD_INSE_IS9_EEEESI_jNS0_19identity_decomposerENS1_16block_id_wrapperIjLb1EEEEE10hipError_tT1_PNSt15iterator_traitsISN_E10value_typeET2_T3_PNSO_IST_E10value_typeET4_T5_PSY_SZ_PNS1_23onesweep_lookback_stateEbbT6_jjT7_P12ihipStream_tbENKUlT_T0_SN_SS_E_clIPjSG_PS9_SI_EEDaS16_S17_SN_SS_EUlS16_E_NS1_11comp_targetILNS1_3genE5ELNS1_11target_archE942ELNS1_3gpuE9ELNS1_3repE0EEENS1_47radix_sort_onesweep_sort_config_static_selectorELNS0_4arch9wavefront6targetE0EEEvSN_.kd
    .uniform_work_group_size: 1
    .uses_dynamic_stack: false
    .vgpr_count:     0
    .vgpr_spill_count: 0
    .wavefront_size: 32
  - .args:
      - .offset:         0
        .size:           88
        .value_kind:     by_value
    .group_segment_fixed_size: 0
    .kernarg_segment_align: 8
    .kernarg_segment_size: 88
    .language:       OpenCL C
    .language_version:
      - 2
      - 0
    .max_flat_workgroup_size: 512
    .name:           _ZN7rocprim17ROCPRIM_400000_NS6detail17trampoline_kernelINS0_14default_configENS1_35radix_sort_onesweep_config_selectorIjN6thrust23THRUST_200600_302600_NS5tupleIffNS6_9null_typeES8_S8_S8_S8_S8_S8_S8_EEEEZZNS1_29radix_sort_onesweep_iterationIS3_Lb0ENS6_6detail15normal_iteratorINS6_10device_ptrIjEEEESG_NSD_INSE_IS9_EEEESI_jNS0_19identity_decomposerENS1_16block_id_wrapperIjLb1EEEEE10hipError_tT1_PNSt15iterator_traitsISN_E10value_typeET2_T3_PNSO_IST_E10value_typeET4_T5_PSY_SZ_PNS1_23onesweep_lookback_stateEbbT6_jjT7_P12ihipStream_tbENKUlT_T0_SN_SS_E_clIPjSG_PS9_SI_EEDaS16_S17_SN_SS_EUlS16_E_NS1_11comp_targetILNS1_3genE2ELNS1_11target_archE906ELNS1_3gpuE6ELNS1_3repE0EEENS1_47radix_sort_onesweep_sort_config_static_selectorELNS0_4arch9wavefront6targetE0EEEvSN_
    .private_segment_fixed_size: 0
    .sgpr_count:     0
    .sgpr_spill_count: 0
    .symbol:         _ZN7rocprim17ROCPRIM_400000_NS6detail17trampoline_kernelINS0_14default_configENS1_35radix_sort_onesweep_config_selectorIjN6thrust23THRUST_200600_302600_NS5tupleIffNS6_9null_typeES8_S8_S8_S8_S8_S8_S8_EEEEZZNS1_29radix_sort_onesweep_iterationIS3_Lb0ENS6_6detail15normal_iteratorINS6_10device_ptrIjEEEESG_NSD_INSE_IS9_EEEESI_jNS0_19identity_decomposerENS1_16block_id_wrapperIjLb1EEEEE10hipError_tT1_PNSt15iterator_traitsISN_E10value_typeET2_T3_PNSO_IST_E10value_typeET4_T5_PSY_SZ_PNS1_23onesweep_lookback_stateEbbT6_jjT7_P12ihipStream_tbENKUlT_T0_SN_SS_E_clIPjSG_PS9_SI_EEDaS16_S17_SN_SS_EUlS16_E_NS1_11comp_targetILNS1_3genE2ELNS1_11target_archE906ELNS1_3gpuE6ELNS1_3repE0EEENS1_47radix_sort_onesweep_sort_config_static_selectorELNS0_4arch9wavefront6targetE0EEEvSN_.kd
    .uniform_work_group_size: 1
    .uses_dynamic_stack: false
    .vgpr_count:     0
    .vgpr_spill_count: 0
    .wavefront_size: 32
  - .args:
      - .offset:         0
        .size:           88
        .value_kind:     by_value
    .group_segment_fixed_size: 0
    .kernarg_segment_align: 8
    .kernarg_segment_size: 88
    .language:       OpenCL C
    .language_version:
      - 2
      - 0
    .max_flat_workgroup_size: 512
    .name:           _ZN7rocprim17ROCPRIM_400000_NS6detail17trampoline_kernelINS0_14default_configENS1_35radix_sort_onesweep_config_selectorIjN6thrust23THRUST_200600_302600_NS5tupleIffNS6_9null_typeES8_S8_S8_S8_S8_S8_S8_EEEEZZNS1_29radix_sort_onesweep_iterationIS3_Lb0ENS6_6detail15normal_iteratorINS6_10device_ptrIjEEEESG_NSD_INSE_IS9_EEEESI_jNS0_19identity_decomposerENS1_16block_id_wrapperIjLb1EEEEE10hipError_tT1_PNSt15iterator_traitsISN_E10value_typeET2_T3_PNSO_IST_E10value_typeET4_T5_PSY_SZ_PNS1_23onesweep_lookback_stateEbbT6_jjT7_P12ihipStream_tbENKUlT_T0_SN_SS_E_clIPjSG_PS9_SI_EEDaS16_S17_SN_SS_EUlS16_E_NS1_11comp_targetILNS1_3genE4ELNS1_11target_archE910ELNS1_3gpuE8ELNS1_3repE0EEENS1_47radix_sort_onesweep_sort_config_static_selectorELNS0_4arch9wavefront6targetE0EEEvSN_
    .private_segment_fixed_size: 0
    .sgpr_count:     0
    .sgpr_spill_count: 0
    .symbol:         _ZN7rocprim17ROCPRIM_400000_NS6detail17trampoline_kernelINS0_14default_configENS1_35radix_sort_onesweep_config_selectorIjN6thrust23THRUST_200600_302600_NS5tupleIffNS6_9null_typeES8_S8_S8_S8_S8_S8_S8_EEEEZZNS1_29radix_sort_onesweep_iterationIS3_Lb0ENS6_6detail15normal_iteratorINS6_10device_ptrIjEEEESG_NSD_INSE_IS9_EEEESI_jNS0_19identity_decomposerENS1_16block_id_wrapperIjLb1EEEEE10hipError_tT1_PNSt15iterator_traitsISN_E10value_typeET2_T3_PNSO_IST_E10value_typeET4_T5_PSY_SZ_PNS1_23onesweep_lookback_stateEbbT6_jjT7_P12ihipStream_tbENKUlT_T0_SN_SS_E_clIPjSG_PS9_SI_EEDaS16_S17_SN_SS_EUlS16_E_NS1_11comp_targetILNS1_3genE4ELNS1_11target_archE910ELNS1_3gpuE8ELNS1_3repE0EEENS1_47radix_sort_onesweep_sort_config_static_selectorELNS0_4arch9wavefront6targetE0EEEvSN_.kd
    .uniform_work_group_size: 1
    .uses_dynamic_stack: false
    .vgpr_count:     0
    .vgpr_spill_count: 0
    .wavefront_size: 32
  - .args:
      - .offset:         0
        .size:           88
        .value_kind:     by_value
    .group_segment_fixed_size: 0
    .kernarg_segment_align: 8
    .kernarg_segment_size: 88
    .language:       OpenCL C
    .language_version:
      - 2
      - 0
    .max_flat_workgroup_size: 512
    .name:           _ZN7rocprim17ROCPRIM_400000_NS6detail17trampoline_kernelINS0_14default_configENS1_35radix_sort_onesweep_config_selectorIjN6thrust23THRUST_200600_302600_NS5tupleIffNS6_9null_typeES8_S8_S8_S8_S8_S8_S8_EEEEZZNS1_29radix_sort_onesweep_iterationIS3_Lb0ENS6_6detail15normal_iteratorINS6_10device_ptrIjEEEESG_NSD_INSE_IS9_EEEESI_jNS0_19identity_decomposerENS1_16block_id_wrapperIjLb1EEEEE10hipError_tT1_PNSt15iterator_traitsISN_E10value_typeET2_T3_PNSO_IST_E10value_typeET4_T5_PSY_SZ_PNS1_23onesweep_lookback_stateEbbT6_jjT7_P12ihipStream_tbENKUlT_T0_SN_SS_E_clIPjSG_PS9_SI_EEDaS16_S17_SN_SS_EUlS16_E_NS1_11comp_targetILNS1_3genE3ELNS1_11target_archE908ELNS1_3gpuE7ELNS1_3repE0EEENS1_47radix_sort_onesweep_sort_config_static_selectorELNS0_4arch9wavefront6targetE0EEEvSN_
    .private_segment_fixed_size: 0
    .sgpr_count:     0
    .sgpr_spill_count: 0
    .symbol:         _ZN7rocprim17ROCPRIM_400000_NS6detail17trampoline_kernelINS0_14default_configENS1_35radix_sort_onesweep_config_selectorIjN6thrust23THRUST_200600_302600_NS5tupleIffNS6_9null_typeES8_S8_S8_S8_S8_S8_S8_EEEEZZNS1_29radix_sort_onesweep_iterationIS3_Lb0ENS6_6detail15normal_iteratorINS6_10device_ptrIjEEEESG_NSD_INSE_IS9_EEEESI_jNS0_19identity_decomposerENS1_16block_id_wrapperIjLb1EEEEE10hipError_tT1_PNSt15iterator_traitsISN_E10value_typeET2_T3_PNSO_IST_E10value_typeET4_T5_PSY_SZ_PNS1_23onesweep_lookback_stateEbbT6_jjT7_P12ihipStream_tbENKUlT_T0_SN_SS_E_clIPjSG_PS9_SI_EEDaS16_S17_SN_SS_EUlS16_E_NS1_11comp_targetILNS1_3genE3ELNS1_11target_archE908ELNS1_3gpuE7ELNS1_3repE0EEENS1_47radix_sort_onesweep_sort_config_static_selectorELNS0_4arch9wavefront6targetE0EEEvSN_.kd
    .uniform_work_group_size: 1
    .uses_dynamic_stack: false
    .vgpr_count:     0
    .vgpr_spill_count: 0
    .wavefront_size: 32
  - .args:
      - .offset:         0
        .size:           88
        .value_kind:     by_value
    .group_segment_fixed_size: 0
    .kernarg_segment_align: 8
    .kernarg_segment_size: 88
    .language:       OpenCL C
    .language_version:
      - 2
      - 0
    .max_flat_workgroup_size: 1024
    .name:           _ZN7rocprim17ROCPRIM_400000_NS6detail17trampoline_kernelINS0_14default_configENS1_35radix_sort_onesweep_config_selectorIjN6thrust23THRUST_200600_302600_NS5tupleIffNS6_9null_typeES8_S8_S8_S8_S8_S8_S8_EEEEZZNS1_29radix_sort_onesweep_iterationIS3_Lb0ENS6_6detail15normal_iteratorINS6_10device_ptrIjEEEESG_NSD_INSE_IS9_EEEESI_jNS0_19identity_decomposerENS1_16block_id_wrapperIjLb1EEEEE10hipError_tT1_PNSt15iterator_traitsISN_E10value_typeET2_T3_PNSO_IST_E10value_typeET4_T5_PSY_SZ_PNS1_23onesweep_lookback_stateEbbT6_jjT7_P12ihipStream_tbENKUlT_T0_SN_SS_E_clIPjSG_PS9_SI_EEDaS16_S17_SN_SS_EUlS16_E_NS1_11comp_targetILNS1_3genE10ELNS1_11target_archE1201ELNS1_3gpuE5ELNS1_3repE0EEENS1_47radix_sort_onesweep_sort_config_static_selectorELNS0_4arch9wavefront6targetE0EEEvSN_
    .private_segment_fixed_size: 0
    .sgpr_count:     0
    .sgpr_spill_count: 0
    .symbol:         _ZN7rocprim17ROCPRIM_400000_NS6detail17trampoline_kernelINS0_14default_configENS1_35radix_sort_onesweep_config_selectorIjN6thrust23THRUST_200600_302600_NS5tupleIffNS6_9null_typeES8_S8_S8_S8_S8_S8_S8_EEEEZZNS1_29radix_sort_onesweep_iterationIS3_Lb0ENS6_6detail15normal_iteratorINS6_10device_ptrIjEEEESG_NSD_INSE_IS9_EEEESI_jNS0_19identity_decomposerENS1_16block_id_wrapperIjLb1EEEEE10hipError_tT1_PNSt15iterator_traitsISN_E10value_typeET2_T3_PNSO_IST_E10value_typeET4_T5_PSY_SZ_PNS1_23onesweep_lookback_stateEbbT6_jjT7_P12ihipStream_tbENKUlT_T0_SN_SS_E_clIPjSG_PS9_SI_EEDaS16_S17_SN_SS_EUlS16_E_NS1_11comp_targetILNS1_3genE10ELNS1_11target_archE1201ELNS1_3gpuE5ELNS1_3repE0EEENS1_47radix_sort_onesweep_sort_config_static_selectorELNS0_4arch9wavefront6targetE0EEEvSN_.kd
    .uniform_work_group_size: 1
    .uses_dynamic_stack: false
    .vgpr_count:     0
    .vgpr_spill_count: 0
    .wavefront_size: 32
  - .args:
      - .offset:         0
        .size:           88
        .value_kind:     by_value
    .group_segment_fixed_size: 0
    .kernarg_segment_align: 8
    .kernarg_segment_size: 88
    .language:       OpenCL C
    .language_version:
      - 2
      - 0
    .max_flat_workgroup_size: 1024
    .name:           _ZN7rocprim17ROCPRIM_400000_NS6detail17trampoline_kernelINS0_14default_configENS1_35radix_sort_onesweep_config_selectorIjN6thrust23THRUST_200600_302600_NS5tupleIffNS6_9null_typeES8_S8_S8_S8_S8_S8_S8_EEEEZZNS1_29radix_sort_onesweep_iterationIS3_Lb0ENS6_6detail15normal_iteratorINS6_10device_ptrIjEEEESG_NSD_INSE_IS9_EEEESI_jNS0_19identity_decomposerENS1_16block_id_wrapperIjLb1EEEEE10hipError_tT1_PNSt15iterator_traitsISN_E10value_typeET2_T3_PNSO_IST_E10value_typeET4_T5_PSY_SZ_PNS1_23onesweep_lookback_stateEbbT6_jjT7_P12ihipStream_tbENKUlT_T0_SN_SS_E_clIPjSG_PS9_SI_EEDaS16_S17_SN_SS_EUlS16_E_NS1_11comp_targetILNS1_3genE9ELNS1_11target_archE1100ELNS1_3gpuE3ELNS1_3repE0EEENS1_47radix_sort_onesweep_sort_config_static_selectorELNS0_4arch9wavefront6targetE0EEEvSN_
    .private_segment_fixed_size: 0
    .sgpr_count:     0
    .sgpr_spill_count: 0
    .symbol:         _ZN7rocprim17ROCPRIM_400000_NS6detail17trampoline_kernelINS0_14default_configENS1_35radix_sort_onesweep_config_selectorIjN6thrust23THRUST_200600_302600_NS5tupleIffNS6_9null_typeES8_S8_S8_S8_S8_S8_S8_EEEEZZNS1_29radix_sort_onesweep_iterationIS3_Lb0ENS6_6detail15normal_iteratorINS6_10device_ptrIjEEEESG_NSD_INSE_IS9_EEEESI_jNS0_19identity_decomposerENS1_16block_id_wrapperIjLb1EEEEE10hipError_tT1_PNSt15iterator_traitsISN_E10value_typeET2_T3_PNSO_IST_E10value_typeET4_T5_PSY_SZ_PNS1_23onesweep_lookback_stateEbbT6_jjT7_P12ihipStream_tbENKUlT_T0_SN_SS_E_clIPjSG_PS9_SI_EEDaS16_S17_SN_SS_EUlS16_E_NS1_11comp_targetILNS1_3genE9ELNS1_11target_archE1100ELNS1_3gpuE3ELNS1_3repE0EEENS1_47radix_sort_onesweep_sort_config_static_selectorELNS0_4arch9wavefront6targetE0EEEvSN_.kd
    .uniform_work_group_size: 1
    .uses_dynamic_stack: false
    .vgpr_count:     0
    .vgpr_spill_count: 0
    .wavefront_size: 32
  - .args:
      - .offset:         0
        .size:           88
        .value_kind:     by_value
    .group_segment_fixed_size: 0
    .kernarg_segment_align: 8
    .kernarg_segment_size: 88
    .language:       OpenCL C
    .language_version:
      - 2
      - 0
    .max_flat_workgroup_size: 1024
    .name:           _ZN7rocprim17ROCPRIM_400000_NS6detail17trampoline_kernelINS0_14default_configENS1_35radix_sort_onesweep_config_selectorIjN6thrust23THRUST_200600_302600_NS5tupleIffNS6_9null_typeES8_S8_S8_S8_S8_S8_S8_EEEEZZNS1_29radix_sort_onesweep_iterationIS3_Lb0ENS6_6detail15normal_iteratorINS6_10device_ptrIjEEEESG_NSD_INSE_IS9_EEEESI_jNS0_19identity_decomposerENS1_16block_id_wrapperIjLb1EEEEE10hipError_tT1_PNSt15iterator_traitsISN_E10value_typeET2_T3_PNSO_IST_E10value_typeET4_T5_PSY_SZ_PNS1_23onesweep_lookback_stateEbbT6_jjT7_P12ihipStream_tbENKUlT_T0_SN_SS_E_clIPjSG_PS9_SI_EEDaS16_S17_SN_SS_EUlS16_E_NS1_11comp_targetILNS1_3genE8ELNS1_11target_archE1030ELNS1_3gpuE2ELNS1_3repE0EEENS1_47radix_sort_onesweep_sort_config_static_selectorELNS0_4arch9wavefront6targetE0EEEvSN_
    .private_segment_fixed_size: 0
    .sgpr_count:     0
    .sgpr_spill_count: 0
    .symbol:         _ZN7rocprim17ROCPRIM_400000_NS6detail17trampoline_kernelINS0_14default_configENS1_35radix_sort_onesweep_config_selectorIjN6thrust23THRUST_200600_302600_NS5tupleIffNS6_9null_typeES8_S8_S8_S8_S8_S8_S8_EEEEZZNS1_29radix_sort_onesweep_iterationIS3_Lb0ENS6_6detail15normal_iteratorINS6_10device_ptrIjEEEESG_NSD_INSE_IS9_EEEESI_jNS0_19identity_decomposerENS1_16block_id_wrapperIjLb1EEEEE10hipError_tT1_PNSt15iterator_traitsISN_E10value_typeET2_T3_PNSO_IST_E10value_typeET4_T5_PSY_SZ_PNS1_23onesweep_lookback_stateEbbT6_jjT7_P12ihipStream_tbENKUlT_T0_SN_SS_E_clIPjSG_PS9_SI_EEDaS16_S17_SN_SS_EUlS16_E_NS1_11comp_targetILNS1_3genE8ELNS1_11target_archE1030ELNS1_3gpuE2ELNS1_3repE0EEENS1_47radix_sort_onesweep_sort_config_static_selectorELNS0_4arch9wavefront6targetE0EEEvSN_.kd
    .uniform_work_group_size: 1
    .uses_dynamic_stack: false
    .vgpr_count:     0
    .vgpr_spill_count: 0
    .wavefront_size: 32
  - .args:
      - .offset:         0
        .size:           88
        .value_kind:     by_value
      - .offset:         88
        .size:           4
        .value_kind:     hidden_block_count_x
      - .offset:         92
        .size:           4
        .value_kind:     hidden_block_count_y
      - .offset:         96
        .size:           4
        .value_kind:     hidden_block_count_z
      - .offset:         100
        .size:           2
        .value_kind:     hidden_group_size_x
      - .offset:         102
        .size:           2
        .value_kind:     hidden_group_size_y
      - .offset:         104
        .size:           2
        .value_kind:     hidden_group_size_z
      - .offset:         106
        .size:           2
        .value_kind:     hidden_remainder_x
      - .offset:         108
        .size:           2
        .value_kind:     hidden_remainder_y
      - .offset:         110
        .size:           2
        .value_kind:     hidden_remainder_z
      - .offset:         128
        .size:           8
        .value_kind:     hidden_global_offset_x
      - .offset:         136
        .size:           8
        .value_kind:     hidden_global_offset_y
      - .offset:         144
        .size:           8
        .value_kind:     hidden_global_offset_z
      - .offset:         152
        .size:           2
        .value_kind:     hidden_grid_dims
    .group_segment_fixed_size: 51280
    .kernarg_segment_align: 8
    .kernarg_segment_size: 344
    .language:       OpenCL C
    .language_version:
      - 2
      - 0
    .max_flat_workgroup_size: 512
    .name:           _ZN7rocprim17ROCPRIM_400000_NS6detail17trampoline_kernelINS0_14default_configENS1_35radix_sort_onesweep_config_selectorIjN6thrust23THRUST_200600_302600_NS5tupleIffNS6_9null_typeES8_S8_S8_S8_S8_S8_S8_EEEEZZNS1_29radix_sort_onesweep_iterationIS3_Lb0ENS6_6detail15normal_iteratorINS6_10device_ptrIjEEEESG_NSD_INSE_IS9_EEEESI_jNS0_19identity_decomposerENS1_16block_id_wrapperIjLb0EEEEE10hipError_tT1_PNSt15iterator_traitsISN_E10value_typeET2_T3_PNSO_IST_E10value_typeET4_T5_PSY_SZ_PNS1_23onesweep_lookback_stateEbbT6_jjT7_P12ihipStream_tbENKUlT_T0_SN_SS_E_clISG_SG_SI_SI_EEDaS16_S17_SN_SS_EUlS16_E_NS1_11comp_targetILNS1_3genE0ELNS1_11target_archE4294967295ELNS1_3gpuE0ELNS1_3repE0EEENS1_47radix_sort_onesweep_sort_config_static_selectorELNS0_4arch9wavefront6targetE0EEEvSN_
    .private_segment_fixed_size: 0
    .sgpr_count:     45
    .sgpr_spill_count: 0
    .symbol:         _ZN7rocprim17ROCPRIM_400000_NS6detail17trampoline_kernelINS0_14default_configENS1_35radix_sort_onesweep_config_selectorIjN6thrust23THRUST_200600_302600_NS5tupleIffNS6_9null_typeES8_S8_S8_S8_S8_S8_S8_EEEEZZNS1_29radix_sort_onesweep_iterationIS3_Lb0ENS6_6detail15normal_iteratorINS6_10device_ptrIjEEEESG_NSD_INSE_IS9_EEEESI_jNS0_19identity_decomposerENS1_16block_id_wrapperIjLb0EEEEE10hipError_tT1_PNSt15iterator_traitsISN_E10value_typeET2_T3_PNSO_IST_E10value_typeET4_T5_PSY_SZ_PNS1_23onesweep_lookback_stateEbbT6_jjT7_P12ihipStream_tbENKUlT_T0_SN_SS_E_clISG_SG_SI_SI_EEDaS16_S17_SN_SS_EUlS16_E_NS1_11comp_targetILNS1_3genE0ELNS1_11target_archE4294967295ELNS1_3gpuE0ELNS1_3repE0EEENS1_47radix_sort_onesweep_sort_config_static_selectorELNS0_4arch9wavefront6targetE0EEEvSN_.kd
    .uniform_work_group_size: 1
    .uses_dynamic_stack: false
    .vgpr_count:     58
    .vgpr_spill_count: 0
    .wavefront_size: 32
  - .args:
      - .offset:         0
        .size:           88
        .value_kind:     by_value
    .group_segment_fixed_size: 0
    .kernarg_segment_align: 8
    .kernarg_segment_size: 88
    .language:       OpenCL C
    .language_version:
      - 2
      - 0
    .max_flat_workgroup_size: 1024
    .name:           _ZN7rocprim17ROCPRIM_400000_NS6detail17trampoline_kernelINS0_14default_configENS1_35radix_sort_onesweep_config_selectorIjN6thrust23THRUST_200600_302600_NS5tupleIffNS6_9null_typeES8_S8_S8_S8_S8_S8_S8_EEEEZZNS1_29radix_sort_onesweep_iterationIS3_Lb0ENS6_6detail15normal_iteratorINS6_10device_ptrIjEEEESG_NSD_INSE_IS9_EEEESI_jNS0_19identity_decomposerENS1_16block_id_wrapperIjLb0EEEEE10hipError_tT1_PNSt15iterator_traitsISN_E10value_typeET2_T3_PNSO_IST_E10value_typeET4_T5_PSY_SZ_PNS1_23onesweep_lookback_stateEbbT6_jjT7_P12ihipStream_tbENKUlT_T0_SN_SS_E_clISG_SG_SI_SI_EEDaS16_S17_SN_SS_EUlS16_E_NS1_11comp_targetILNS1_3genE6ELNS1_11target_archE950ELNS1_3gpuE13ELNS1_3repE0EEENS1_47radix_sort_onesweep_sort_config_static_selectorELNS0_4arch9wavefront6targetE0EEEvSN_
    .private_segment_fixed_size: 0
    .sgpr_count:     0
    .sgpr_spill_count: 0
    .symbol:         _ZN7rocprim17ROCPRIM_400000_NS6detail17trampoline_kernelINS0_14default_configENS1_35radix_sort_onesweep_config_selectorIjN6thrust23THRUST_200600_302600_NS5tupleIffNS6_9null_typeES8_S8_S8_S8_S8_S8_S8_EEEEZZNS1_29radix_sort_onesweep_iterationIS3_Lb0ENS6_6detail15normal_iteratorINS6_10device_ptrIjEEEESG_NSD_INSE_IS9_EEEESI_jNS0_19identity_decomposerENS1_16block_id_wrapperIjLb0EEEEE10hipError_tT1_PNSt15iterator_traitsISN_E10value_typeET2_T3_PNSO_IST_E10value_typeET4_T5_PSY_SZ_PNS1_23onesweep_lookback_stateEbbT6_jjT7_P12ihipStream_tbENKUlT_T0_SN_SS_E_clISG_SG_SI_SI_EEDaS16_S17_SN_SS_EUlS16_E_NS1_11comp_targetILNS1_3genE6ELNS1_11target_archE950ELNS1_3gpuE13ELNS1_3repE0EEENS1_47radix_sort_onesweep_sort_config_static_selectorELNS0_4arch9wavefront6targetE0EEEvSN_.kd
    .uniform_work_group_size: 1
    .uses_dynamic_stack: false
    .vgpr_count:     0
    .vgpr_spill_count: 0
    .wavefront_size: 32
  - .args:
      - .offset:         0
        .size:           88
        .value_kind:     by_value
    .group_segment_fixed_size: 0
    .kernarg_segment_align: 8
    .kernarg_segment_size: 88
    .language:       OpenCL C
    .language_version:
      - 2
      - 0
    .max_flat_workgroup_size: 1024
    .name:           _ZN7rocprim17ROCPRIM_400000_NS6detail17trampoline_kernelINS0_14default_configENS1_35radix_sort_onesweep_config_selectorIjN6thrust23THRUST_200600_302600_NS5tupleIffNS6_9null_typeES8_S8_S8_S8_S8_S8_S8_EEEEZZNS1_29radix_sort_onesweep_iterationIS3_Lb0ENS6_6detail15normal_iteratorINS6_10device_ptrIjEEEESG_NSD_INSE_IS9_EEEESI_jNS0_19identity_decomposerENS1_16block_id_wrapperIjLb0EEEEE10hipError_tT1_PNSt15iterator_traitsISN_E10value_typeET2_T3_PNSO_IST_E10value_typeET4_T5_PSY_SZ_PNS1_23onesweep_lookback_stateEbbT6_jjT7_P12ihipStream_tbENKUlT_T0_SN_SS_E_clISG_SG_SI_SI_EEDaS16_S17_SN_SS_EUlS16_E_NS1_11comp_targetILNS1_3genE5ELNS1_11target_archE942ELNS1_3gpuE9ELNS1_3repE0EEENS1_47radix_sort_onesweep_sort_config_static_selectorELNS0_4arch9wavefront6targetE0EEEvSN_
    .private_segment_fixed_size: 0
    .sgpr_count:     0
    .sgpr_spill_count: 0
    .symbol:         _ZN7rocprim17ROCPRIM_400000_NS6detail17trampoline_kernelINS0_14default_configENS1_35radix_sort_onesweep_config_selectorIjN6thrust23THRUST_200600_302600_NS5tupleIffNS6_9null_typeES8_S8_S8_S8_S8_S8_S8_EEEEZZNS1_29radix_sort_onesweep_iterationIS3_Lb0ENS6_6detail15normal_iteratorINS6_10device_ptrIjEEEESG_NSD_INSE_IS9_EEEESI_jNS0_19identity_decomposerENS1_16block_id_wrapperIjLb0EEEEE10hipError_tT1_PNSt15iterator_traitsISN_E10value_typeET2_T3_PNSO_IST_E10value_typeET4_T5_PSY_SZ_PNS1_23onesweep_lookback_stateEbbT6_jjT7_P12ihipStream_tbENKUlT_T0_SN_SS_E_clISG_SG_SI_SI_EEDaS16_S17_SN_SS_EUlS16_E_NS1_11comp_targetILNS1_3genE5ELNS1_11target_archE942ELNS1_3gpuE9ELNS1_3repE0EEENS1_47radix_sort_onesweep_sort_config_static_selectorELNS0_4arch9wavefront6targetE0EEEvSN_.kd
    .uniform_work_group_size: 1
    .uses_dynamic_stack: false
    .vgpr_count:     0
    .vgpr_spill_count: 0
    .wavefront_size: 32
  - .args:
      - .offset:         0
        .size:           88
        .value_kind:     by_value
    .group_segment_fixed_size: 0
    .kernarg_segment_align: 8
    .kernarg_segment_size: 88
    .language:       OpenCL C
    .language_version:
      - 2
      - 0
    .max_flat_workgroup_size: 512
    .name:           _ZN7rocprim17ROCPRIM_400000_NS6detail17trampoline_kernelINS0_14default_configENS1_35radix_sort_onesweep_config_selectorIjN6thrust23THRUST_200600_302600_NS5tupleIffNS6_9null_typeES8_S8_S8_S8_S8_S8_S8_EEEEZZNS1_29radix_sort_onesweep_iterationIS3_Lb0ENS6_6detail15normal_iteratorINS6_10device_ptrIjEEEESG_NSD_INSE_IS9_EEEESI_jNS0_19identity_decomposerENS1_16block_id_wrapperIjLb0EEEEE10hipError_tT1_PNSt15iterator_traitsISN_E10value_typeET2_T3_PNSO_IST_E10value_typeET4_T5_PSY_SZ_PNS1_23onesweep_lookback_stateEbbT6_jjT7_P12ihipStream_tbENKUlT_T0_SN_SS_E_clISG_SG_SI_SI_EEDaS16_S17_SN_SS_EUlS16_E_NS1_11comp_targetILNS1_3genE2ELNS1_11target_archE906ELNS1_3gpuE6ELNS1_3repE0EEENS1_47radix_sort_onesweep_sort_config_static_selectorELNS0_4arch9wavefront6targetE0EEEvSN_
    .private_segment_fixed_size: 0
    .sgpr_count:     0
    .sgpr_spill_count: 0
    .symbol:         _ZN7rocprim17ROCPRIM_400000_NS6detail17trampoline_kernelINS0_14default_configENS1_35radix_sort_onesweep_config_selectorIjN6thrust23THRUST_200600_302600_NS5tupleIffNS6_9null_typeES8_S8_S8_S8_S8_S8_S8_EEEEZZNS1_29radix_sort_onesweep_iterationIS3_Lb0ENS6_6detail15normal_iteratorINS6_10device_ptrIjEEEESG_NSD_INSE_IS9_EEEESI_jNS0_19identity_decomposerENS1_16block_id_wrapperIjLb0EEEEE10hipError_tT1_PNSt15iterator_traitsISN_E10value_typeET2_T3_PNSO_IST_E10value_typeET4_T5_PSY_SZ_PNS1_23onesweep_lookback_stateEbbT6_jjT7_P12ihipStream_tbENKUlT_T0_SN_SS_E_clISG_SG_SI_SI_EEDaS16_S17_SN_SS_EUlS16_E_NS1_11comp_targetILNS1_3genE2ELNS1_11target_archE906ELNS1_3gpuE6ELNS1_3repE0EEENS1_47radix_sort_onesweep_sort_config_static_selectorELNS0_4arch9wavefront6targetE0EEEvSN_.kd
    .uniform_work_group_size: 1
    .uses_dynamic_stack: false
    .vgpr_count:     0
    .vgpr_spill_count: 0
    .wavefront_size: 32
  - .args:
      - .offset:         0
        .size:           88
        .value_kind:     by_value
    .group_segment_fixed_size: 0
    .kernarg_segment_align: 8
    .kernarg_segment_size: 88
    .language:       OpenCL C
    .language_version:
      - 2
      - 0
    .max_flat_workgroup_size: 512
    .name:           _ZN7rocprim17ROCPRIM_400000_NS6detail17trampoline_kernelINS0_14default_configENS1_35radix_sort_onesweep_config_selectorIjN6thrust23THRUST_200600_302600_NS5tupleIffNS6_9null_typeES8_S8_S8_S8_S8_S8_S8_EEEEZZNS1_29radix_sort_onesweep_iterationIS3_Lb0ENS6_6detail15normal_iteratorINS6_10device_ptrIjEEEESG_NSD_INSE_IS9_EEEESI_jNS0_19identity_decomposerENS1_16block_id_wrapperIjLb0EEEEE10hipError_tT1_PNSt15iterator_traitsISN_E10value_typeET2_T3_PNSO_IST_E10value_typeET4_T5_PSY_SZ_PNS1_23onesweep_lookback_stateEbbT6_jjT7_P12ihipStream_tbENKUlT_T0_SN_SS_E_clISG_SG_SI_SI_EEDaS16_S17_SN_SS_EUlS16_E_NS1_11comp_targetILNS1_3genE4ELNS1_11target_archE910ELNS1_3gpuE8ELNS1_3repE0EEENS1_47radix_sort_onesweep_sort_config_static_selectorELNS0_4arch9wavefront6targetE0EEEvSN_
    .private_segment_fixed_size: 0
    .sgpr_count:     0
    .sgpr_spill_count: 0
    .symbol:         _ZN7rocprim17ROCPRIM_400000_NS6detail17trampoline_kernelINS0_14default_configENS1_35radix_sort_onesweep_config_selectorIjN6thrust23THRUST_200600_302600_NS5tupleIffNS6_9null_typeES8_S8_S8_S8_S8_S8_S8_EEEEZZNS1_29radix_sort_onesweep_iterationIS3_Lb0ENS6_6detail15normal_iteratorINS6_10device_ptrIjEEEESG_NSD_INSE_IS9_EEEESI_jNS0_19identity_decomposerENS1_16block_id_wrapperIjLb0EEEEE10hipError_tT1_PNSt15iterator_traitsISN_E10value_typeET2_T3_PNSO_IST_E10value_typeET4_T5_PSY_SZ_PNS1_23onesweep_lookback_stateEbbT6_jjT7_P12ihipStream_tbENKUlT_T0_SN_SS_E_clISG_SG_SI_SI_EEDaS16_S17_SN_SS_EUlS16_E_NS1_11comp_targetILNS1_3genE4ELNS1_11target_archE910ELNS1_3gpuE8ELNS1_3repE0EEENS1_47radix_sort_onesweep_sort_config_static_selectorELNS0_4arch9wavefront6targetE0EEEvSN_.kd
    .uniform_work_group_size: 1
    .uses_dynamic_stack: false
    .vgpr_count:     0
    .vgpr_spill_count: 0
    .wavefront_size: 32
  - .args:
      - .offset:         0
        .size:           88
        .value_kind:     by_value
    .group_segment_fixed_size: 0
    .kernarg_segment_align: 8
    .kernarg_segment_size: 88
    .language:       OpenCL C
    .language_version:
      - 2
      - 0
    .max_flat_workgroup_size: 512
    .name:           _ZN7rocprim17ROCPRIM_400000_NS6detail17trampoline_kernelINS0_14default_configENS1_35radix_sort_onesweep_config_selectorIjN6thrust23THRUST_200600_302600_NS5tupleIffNS6_9null_typeES8_S8_S8_S8_S8_S8_S8_EEEEZZNS1_29radix_sort_onesweep_iterationIS3_Lb0ENS6_6detail15normal_iteratorINS6_10device_ptrIjEEEESG_NSD_INSE_IS9_EEEESI_jNS0_19identity_decomposerENS1_16block_id_wrapperIjLb0EEEEE10hipError_tT1_PNSt15iterator_traitsISN_E10value_typeET2_T3_PNSO_IST_E10value_typeET4_T5_PSY_SZ_PNS1_23onesweep_lookback_stateEbbT6_jjT7_P12ihipStream_tbENKUlT_T0_SN_SS_E_clISG_SG_SI_SI_EEDaS16_S17_SN_SS_EUlS16_E_NS1_11comp_targetILNS1_3genE3ELNS1_11target_archE908ELNS1_3gpuE7ELNS1_3repE0EEENS1_47radix_sort_onesweep_sort_config_static_selectorELNS0_4arch9wavefront6targetE0EEEvSN_
    .private_segment_fixed_size: 0
    .sgpr_count:     0
    .sgpr_spill_count: 0
    .symbol:         _ZN7rocprim17ROCPRIM_400000_NS6detail17trampoline_kernelINS0_14default_configENS1_35radix_sort_onesweep_config_selectorIjN6thrust23THRUST_200600_302600_NS5tupleIffNS6_9null_typeES8_S8_S8_S8_S8_S8_S8_EEEEZZNS1_29radix_sort_onesweep_iterationIS3_Lb0ENS6_6detail15normal_iteratorINS6_10device_ptrIjEEEESG_NSD_INSE_IS9_EEEESI_jNS0_19identity_decomposerENS1_16block_id_wrapperIjLb0EEEEE10hipError_tT1_PNSt15iterator_traitsISN_E10value_typeET2_T3_PNSO_IST_E10value_typeET4_T5_PSY_SZ_PNS1_23onesweep_lookback_stateEbbT6_jjT7_P12ihipStream_tbENKUlT_T0_SN_SS_E_clISG_SG_SI_SI_EEDaS16_S17_SN_SS_EUlS16_E_NS1_11comp_targetILNS1_3genE3ELNS1_11target_archE908ELNS1_3gpuE7ELNS1_3repE0EEENS1_47radix_sort_onesweep_sort_config_static_selectorELNS0_4arch9wavefront6targetE0EEEvSN_.kd
    .uniform_work_group_size: 1
    .uses_dynamic_stack: false
    .vgpr_count:     0
    .vgpr_spill_count: 0
    .wavefront_size: 32
  - .args:
      - .offset:         0
        .size:           88
        .value_kind:     by_value
    .group_segment_fixed_size: 0
    .kernarg_segment_align: 8
    .kernarg_segment_size: 88
    .language:       OpenCL C
    .language_version:
      - 2
      - 0
    .max_flat_workgroup_size: 1024
    .name:           _ZN7rocprim17ROCPRIM_400000_NS6detail17trampoline_kernelINS0_14default_configENS1_35radix_sort_onesweep_config_selectorIjN6thrust23THRUST_200600_302600_NS5tupleIffNS6_9null_typeES8_S8_S8_S8_S8_S8_S8_EEEEZZNS1_29radix_sort_onesweep_iterationIS3_Lb0ENS6_6detail15normal_iteratorINS6_10device_ptrIjEEEESG_NSD_INSE_IS9_EEEESI_jNS0_19identity_decomposerENS1_16block_id_wrapperIjLb0EEEEE10hipError_tT1_PNSt15iterator_traitsISN_E10value_typeET2_T3_PNSO_IST_E10value_typeET4_T5_PSY_SZ_PNS1_23onesweep_lookback_stateEbbT6_jjT7_P12ihipStream_tbENKUlT_T0_SN_SS_E_clISG_SG_SI_SI_EEDaS16_S17_SN_SS_EUlS16_E_NS1_11comp_targetILNS1_3genE10ELNS1_11target_archE1201ELNS1_3gpuE5ELNS1_3repE0EEENS1_47radix_sort_onesweep_sort_config_static_selectorELNS0_4arch9wavefront6targetE0EEEvSN_
    .private_segment_fixed_size: 0
    .sgpr_count:     0
    .sgpr_spill_count: 0
    .symbol:         _ZN7rocprim17ROCPRIM_400000_NS6detail17trampoline_kernelINS0_14default_configENS1_35radix_sort_onesweep_config_selectorIjN6thrust23THRUST_200600_302600_NS5tupleIffNS6_9null_typeES8_S8_S8_S8_S8_S8_S8_EEEEZZNS1_29radix_sort_onesweep_iterationIS3_Lb0ENS6_6detail15normal_iteratorINS6_10device_ptrIjEEEESG_NSD_INSE_IS9_EEEESI_jNS0_19identity_decomposerENS1_16block_id_wrapperIjLb0EEEEE10hipError_tT1_PNSt15iterator_traitsISN_E10value_typeET2_T3_PNSO_IST_E10value_typeET4_T5_PSY_SZ_PNS1_23onesweep_lookback_stateEbbT6_jjT7_P12ihipStream_tbENKUlT_T0_SN_SS_E_clISG_SG_SI_SI_EEDaS16_S17_SN_SS_EUlS16_E_NS1_11comp_targetILNS1_3genE10ELNS1_11target_archE1201ELNS1_3gpuE5ELNS1_3repE0EEENS1_47radix_sort_onesweep_sort_config_static_selectorELNS0_4arch9wavefront6targetE0EEEvSN_.kd
    .uniform_work_group_size: 1
    .uses_dynamic_stack: false
    .vgpr_count:     0
    .vgpr_spill_count: 0
    .wavefront_size: 32
  - .args:
      - .offset:         0
        .size:           88
        .value_kind:     by_value
    .group_segment_fixed_size: 0
    .kernarg_segment_align: 8
    .kernarg_segment_size: 88
    .language:       OpenCL C
    .language_version:
      - 2
      - 0
    .max_flat_workgroup_size: 1024
    .name:           _ZN7rocprim17ROCPRIM_400000_NS6detail17trampoline_kernelINS0_14default_configENS1_35radix_sort_onesweep_config_selectorIjN6thrust23THRUST_200600_302600_NS5tupleIffNS6_9null_typeES8_S8_S8_S8_S8_S8_S8_EEEEZZNS1_29radix_sort_onesweep_iterationIS3_Lb0ENS6_6detail15normal_iteratorINS6_10device_ptrIjEEEESG_NSD_INSE_IS9_EEEESI_jNS0_19identity_decomposerENS1_16block_id_wrapperIjLb0EEEEE10hipError_tT1_PNSt15iterator_traitsISN_E10value_typeET2_T3_PNSO_IST_E10value_typeET4_T5_PSY_SZ_PNS1_23onesweep_lookback_stateEbbT6_jjT7_P12ihipStream_tbENKUlT_T0_SN_SS_E_clISG_SG_SI_SI_EEDaS16_S17_SN_SS_EUlS16_E_NS1_11comp_targetILNS1_3genE9ELNS1_11target_archE1100ELNS1_3gpuE3ELNS1_3repE0EEENS1_47radix_sort_onesweep_sort_config_static_selectorELNS0_4arch9wavefront6targetE0EEEvSN_
    .private_segment_fixed_size: 0
    .sgpr_count:     0
    .sgpr_spill_count: 0
    .symbol:         _ZN7rocprim17ROCPRIM_400000_NS6detail17trampoline_kernelINS0_14default_configENS1_35radix_sort_onesweep_config_selectorIjN6thrust23THRUST_200600_302600_NS5tupleIffNS6_9null_typeES8_S8_S8_S8_S8_S8_S8_EEEEZZNS1_29radix_sort_onesweep_iterationIS3_Lb0ENS6_6detail15normal_iteratorINS6_10device_ptrIjEEEESG_NSD_INSE_IS9_EEEESI_jNS0_19identity_decomposerENS1_16block_id_wrapperIjLb0EEEEE10hipError_tT1_PNSt15iterator_traitsISN_E10value_typeET2_T3_PNSO_IST_E10value_typeET4_T5_PSY_SZ_PNS1_23onesweep_lookback_stateEbbT6_jjT7_P12ihipStream_tbENKUlT_T0_SN_SS_E_clISG_SG_SI_SI_EEDaS16_S17_SN_SS_EUlS16_E_NS1_11comp_targetILNS1_3genE9ELNS1_11target_archE1100ELNS1_3gpuE3ELNS1_3repE0EEENS1_47radix_sort_onesweep_sort_config_static_selectorELNS0_4arch9wavefront6targetE0EEEvSN_.kd
    .uniform_work_group_size: 1
    .uses_dynamic_stack: false
    .vgpr_count:     0
    .vgpr_spill_count: 0
    .wavefront_size: 32
  - .args:
      - .offset:         0
        .size:           88
        .value_kind:     by_value
    .group_segment_fixed_size: 0
    .kernarg_segment_align: 8
    .kernarg_segment_size: 88
    .language:       OpenCL C
    .language_version:
      - 2
      - 0
    .max_flat_workgroup_size: 1024
    .name:           _ZN7rocprim17ROCPRIM_400000_NS6detail17trampoline_kernelINS0_14default_configENS1_35radix_sort_onesweep_config_selectorIjN6thrust23THRUST_200600_302600_NS5tupleIffNS6_9null_typeES8_S8_S8_S8_S8_S8_S8_EEEEZZNS1_29radix_sort_onesweep_iterationIS3_Lb0ENS6_6detail15normal_iteratorINS6_10device_ptrIjEEEESG_NSD_INSE_IS9_EEEESI_jNS0_19identity_decomposerENS1_16block_id_wrapperIjLb0EEEEE10hipError_tT1_PNSt15iterator_traitsISN_E10value_typeET2_T3_PNSO_IST_E10value_typeET4_T5_PSY_SZ_PNS1_23onesweep_lookback_stateEbbT6_jjT7_P12ihipStream_tbENKUlT_T0_SN_SS_E_clISG_SG_SI_SI_EEDaS16_S17_SN_SS_EUlS16_E_NS1_11comp_targetILNS1_3genE8ELNS1_11target_archE1030ELNS1_3gpuE2ELNS1_3repE0EEENS1_47radix_sort_onesweep_sort_config_static_selectorELNS0_4arch9wavefront6targetE0EEEvSN_
    .private_segment_fixed_size: 0
    .sgpr_count:     0
    .sgpr_spill_count: 0
    .symbol:         _ZN7rocprim17ROCPRIM_400000_NS6detail17trampoline_kernelINS0_14default_configENS1_35radix_sort_onesweep_config_selectorIjN6thrust23THRUST_200600_302600_NS5tupleIffNS6_9null_typeES8_S8_S8_S8_S8_S8_S8_EEEEZZNS1_29radix_sort_onesweep_iterationIS3_Lb0ENS6_6detail15normal_iteratorINS6_10device_ptrIjEEEESG_NSD_INSE_IS9_EEEESI_jNS0_19identity_decomposerENS1_16block_id_wrapperIjLb0EEEEE10hipError_tT1_PNSt15iterator_traitsISN_E10value_typeET2_T3_PNSO_IST_E10value_typeET4_T5_PSY_SZ_PNS1_23onesweep_lookback_stateEbbT6_jjT7_P12ihipStream_tbENKUlT_T0_SN_SS_E_clISG_SG_SI_SI_EEDaS16_S17_SN_SS_EUlS16_E_NS1_11comp_targetILNS1_3genE8ELNS1_11target_archE1030ELNS1_3gpuE2ELNS1_3repE0EEENS1_47radix_sort_onesweep_sort_config_static_selectorELNS0_4arch9wavefront6targetE0EEEvSN_.kd
    .uniform_work_group_size: 1
    .uses_dynamic_stack: false
    .vgpr_count:     0
    .vgpr_spill_count: 0
    .wavefront_size: 32
  - .args:
      - .offset:         0
        .size:           88
        .value_kind:     by_value
      - .offset:         88
        .size:           4
        .value_kind:     hidden_block_count_x
      - .offset:         92
        .size:           4
        .value_kind:     hidden_block_count_y
      - .offset:         96
        .size:           4
        .value_kind:     hidden_block_count_z
      - .offset:         100
        .size:           2
        .value_kind:     hidden_group_size_x
      - .offset:         102
        .size:           2
        .value_kind:     hidden_group_size_y
      - .offset:         104
        .size:           2
        .value_kind:     hidden_group_size_z
      - .offset:         106
        .size:           2
        .value_kind:     hidden_remainder_x
      - .offset:         108
        .size:           2
        .value_kind:     hidden_remainder_y
      - .offset:         110
        .size:           2
        .value_kind:     hidden_remainder_z
      - .offset:         128
        .size:           8
        .value_kind:     hidden_global_offset_x
      - .offset:         136
        .size:           8
        .value_kind:     hidden_global_offset_y
      - .offset:         144
        .size:           8
        .value_kind:     hidden_global_offset_z
      - .offset:         152
        .size:           2
        .value_kind:     hidden_grid_dims
    .group_segment_fixed_size: 51280
    .kernarg_segment_align: 8
    .kernarg_segment_size: 344
    .language:       OpenCL C
    .language_version:
      - 2
      - 0
    .max_flat_workgroup_size: 512
    .name:           _ZN7rocprim17ROCPRIM_400000_NS6detail17trampoline_kernelINS0_14default_configENS1_35radix_sort_onesweep_config_selectorIjN6thrust23THRUST_200600_302600_NS5tupleIffNS6_9null_typeES8_S8_S8_S8_S8_S8_S8_EEEEZZNS1_29radix_sort_onesweep_iterationIS3_Lb0ENS6_6detail15normal_iteratorINS6_10device_ptrIjEEEESG_NSD_INSE_IS9_EEEESI_jNS0_19identity_decomposerENS1_16block_id_wrapperIjLb0EEEEE10hipError_tT1_PNSt15iterator_traitsISN_E10value_typeET2_T3_PNSO_IST_E10value_typeET4_T5_PSY_SZ_PNS1_23onesweep_lookback_stateEbbT6_jjT7_P12ihipStream_tbENKUlT_T0_SN_SS_E_clISG_PjSI_PS9_EEDaS16_S17_SN_SS_EUlS16_E_NS1_11comp_targetILNS1_3genE0ELNS1_11target_archE4294967295ELNS1_3gpuE0ELNS1_3repE0EEENS1_47radix_sort_onesweep_sort_config_static_selectorELNS0_4arch9wavefront6targetE0EEEvSN_
    .private_segment_fixed_size: 0
    .sgpr_count:     45
    .sgpr_spill_count: 0
    .symbol:         _ZN7rocprim17ROCPRIM_400000_NS6detail17trampoline_kernelINS0_14default_configENS1_35radix_sort_onesweep_config_selectorIjN6thrust23THRUST_200600_302600_NS5tupleIffNS6_9null_typeES8_S8_S8_S8_S8_S8_S8_EEEEZZNS1_29radix_sort_onesweep_iterationIS3_Lb0ENS6_6detail15normal_iteratorINS6_10device_ptrIjEEEESG_NSD_INSE_IS9_EEEESI_jNS0_19identity_decomposerENS1_16block_id_wrapperIjLb0EEEEE10hipError_tT1_PNSt15iterator_traitsISN_E10value_typeET2_T3_PNSO_IST_E10value_typeET4_T5_PSY_SZ_PNS1_23onesweep_lookback_stateEbbT6_jjT7_P12ihipStream_tbENKUlT_T0_SN_SS_E_clISG_PjSI_PS9_EEDaS16_S17_SN_SS_EUlS16_E_NS1_11comp_targetILNS1_3genE0ELNS1_11target_archE4294967295ELNS1_3gpuE0ELNS1_3repE0EEENS1_47radix_sort_onesweep_sort_config_static_selectorELNS0_4arch9wavefront6targetE0EEEvSN_.kd
    .uniform_work_group_size: 1
    .uses_dynamic_stack: false
    .vgpr_count:     58
    .vgpr_spill_count: 0
    .wavefront_size: 32
  - .args:
      - .offset:         0
        .size:           88
        .value_kind:     by_value
    .group_segment_fixed_size: 0
    .kernarg_segment_align: 8
    .kernarg_segment_size: 88
    .language:       OpenCL C
    .language_version:
      - 2
      - 0
    .max_flat_workgroup_size: 1024
    .name:           _ZN7rocprim17ROCPRIM_400000_NS6detail17trampoline_kernelINS0_14default_configENS1_35radix_sort_onesweep_config_selectorIjN6thrust23THRUST_200600_302600_NS5tupleIffNS6_9null_typeES8_S8_S8_S8_S8_S8_S8_EEEEZZNS1_29radix_sort_onesweep_iterationIS3_Lb0ENS6_6detail15normal_iteratorINS6_10device_ptrIjEEEESG_NSD_INSE_IS9_EEEESI_jNS0_19identity_decomposerENS1_16block_id_wrapperIjLb0EEEEE10hipError_tT1_PNSt15iterator_traitsISN_E10value_typeET2_T3_PNSO_IST_E10value_typeET4_T5_PSY_SZ_PNS1_23onesweep_lookback_stateEbbT6_jjT7_P12ihipStream_tbENKUlT_T0_SN_SS_E_clISG_PjSI_PS9_EEDaS16_S17_SN_SS_EUlS16_E_NS1_11comp_targetILNS1_3genE6ELNS1_11target_archE950ELNS1_3gpuE13ELNS1_3repE0EEENS1_47radix_sort_onesweep_sort_config_static_selectorELNS0_4arch9wavefront6targetE0EEEvSN_
    .private_segment_fixed_size: 0
    .sgpr_count:     0
    .sgpr_spill_count: 0
    .symbol:         _ZN7rocprim17ROCPRIM_400000_NS6detail17trampoline_kernelINS0_14default_configENS1_35radix_sort_onesweep_config_selectorIjN6thrust23THRUST_200600_302600_NS5tupleIffNS6_9null_typeES8_S8_S8_S8_S8_S8_S8_EEEEZZNS1_29radix_sort_onesweep_iterationIS3_Lb0ENS6_6detail15normal_iteratorINS6_10device_ptrIjEEEESG_NSD_INSE_IS9_EEEESI_jNS0_19identity_decomposerENS1_16block_id_wrapperIjLb0EEEEE10hipError_tT1_PNSt15iterator_traitsISN_E10value_typeET2_T3_PNSO_IST_E10value_typeET4_T5_PSY_SZ_PNS1_23onesweep_lookback_stateEbbT6_jjT7_P12ihipStream_tbENKUlT_T0_SN_SS_E_clISG_PjSI_PS9_EEDaS16_S17_SN_SS_EUlS16_E_NS1_11comp_targetILNS1_3genE6ELNS1_11target_archE950ELNS1_3gpuE13ELNS1_3repE0EEENS1_47radix_sort_onesweep_sort_config_static_selectorELNS0_4arch9wavefront6targetE0EEEvSN_.kd
    .uniform_work_group_size: 1
    .uses_dynamic_stack: false
    .vgpr_count:     0
    .vgpr_spill_count: 0
    .wavefront_size: 32
  - .args:
      - .offset:         0
        .size:           88
        .value_kind:     by_value
    .group_segment_fixed_size: 0
    .kernarg_segment_align: 8
    .kernarg_segment_size: 88
    .language:       OpenCL C
    .language_version:
      - 2
      - 0
    .max_flat_workgroup_size: 1024
    .name:           _ZN7rocprim17ROCPRIM_400000_NS6detail17trampoline_kernelINS0_14default_configENS1_35radix_sort_onesweep_config_selectorIjN6thrust23THRUST_200600_302600_NS5tupleIffNS6_9null_typeES8_S8_S8_S8_S8_S8_S8_EEEEZZNS1_29radix_sort_onesweep_iterationIS3_Lb0ENS6_6detail15normal_iteratorINS6_10device_ptrIjEEEESG_NSD_INSE_IS9_EEEESI_jNS0_19identity_decomposerENS1_16block_id_wrapperIjLb0EEEEE10hipError_tT1_PNSt15iterator_traitsISN_E10value_typeET2_T3_PNSO_IST_E10value_typeET4_T5_PSY_SZ_PNS1_23onesweep_lookback_stateEbbT6_jjT7_P12ihipStream_tbENKUlT_T0_SN_SS_E_clISG_PjSI_PS9_EEDaS16_S17_SN_SS_EUlS16_E_NS1_11comp_targetILNS1_3genE5ELNS1_11target_archE942ELNS1_3gpuE9ELNS1_3repE0EEENS1_47radix_sort_onesweep_sort_config_static_selectorELNS0_4arch9wavefront6targetE0EEEvSN_
    .private_segment_fixed_size: 0
    .sgpr_count:     0
    .sgpr_spill_count: 0
    .symbol:         _ZN7rocprim17ROCPRIM_400000_NS6detail17trampoline_kernelINS0_14default_configENS1_35radix_sort_onesweep_config_selectorIjN6thrust23THRUST_200600_302600_NS5tupleIffNS6_9null_typeES8_S8_S8_S8_S8_S8_S8_EEEEZZNS1_29radix_sort_onesweep_iterationIS3_Lb0ENS6_6detail15normal_iteratorINS6_10device_ptrIjEEEESG_NSD_INSE_IS9_EEEESI_jNS0_19identity_decomposerENS1_16block_id_wrapperIjLb0EEEEE10hipError_tT1_PNSt15iterator_traitsISN_E10value_typeET2_T3_PNSO_IST_E10value_typeET4_T5_PSY_SZ_PNS1_23onesweep_lookback_stateEbbT6_jjT7_P12ihipStream_tbENKUlT_T0_SN_SS_E_clISG_PjSI_PS9_EEDaS16_S17_SN_SS_EUlS16_E_NS1_11comp_targetILNS1_3genE5ELNS1_11target_archE942ELNS1_3gpuE9ELNS1_3repE0EEENS1_47radix_sort_onesweep_sort_config_static_selectorELNS0_4arch9wavefront6targetE0EEEvSN_.kd
    .uniform_work_group_size: 1
    .uses_dynamic_stack: false
    .vgpr_count:     0
    .vgpr_spill_count: 0
    .wavefront_size: 32
  - .args:
      - .offset:         0
        .size:           88
        .value_kind:     by_value
    .group_segment_fixed_size: 0
    .kernarg_segment_align: 8
    .kernarg_segment_size: 88
    .language:       OpenCL C
    .language_version:
      - 2
      - 0
    .max_flat_workgroup_size: 512
    .name:           _ZN7rocprim17ROCPRIM_400000_NS6detail17trampoline_kernelINS0_14default_configENS1_35radix_sort_onesweep_config_selectorIjN6thrust23THRUST_200600_302600_NS5tupleIffNS6_9null_typeES8_S8_S8_S8_S8_S8_S8_EEEEZZNS1_29radix_sort_onesweep_iterationIS3_Lb0ENS6_6detail15normal_iteratorINS6_10device_ptrIjEEEESG_NSD_INSE_IS9_EEEESI_jNS0_19identity_decomposerENS1_16block_id_wrapperIjLb0EEEEE10hipError_tT1_PNSt15iterator_traitsISN_E10value_typeET2_T3_PNSO_IST_E10value_typeET4_T5_PSY_SZ_PNS1_23onesweep_lookback_stateEbbT6_jjT7_P12ihipStream_tbENKUlT_T0_SN_SS_E_clISG_PjSI_PS9_EEDaS16_S17_SN_SS_EUlS16_E_NS1_11comp_targetILNS1_3genE2ELNS1_11target_archE906ELNS1_3gpuE6ELNS1_3repE0EEENS1_47radix_sort_onesweep_sort_config_static_selectorELNS0_4arch9wavefront6targetE0EEEvSN_
    .private_segment_fixed_size: 0
    .sgpr_count:     0
    .sgpr_spill_count: 0
    .symbol:         _ZN7rocprim17ROCPRIM_400000_NS6detail17trampoline_kernelINS0_14default_configENS1_35radix_sort_onesweep_config_selectorIjN6thrust23THRUST_200600_302600_NS5tupleIffNS6_9null_typeES8_S8_S8_S8_S8_S8_S8_EEEEZZNS1_29radix_sort_onesweep_iterationIS3_Lb0ENS6_6detail15normal_iteratorINS6_10device_ptrIjEEEESG_NSD_INSE_IS9_EEEESI_jNS0_19identity_decomposerENS1_16block_id_wrapperIjLb0EEEEE10hipError_tT1_PNSt15iterator_traitsISN_E10value_typeET2_T3_PNSO_IST_E10value_typeET4_T5_PSY_SZ_PNS1_23onesweep_lookback_stateEbbT6_jjT7_P12ihipStream_tbENKUlT_T0_SN_SS_E_clISG_PjSI_PS9_EEDaS16_S17_SN_SS_EUlS16_E_NS1_11comp_targetILNS1_3genE2ELNS1_11target_archE906ELNS1_3gpuE6ELNS1_3repE0EEENS1_47radix_sort_onesweep_sort_config_static_selectorELNS0_4arch9wavefront6targetE0EEEvSN_.kd
    .uniform_work_group_size: 1
    .uses_dynamic_stack: false
    .vgpr_count:     0
    .vgpr_spill_count: 0
    .wavefront_size: 32
  - .args:
      - .offset:         0
        .size:           88
        .value_kind:     by_value
    .group_segment_fixed_size: 0
    .kernarg_segment_align: 8
    .kernarg_segment_size: 88
    .language:       OpenCL C
    .language_version:
      - 2
      - 0
    .max_flat_workgroup_size: 512
    .name:           _ZN7rocprim17ROCPRIM_400000_NS6detail17trampoline_kernelINS0_14default_configENS1_35radix_sort_onesweep_config_selectorIjN6thrust23THRUST_200600_302600_NS5tupleIffNS6_9null_typeES8_S8_S8_S8_S8_S8_S8_EEEEZZNS1_29radix_sort_onesweep_iterationIS3_Lb0ENS6_6detail15normal_iteratorINS6_10device_ptrIjEEEESG_NSD_INSE_IS9_EEEESI_jNS0_19identity_decomposerENS1_16block_id_wrapperIjLb0EEEEE10hipError_tT1_PNSt15iterator_traitsISN_E10value_typeET2_T3_PNSO_IST_E10value_typeET4_T5_PSY_SZ_PNS1_23onesweep_lookback_stateEbbT6_jjT7_P12ihipStream_tbENKUlT_T0_SN_SS_E_clISG_PjSI_PS9_EEDaS16_S17_SN_SS_EUlS16_E_NS1_11comp_targetILNS1_3genE4ELNS1_11target_archE910ELNS1_3gpuE8ELNS1_3repE0EEENS1_47radix_sort_onesweep_sort_config_static_selectorELNS0_4arch9wavefront6targetE0EEEvSN_
    .private_segment_fixed_size: 0
    .sgpr_count:     0
    .sgpr_spill_count: 0
    .symbol:         _ZN7rocprim17ROCPRIM_400000_NS6detail17trampoline_kernelINS0_14default_configENS1_35radix_sort_onesweep_config_selectorIjN6thrust23THRUST_200600_302600_NS5tupleIffNS6_9null_typeES8_S8_S8_S8_S8_S8_S8_EEEEZZNS1_29radix_sort_onesweep_iterationIS3_Lb0ENS6_6detail15normal_iteratorINS6_10device_ptrIjEEEESG_NSD_INSE_IS9_EEEESI_jNS0_19identity_decomposerENS1_16block_id_wrapperIjLb0EEEEE10hipError_tT1_PNSt15iterator_traitsISN_E10value_typeET2_T3_PNSO_IST_E10value_typeET4_T5_PSY_SZ_PNS1_23onesweep_lookback_stateEbbT6_jjT7_P12ihipStream_tbENKUlT_T0_SN_SS_E_clISG_PjSI_PS9_EEDaS16_S17_SN_SS_EUlS16_E_NS1_11comp_targetILNS1_3genE4ELNS1_11target_archE910ELNS1_3gpuE8ELNS1_3repE0EEENS1_47radix_sort_onesweep_sort_config_static_selectorELNS0_4arch9wavefront6targetE0EEEvSN_.kd
    .uniform_work_group_size: 1
    .uses_dynamic_stack: false
    .vgpr_count:     0
    .vgpr_spill_count: 0
    .wavefront_size: 32
  - .args:
      - .offset:         0
        .size:           88
        .value_kind:     by_value
    .group_segment_fixed_size: 0
    .kernarg_segment_align: 8
    .kernarg_segment_size: 88
    .language:       OpenCL C
    .language_version:
      - 2
      - 0
    .max_flat_workgroup_size: 512
    .name:           _ZN7rocprim17ROCPRIM_400000_NS6detail17trampoline_kernelINS0_14default_configENS1_35radix_sort_onesweep_config_selectorIjN6thrust23THRUST_200600_302600_NS5tupleIffNS6_9null_typeES8_S8_S8_S8_S8_S8_S8_EEEEZZNS1_29radix_sort_onesweep_iterationIS3_Lb0ENS6_6detail15normal_iteratorINS6_10device_ptrIjEEEESG_NSD_INSE_IS9_EEEESI_jNS0_19identity_decomposerENS1_16block_id_wrapperIjLb0EEEEE10hipError_tT1_PNSt15iterator_traitsISN_E10value_typeET2_T3_PNSO_IST_E10value_typeET4_T5_PSY_SZ_PNS1_23onesweep_lookback_stateEbbT6_jjT7_P12ihipStream_tbENKUlT_T0_SN_SS_E_clISG_PjSI_PS9_EEDaS16_S17_SN_SS_EUlS16_E_NS1_11comp_targetILNS1_3genE3ELNS1_11target_archE908ELNS1_3gpuE7ELNS1_3repE0EEENS1_47radix_sort_onesweep_sort_config_static_selectorELNS0_4arch9wavefront6targetE0EEEvSN_
    .private_segment_fixed_size: 0
    .sgpr_count:     0
    .sgpr_spill_count: 0
    .symbol:         _ZN7rocprim17ROCPRIM_400000_NS6detail17trampoline_kernelINS0_14default_configENS1_35radix_sort_onesweep_config_selectorIjN6thrust23THRUST_200600_302600_NS5tupleIffNS6_9null_typeES8_S8_S8_S8_S8_S8_S8_EEEEZZNS1_29radix_sort_onesweep_iterationIS3_Lb0ENS6_6detail15normal_iteratorINS6_10device_ptrIjEEEESG_NSD_INSE_IS9_EEEESI_jNS0_19identity_decomposerENS1_16block_id_wrapperIjLb0EEEEE10hipError_tT1_PNSt15iterator_traitsISN_E10value_typeET2_T3_PNSO_IST_E10value_typeET4_T5_PSY_SZ_PNS1_23onesweep_lookback_stateEbbT6_jjT7_P12ihipStream_tbENKUlT_T0_SN_SS_E_clISG_PjSI_PS9_EEDaS16_S17_SN_SS_EUlS16_E_NS1_11comp_targetILNS1_3genE3ELNS1_11target_archE908ELNS1_3gpuE7ELNS1_3repE0EEENS1_47radix_sort_onesweep_sort_config_static_selectorELNS0_4arch9wavefront6targetE0EEEvSN_.kd
    .uniform_work_group_size: 1
    .uses_dynamic_stack: false
    .vgpr_count:     0
    .vgpr_spill_count: 0
    .wavefront_size: 32
  - .args:
      - .offset:         0
        .size:           88
        .value_kind:     by_value
    .group_segment_fixed_size: 0
    .kernarg_segment_align: 8
    .kernarg_segment_size: 88
    .language:       OpenCL C
    .language_version:
      - 2
      - 0
    .max_flat_workgroup_size: 1024
    .name:           _ZN7rocprim17ROCPRIM_400000_NS6detail17trampoline_kernelINS0_14default_configENS1_35radix_sort_onesweep_config_selectorIjN6thrust23THRUST_200600_302600_NS5tupleIffNS6_9null_typeES8_S8_S8_S8_S8_S8_S8_EEEEZZNS1_29radix_sort_onesweep_iterationIS3_Lb0ENS6_6detail15normal_iteratorINS6_10device_ptrIjEEEESG_NSD_INSE_IS9_EEEESI_jNS0_19identity_decomposerENS1_16block_id_wrapperIjLb0EEEEE10hipError_tT1_PNSt15iterator_traitsISN_E10value_typeET2_T3_PNSO_IST_E10value_typeET4_T5_PSY_SZ_PNS1_23onesweep_lookback_stateEbbT6_jjT7_P12ihipStream_tbENKUlT_T0_SN_SS_E_clISG_PjSI_PS9_EEDaS16_S17_SN_SS_EUlS16_E_NS1_11comp_targetILNS1_3genE10ELNS1_11target_archE1201ELNS1_3gpuE5ELNS1_3repE0EEENS1_47radix_sort_onesweep_sort_config_static_selectorELNS0_4arch9wavefront6targetE0EEEvSN_
    .private_segment_fixed_size: 0
    .sgpr_count:     0
    .sgpr_spill_count: 0
    .symbol:         _ZN7rocprim17ROCPRIM_400000_NS6detail17trampoline_kernelINS0_14default_configENS1_35radix_sort_onesweep_config_selectorIjN6thrust23THRUST_200600_302600_NS5tupleIffNS6_9null_typeES8_S8_S8_S8_S8_S8_S8_EEEEZZNS1_29radix_sort_onesweep_iterationIS3_Lb0ENS6_6detail15normal_iteratorINS6_10device_ptrIjEEEESG_NSD_INSE_IS9_EEEESI_jNS0_19identity_decomposerENS1_16block_id_wrapperIjLb0EEEEE10hipError_tT1_PNSt15iterator_traitsISN_E10value_typeET2_T3_PNSO_IST_E10value_typeET4_T5_PSY_SZ_PNS1_23onesweep_lookback_stateEbbT6_jjT7_P12ihipStream_tbENKUlT_T0_SN_SS_E_clISG_PjSI_PS9_EEDaS16_S17_SN_SS_EUlS16_E_NS1_11comp_targetILNS1_3genE10ELNS1_11target_archE1201ELNS1_3gpuE5ELNS1_3repE0EEENS1_47radix_sort_onesweep_sort_config_static_selectorELNS0_4arch9wavefront6targetE0EEEvSN_.kd
    .uniform_work_group_size: 1
    .uses_dynamic_stack: false
    .vgpr_count:     0
    .vgpr_spill_count: 0
    .wavefront_size: 32
  - .args:
      - .offset:         0
        .size:           88
        .value_kind:     by_value
    .group_segment_fixed_size: 0
    .kernarg_segment_align: 8
    .kernarg_segment_size: 88
    .language:       OpenCL C
    .language_version:
      - 2
      - 0
    .max_flat_workgroup_size: 1024
    .name:           _ZN7rocprim17ROCPRIM_400000_NS6detail17trampoline_kernelINS0_14default_configENS1_35radix_sort_onesweep_config_selectorIjN6thrust23THRUST_200600_302600_NS5tupleIffNS6_9null_typeES8_S8_S8_S8_S8_S8_S8_EEEEZZNS1_29radix_sort_onesweep_iterationIS3_Lb0ENS6_6detail15normal_iteratorINS6_10device_ptrIjEEEESG_NSD_INSE_IS9_EEEESI_jNS0_19identity_decomposerENS1_16block_id_wrapperIjLb0EEEEE10hipError_tT1_PNSt15iterator_traitsISN_E10value_typeET2_T3_PNSO_IST_E10value_typeET4_T5_PSY_SZ_PNS1_23onesweep_lookback_stateEbbT6_jjT7_P12ihipStream_tbENKUlT_T0_SN_SS_E_clISG_PjSI_PS9_EEDaS16_S17_SN_SS_EUlS16_E_NS1_11comp_targetILNS1_3genE9ELNS1_11target_archE1100ELNS1_3gpuE3ELNS1_3repE0EEENS1_47radix_sort_onesweep_sort_config_static_selectorELNS0_4arch9wavefront6targetE0EEEvSN_
    .private_segment_fixed_size: 0
    .sgpr_count:     0
    .sgpr_spill_count: 0
    .symbol:         _ZN7rocprim17ROCPRIM_400000_NS6detail17trampoline_kernelINS0_14default_configENS1_35radix_sort_onesweep_config_selectorIjN6thrust23THRUST_200600_302600_NS5tupleIffNS6_9null_typeES8_S8_S8_S8_S8_S8_S8_EEEEZZNS1_29radix_sort_onesweep_iterationIS3_Lb0ENS6_6detail15normal_iteratorINS6_10device_ptrIjEEEESG_NSD_INSE_IS9_EEEESI_jNS0_19identity_decomposerENS1_16block_id_wrapperIjLb0EEEEE10hipError_tT1_PNSt15iterator_traitsISN_E10value_typeET2_T3_PNSO_IST_E10value_typeET4_T5_PSY_SZ_PNS1_23onesweep_lookback_stateEbbT6_jjT7_P12ihipStream_tbENKUlT_T0_SN_SS_E_clISG_PjSI_PS9_EEDaS16_S17_SN_SS_EUlS16_E_NS1_11comp_targetILNS1_3genE9ELNS1_11target_archE1100ELNS1_3gpuE3ELNS1_3repE0EEENS1_47radix_sort_onesweep_sort_config_static_selectorELNS0_4arch9wavefront6targetE0EEEvSN_.kd
    .uniform_work_group_size: 1
    .uses_dynamic_stack: false
    .vgpr_count:     0
    .vgpr_spill_count: 0
    .wavefront_size: 32
  - .args:
      - .offset:         0
        .size:           88
        .value_kind:     by_value
    .group_segment_fixed_size: 0
    .kernarg_segment_align: 8
    .kernarg_segment_size: 88
    .language:       OpenCL C
    .language_version:
      - 2
      - 0
    .max_flat_workgroup_size: 1024
    .name:           _ZN7rocprim17ROCPRIM_400000_NS6detail17trampoline_kernelINS0_14default_configENS1_35radix_sort_onesweep_config_selectorIjN6thrust23THRUST_200600_302600_NS5tupleIffNS6_9null_typeES8_S8_S8_S8_S8_S8_S8_EEEEZZNS1_29radix_sort_onesweep_iterationIS3_Lb0ENS6_6detail15normal_iteratorINS6_10device_ptrIjEEEESG_NSD_INSE_IS9_EEEESI_jNS0_19identity_decomposerENS1_16block_id_wrapperIjLb0EEEEE10hipError_tT1_PNSt15iterator_traitsISN_E10value_typeET2_T3_PNSO_IST_E10value_typeET4_T5_PSY_SZ_PNS1_23onesweep_lookback_stateEbbT6_jjT7_P12ihipStream_tbENKUlT_T0_SN_SS_E_clISG_PjSI_PS9_EEDaS16_S17_SN_SS_EUlS16_E_NS1_11comp_targetILNS1_3genE8ELNS1_11target_archE1030ELNS1_3gpuE2ELNS1_3repE0EEENS1_47radix_sort_onesweep_sort_config_static_selectorELNS0_4arch9wavefront6targetE0EEEvSN_
    .private_segment_fixed_size: 0
    .sgpr_count:     0
    .sgpr_spill_count: 0
    .symbol:         _ZN7rocprim17ROCPRIM_400000_NS6detail17trampoline_kernelINS0_14default_configENS1_35radix_sort_onesweep_config_selectorIjN6thrust23THRUST_200600_302600_NS5tupleIffNS6_9null_typeES8_S8_S8_S8_S8_S8_S8_EEEEZZNS1_29radix_sort_onesweep_iterationIS3_Lb0ENS6_6detail15normal_iteratorINS6_10device_ptrIjEEEESG_NSD_INSE_IS9_EEEESI_jNS0_19identity_decomposerENS1_16block_id_wrapperIjLb0EEEEE10hipError_tT1_PNSt15iterator_traitsISN_E10value_typeET2_T3_PNSO_IST_E10value_typeET4_T5_PSY_SZ_PNS1_23onesweep_lookback_stateEbbT6_jjT7_P12ihipStream_tbENKUlT_T0_SN_SS_E_clISG_PjSI_PS9_EEDaS16_S17_SN_SS_EUlS16_E_NS1_11comp_targetILNS1_3genE8ELNS1_11target_archE1030ELNS1_3gpuE2ELNS1_3repE0EEENS1_47radix_sort_onesweep_sort_config_static_selectorELNS0_4arch9wavefront6targetE0EEEvSN_.kd
    .uniform_work_group_size: 1
    .uses_dynamic_stack: false
    .vgpr_count:     0
    .vgpr_spill_count: 0
    .wavefront_size: 32
  - .args:
      - .offset:         0
        .size:           88
        .value_kind:     by_value
      - .offset:         88
        .size:           4
        .value_kind:     hidden_block_count_x
      - .offset:         92
        .size:           4
        .value_kind:     hidden_block_count_y
      - .offset:         96
        .size:           4
        .value_kind:     hidden_block_count_z
      - .offset:         100
        .size:           2
        .value_kind:     hidden_group_size_x
      - .offset:         102
        .size:           2
        .value_kind:     hidden_group_size_y
      - .offset:         104
        .size:           2
        .value_kind:     hidden_group_size_z
      - .offset:         106
        .size:           2
        .value_kind:     hidden_remainder_x
      - .offset:         108
        .size:           2
        .value_kind:     hidden_remainder_y
      - .offset:         110
        .size:           2
        .value_kind:     hidden_remainder_z
      - .offset:         128
        .size:           8
        .value_kind:     hidden_global_offset_x
      - .offset:         136
        .size:           8
        .value_kind:     hidden_global_offset_y
      - .offset:         144
        .size:           8
        .value_kind:     hidden_global_offset_z
      - .offset:         152
        .size:           2
        .value_kind:     hidden_grid_dims
    .group_segment_fixed_size: 51280
    .kernarg_segment_align: 8
    .kernarg_segment_size: 344
    .language:       OpenCL C
    .language_version:
      - 2
      - 0
    .max_flat_workgroup_size: 512
    .name:           _ZN7rocprim17ROCPRIM_400000_NS6detail17trampoline_kernelINS0_14default_configENS1_35radix_sort_onesweep_config_selectorIjN6thrust23THRUST_200600_302600_NS5tupleIffNS6_9null_typeES8_S8_S8_S8_S8_S8_S8_EEEEZZNS1_29radix_sort_onesweep_iterationIS3_Lb0ENS6_6detail15normal_iteratorINS6_10device_ptrIjEEEESG_NSD_INSE_IS9_EEEESI_jNS0_19identity_decomposerENS1_16block_id_wrapperIjLb0EEEEE10hipError_tT1_PNSt15iterator_traitsISN_E10value_typeET2_T3_PNSO_IST_E10value_typeET4_T5_PSY_SZ_PNS1_23onesweep_lookback_stateEbbT6_jjT7_P12ihipStream_tbENKUlT_T0_SN_SS_E_clIPjSG_PS9_SI_EEDaS16_S17_SN_SS_EUlS16_E_NS1_11comp_targetILNS1_3genE0ELNS1_11target_archE4294967295ELNS1_3gpuE0ELNS1_3repE0EEENS1_47radix_sort_onesweep_sort_config_static_selectorELNS0_4arch9wavefront6targetE0EEEvSN_
    .private_segment_fixed_size: 0
    .sgpr_count:     45
    .sgpr_spill_count: 0
    .symbol:         _ZN7rocprim17ROCPRIM_400000_NS6detail17trampoline_kernelINS0_14default_configENS1_35radix_sort_onesweep_config_selectorIjN6thrust23THRUST_200600_302600_NS5tupleIffNS6_9null_typeES8_S8_S8_S8_S8_S8_S8_EEEEZZNS1_29radix_sort_onesweep_iterationIS3_Lb0ENS6_6detail15normal_iteratorINS6_10device_ptrIjEEEESG_NSD_INSE_IS9_EEEESI_jNS0_19identity_decomposerENS1_16block_id_wrapperIjLb0EEEEE10hipError_tT1_PNSt15iterator_traitsISN_E10value_typeET2_T3_PNSO_IST_E10value_typeET4_T5_PSY_SZ_PNS1_23onesweep_lookback_stateEbbT6_jjT7_P12ihipStream_tbENKUlT_T0_SN_SS_E_clIPjSG_PS9_SI_EEDaS16_S17_SN_SS_EUlS16_E_NS1_11comp_targetILNS1_3genE0ELNS1_11target_archE4294967295ELNS1_3gpuE0ELNS1_3repE0EEENS1_47radix_sort_onesweep_sort_config_static_selectorELNS0_4arch9wavefront6targetE0EEEvSN_.kd
    .uniform_work_group_size: 1
    .uses_dynamic_stack: false
    .vgpr_count:     65
    .vgpr_spill_count: 0
    .wavefront_size: 32
  - .args:
      - .offset:         0
        .size:           88
        .value_kind:     by_value
    .group_segment_fixed_size: 0
    .kernarg_segment_align: 8
    .kernarg_segment_size: 88
    .language:       OpenCL C
    .language_version:
      - 2
      - 0
    .max_flat_workgroup_size: 1024
    .name:           _ZN7rocprim17ROCPRIM_400000_NS6detail17trampoline_kernelINS0_14default_configENS1_35radix_sort_onesweep_config_selectorIjN6thrust23THRUST_200600_302600_NS5tupleIffNS6_9null_typeES8_S8_S8_S8_S8_S8_S8_EEEEZZNS1_29radix_sort_onesweep_iterationIS3_Lb0ENS6_6detail15normal_iteratorINS6_10device_ptrIjEEEESG_NSD_INSE_IS9_EEEESI_jNS0_19identity_decomposerENS1_16block_id_wrapperIjLb0EEEEE10hipError_tT1_PNSt15iterator_traitsISN_E10value_typeET2_T3_PNSO_IST_E10value_typeET4_T5_PSY_SZ_PNS1_23onesweep_lookback_stateEbbT6_jjT7_P12ihipStream_tbENKUlT_T0_SN_SS_E_clIPjSG_PS9_SI_EEDaS16_S17_SN_SS_EUlS16_E_NS1_11comp_targetILNS1_3genE6ELNS1_11target_archE950ELNS1_3gpuE13ELNS1_3repE0EEENS1_47radix_sort_onesweep_sort_config_static_selectorELNS0_4arch9wavefront6targetE0EEEvSN_
    .private_segment_fixed_size: 0
    .sgpr_count:     0
    .sgpr_spill_count: 0
    .symbol:         _ZN7rocprim17ROCPRIM_400000_NS6detail17trampoline_kernelINS0_14default_configENS1_35radix_sort_onesweep_config_selectorIjN6thrust23THRUST_200600_302600_NS5tupleIffNS6_9null_typeES8_S8_S8_S8_S8_S8_S8_EEEEZZNS1_29radix_sort_onesweep_iterationIS3_Lb0ENS6_6detail15normal_iteratorINS6_10device_ptrIjEEEESG_NSD_INSE_IS9_EEEESI_jNS0_19identity_decomposerENS1_16block_id_wrapperIjLb0EEEEE10hipError_tT1_PNSt15iterator_traitsISN_E10value_typeET2_T3_PNSO_IST_E10value_typeET4_T5_PSY_SZ_PNS1_23onesweep_lookback_stateEbbT6_jjT7_P12ihipStream_tbENKUlT_T0_SN_SS_E_clIPjSG_PS9_SI_EEDaS16_S17_SN_SS_EUlS16_E_NS1_11comp_targetILNS1_3genE6ELNS1_11target_archE950ELNS1_3gpuE13ELNS1_3repE0EEENS1_47radix_sort_onesweep_sort_config_static_selectorELNS0_4arch9wavefront6targetE0EEEvSN_.kd
    .uniform_work_group_size: 1
    .uses_dynamic_stack: false
    .vgpr_count:     0
    .vgpr_spill_count: 0
    .wavefront_size: 32
  - .args:
      - .offset:         0
        .size:           88
        .value_kind:     by_value
    .group_segment_fixed_size: 0
    .kernarg_segment_align: 8
    .kernarg_segment_size: 88
    .language:       OpenCL C
    .language_version:
      - 2
      - 0
    .max_flat_workgroup_size: 1024
    .name:           _ZN7rocprim17ROCPRIM_400000_NS6detail17trampoline_kernelINS0_14default_configENS1_35radix_sort_onesweep_config_selectorIjN6thrust23THRUST_200600_302600_NS5tupleIffNS6_9null_typeES8_S8_S8_S8_S8_S8_S8_EEEEZZNS1_29radix_sort_onesweep_iterationIS3_Lb0ENS6_6detail15normal_iteratorINS6_10device_ptrIjEEEESG_NSD_INSE_IS9_EEEESI_jNS0_19identity_decomposerENS1_16block_id_wrapperIjLb0EEEEE10hipError_tT1_PNSt15iterator_traitsISN_E10value_typeET2_T3_PNSO_IST_E10value_typeET4_T5_PSY_SZ_PNS1_23onesweep_lookback_stateEbbT6_jjT7_P12ihipStream_tbENKUlT_T0_SN_SS_E_clIPjSG_PS9_SI_EEDaS16_S17_SN_SS_EUlS16_E_NS1_11comp_targetILNS1_3genE5ELNS1_11target_archE942ELNS1_3gpuE9ELNS1_3repE0EEENS1_47radix_sort_onesweep_sort_config_static_selectorELNS0_4arch9wavefront6targetE0EEEvSN_
    .private_segment_fixed_size: 0
    .sgpr_count:     0
    .sgpr_spill_count: 0
    .symbol:         _ZN7rocprim17ROCPRIM_400000_NS6detail17trampoline_kernelINS0_14default_configENS1_35radix_sort_onesweep_config_selectorIjN6thrust23THRUST_200600_302600_NS5tupleIffNS6_9null_typeES8_S8_S8_S8_S8_S8_S8_EEEEZZNS1_29radix_sort_onesweep_iterationIS3_Lb0ENS6_6detail15normal_iteratorINS6_10device_ptrIjEEEESG_NSD_INSE_IS9_EEEESI_jNS0_19identity_decomposerENS1_16block_id_wrapperIjLb0EEEEE10hipError_tT1_PNSt15iterator_traitsISN_E10value_typeET2_T3_PNSO_IST_E10value_typeET4_T5_PSY_SZ_PNS1_23onesweep_lookback_stateEbbT6_jjT7_P12ihipStream_tbENKUlT_T0_SN_SS_E_clIPjSG_PS9_SI_EEDaS16_S17_SN_SS_EUlS16_E_NS1_11comp_targetILNS1_3genE5ELNS1_11target_archE942ELNS1_3gpuE9ELNS1_3repE0EEENS1_47radix_sort_onesweep_sort_config_static_selectorELNS0_4arch9wavefront6targetE0EEEvSN_.kd
    .uniform_work_group_size: 1
    .uses_dynamic_stack: false
    .vgpr_count:     0
    .vgpr_spill_count: 0
    .wavefront_size: 32
  - .args:
      - .offset:         0
        .size:           88
        .value_kind:     by_value
    .group_segment_fixed_size: 0
    .kernarg_segment_align: 8
    .kernarg_segment_size: 88
    .language:       OpenCL C
    .language_version:
      - 2
      - 0
    .max_flat_workgroup_size: 512
    .name:           _ZN7rocprim17ROCPRIM_400000_NS6detail17trampoline_kernelINS0_14default_configENS1_35radix_sort_onesweep_config_selectorIjN6thrust23THRUST_200600_302600_NS5tupleIffNS6_9null_typeES8_S8_S8_S8_S8_S8_S8_EEEEZZNS1_29radix_sort_onesweep_iterationIS3_Lb0ENS6_6detail15normal_iteratorINS6_10device_ptrIjEEEESG_NSD_INSE_IS9_EEEESI_jNS0_19identity_decomposerENS1_16block_id_wrapperIjLb0EEEEE10hipError_tT1_PNSt15iterator_traitsISN_E10value_typeET2_T3_PNSO_IST_E10value_typeET4_T5_PSY_SZ_PNS1_23onesweep_lookback_stateEbbT6_jjT7_P12ihipStream_tbENKUlT_T0_SN_SS_E_clIPjSG_PS9_SI_EEDaS16_S17_SN_SS_EUlS16_E_NS1_11comp_targetILNS1_3genE2ELNS1_11target_archE906ELNS1_3gpuE6ELNS1_3repE0EEENS1_47radix_sort_onesweep_sort_config_static_selectorELNS0_4arch9wavefront6targetE0EEEvSN_
    .private_segment_fixed_size: 0
    .sgpr_count:     0
    .sgpr_spill_count: 0
    .symbol:         _ZN7rocprim17ROCPRIM_400000_NS6detail17trampoline_kernelINS0_14default_configENS1_35radix_sort_onesweep_config_selectorIjN6thrust23THRUST_200600_302600_NS5tupleIffNS6_9null_typeES8_S8_S8_S8_S8_S8_S8_EEEEZZNS1_29radix_sort_onesweep_iterationIS3_Lb0ENS6_6detail15normal_iteratorINS6_10device_ptrIjEEEESG_NSD_INSE_IS9_EEEESI_jNS0_19identity_decomposerENS1_16block_id_wrapperIjLb0EEEEE10hipError_tT1_PNSt15iterator_traitsISN_E10value_typeET2_T3_PNSO_IST_E10value_typeET4_T5_PSY_SZ_PNS1_23onesweep_lookback_stateEbbT6_jjT7_P12ihipStream_tbENKUlT_T0_SN_SS_E_clIPjSG_PS9_SI_EEDaS16_S17_SN_SS_EUlS16_E_NS1_11comp_targetILNS1_3genE2ELNS1_11target_archE906ELNS1_3gpuE6ELNS1_3repE0EEENS1_47radix_sort_onesweep_sort_config_static_selectorELNS0_4arch9wavefront6targetE0EEEvSN_.kd
    .uniform_work_group_size: 1
    .uses_dynamic_stack: false
    .vgpr_count:     0
    .vgpr_spill_count: 0
    .wavefront_size: 32
  - .args:
      - .offset:         0
        .size:           88
        .value_kind:     by_value
    .group_segment_fixed_size: 0
    .kernarg_segment_align: 8
    .kernarg_segment_size: 88
    .language:       OpenCL C
    .language_version:
      - 2
      - 0
    .max_flat_workgroup_size: 512
    .name:           _ZN7rocprim17ROCPRIM_400000_NS6detail17trampoline_kernelINS0_14default_configENS1_35radix_sort_onesweep_config_selectorIjN6thrust23THRUST_200600_302600_NS5tupleIffNS6_9null_typeES8_S8_S8_S8_S8_S8_S8_EEEEZZNS1_29radix_sort_onesweep_iterationIS3_Lb0ENS6_6detail15normal_iteratorINS6_10device_ptrIjEEEESG_NSD_INSE_IS9_EEEESI_jNS0_19identity_decomposerENS1_16block_id_wrapperIjLb0EEEEE10hipError_tT1_PNSt15iterator_traitsISN_E10value_typeET2_T3_PNSO_IST_E10value_typeET4_T5_PSY_SZ_PNS1_23onesweep_lookback_stateEbbT6_jjT7_P12ihipStream_tbENKUlT_T0_SN_SS_E_clIPjSG_PS9_SI_EEDaS16_S17_SN_SS_EUlS16_E_NS1_11comp_targetILNS1_3genE4ELNS1_11target_archE910ELNS1_3gpuE8ELNS1_3repE0EEENS1_47radix_sort_onesweep_sort_config_static_selectorELNS0_4arch9wavefront6targetE0EEEvSN_
    .private_segment_fixed_size: 0
    .sgpr_count:     0
    .sgpr_spill_count: 0
    .symbol:         _ZN7rocprim17ROCPRIM_400000_NS6detail17trampoline_kernelINS0_14default_configENS1_35radix_sort_onesweep_config_selectorIjN6thrust23THRUST_200600_302600_NS5tupleIffNS6_9null_typeES8_S8_S8_S8_S8_S8_S8_EEEEZZNS1_29radix_sort_onesweep_iterationIS3_Lb0ENS6_6detail15normal_iteratorINS6_10device_ptrIjEEEESG_NSD_INSE_IS9_EEEESI_jNS0_19identity_decomposerENS1_16block_id_wrapperIjLb0EEEEE10hipError_tT1_PNSt15iterator_traitsISN_E10value_typeET2_T3_PNSO_IST_E10value_typeET4_T5_PSY_SZ_PNS1_23onesweep_lookback_stateEbbT6_jjT7_P12ihipStream_tbENKUlT_T0_SN_SS_E_clIPjSG_PS9_SI_EEDaS16_S17_SN_SS_EUlS16_E_NS1_11comp_targetILNS1_3genE4ELNS1_11target_archE910ELNS1_3gpuE8ELNS1_3repE0EEENS1_47radix_sort_onesweep_sort_config_static_selectorELNS0_4arch9wavefront6targetE0EEEvSN_.kd
    .uniform_work_group_size: 1
    .uses_dynamic_stack: false
    .vgpr_count:     0
    .vgpr_spill_count: 0
    .wavefront_size: 32
  - .args:
      - .offset:         0
        .size:           88
        .value_kind:     by_value
    .group_segment_fixed_size: 0
    .kernarg_segment_align: 8
    .kernarg_segment_size: 88
    .language:       OpenCL C
    .language_version:
      - 2
      - 0
    .max_flat_workgroup_size: 512
    .name:           _ZN7rocprim17ROCPRIM_400000_NS6detail17trampoline_kernelINS0_14default_configENS1_35radix_sort_onesweep_config_selectorIjN6thrust23THRUST_200600_302600_NS5tupleIffNS6_9null_typeES8_S8_S8_S8_S8_S8_S8_EEEEZZNS1_29radix_sort_onesweep_iterationIS3_Lb0ENS6_6detail15normal_iteratorINS6_10device_ptrIjEEEESG_NSD_INSE_IS9_EEEESI_jNS0_19identity_decomposerENS1_16block_id_wrapperIjLb0EEEEE10hipError_tT1_PNSt15iterator_traitsISN_E10value_typeET2_T3_PNSO_IST_E10value_typeET4_T5_PSY_SZ_PNS1_23onesweep_lookback_stateEbbT6_jjT7_P12ihipStream_tbENKUlT_T0_SN_SS_E_clIPjSG_PS9_SI_EEDaS16_S17_SN_SS_EUlS16_E_NS1_11comp_targetILNS1_3genE3ELNS1_11target_archE908ELNS1_3gpuE7ELNS1_3repE0EEENS1_47radix_sort_onesweep_sort_config_static_selectorELNS0_4arch9wavefront6targetE0EEEvSN_
    .private_segment_fixed_size: 0
    .sgpr_count:     0
    .sgpr_spill_count: 0
    .symbol:         _ZN7rocprim17ROCPRIM_400000_NS6detail17trampoline_kernelINS0_14default_configENS1_35radix_sort_onesweep_config_selectorIjN6thrust23THRUST_200600_302600_NS5tupleIffNS6_9null_typeES8_S8_S8_S8_S8_S8_S8_EEEEZZNS1_29radix_sort_onesweep_iterationIS3_Lb0ENS6_6detail15normal_iteratorINS6_10device_ptrIjEEEESG_NSD_INSE_IS9_EEEESI_jNS0_19identity_decomposerENS1_16block_id_wrapperIjLb0EEEEE10hipError_tT1_PNSt15iterator_traitsISN_E10value_typeET2_T3_PNSO_IST_E10value_typeET4_T5_PSY_SZ_PNS1_23onesweep_lookback_stateEbbT6_jjT7_P12ihipStream_tbENKUlT_T0_SN_SS_E_clIPjSG_PS9_SI_EEDaS16_S17_SN_SS_EUlS16_E_NS1_11comp_targetILNS1_3genE3ELNS1_11target_archE908ELNS1_3gpuE7ELNS1_3repE0EEENS1_47radix_sort_onesweep_sort_config_static_selectorELNS0_4arch9wavefront6targetE0EEEvSN_.kd
    .uniform_work_group_size: 1
    .uses_dynamic_stack: false
    .vgpr_count:     0
    .vgpr_spill_count: 0
    .wavefront_size: 32
  - .args:
      - .offset:         0
        .size:           88
        .value_kind:     by_value
    .group_segment_fixed_size: 0
    .kernarg_segment_align: 8
    .kernarg_segment_size: 88
    .language:       OpenCL C
    .language_version:
      - 2
      - 0
    .max_flat_workgroup_size: 1024
    .name:           _ZN7rocprim17ROCPRIM_400000_NS6detail17trampoline_kernelINS0_14default_configENS1_35radix_sort_onesweep_config_selectorIjN6thrust23THRUST_200600_302600_NS5tupleIffNS6_9null_typeES8_S8_S8_S8_S8_S8_S8_EEEEZZNS1_29radix_sort_onesweep_iterationIS3_Lb0ENS6_6detail15normal_iteratorINS6_10device_ptrIjEEEESG_NSD_INSE_IS9_EEEESI_jNS0_19identity_decomposerENS1_16block_id_wrapperIjLb0EEEEE10hipError_tT1_PNSt15iterator_traitsISN_E10value_typeET2_T3_PNSO_IST_E10value_typeET4_T5_PSY_SZ_PNS1_23onesweep_lookback_stateEbbT6_jjT7_P12ihipStream_tbENKUlT_T0_SN_SS_E_clIPjSG_PS9_SI_EEDaS16_S17_SN_SS_EUlS16_E_NS1_11comp_targetILNS1_3genE10ELNS1_11target_archE1201ELNS1_3gpuE5ELNS1_3repE0EEENS1_47radix_sort_onesweep_sort_config_static_selectorELNS0_4arch9wavefront6targetE0EEEvSN_
    .private_segment_fixed_size: 0
    .sgpr_count:     0
    .sgpr_spill_count: 0
    .symbol:         _ZN7rocprim17ROCPRIM_400000_NS6detail17trampoline_kernelINS0_14default_configENS1_35radix_sort_onesweep_config_selectorIjN6thrust23THRUST_200600_302600_NS5tupleIffNS6_9null_typeES8_S8_S8_S8_S8_S8_S8_EEEEZZNS1_29radix_sort_onesweep_iterationIS3_Lb0ENS6_6detail15normal_iteratorINS6_10device_ptrIjEEEESG_NSD_INSE_IS9_EEEESI_jNS0_19identity_decomposerENS1_16block_id_wrapperIjLb0EEEEE10hipError_tT1_PNSt15iterator_traitsISN_E10value_typeET2_T3_PNSO_IST_E10value_typeET4_T5_PSY_SZ_PNS1_23onesweep_lookback_stateEbbT6_jjT7_P12ihipStream_tbENKUlT_T0_SN_SS_E_clIPjSG_PS9_SI_EEDaS16_S17_SN_SS_EUlS16_E_NS1_11comp_targetILNS1_3genE10ELNS1_11target_archE1201ELNS1_3gpuE5ELNS1_3repE0EEENS1_47radix_sort_onesweep_sort_config_static_selectorELNS0_4arch9wavefront6targetE0EEEvSN_.kd
    .uniform_work_group_size: 1
    .uses_dynamic_stack: false
    .vgpr_count:     0
    .vgpr_spill_count: 0
    .wavefront_size: 32
  - .args:
      - .offset:         0
        .size:           88
        .value_kind:     by_value
    .group_segment_fixed_size: 0
    .kernarg_segment_align: 8
    .kernarg_segment_size: 88
    .language:       OpenCL C
    .language_version:
      - 2
      - 0
    .max_flat_workgroup_size: 1024
    .name:           _ZN7rocprim17ROCPRIM_400000_NS6detail17trampoline_kernelINS0_14default_configENS1_35radix_sort_onesweep_config_selectorIjN6thrust23THRUST_200600_302600_NS5tupleIffNS6_9null_typeES8_S8_S8_S8_S8_S8_S8_EEEEZZNS1_29radix_sort_onesweep_iterationIS3_Lb0ENS6_6detail15normal_iteratorINS6_10device_ptrIjEEEESG_NSD_INSE_IS9_EEEESI_jNS0_19identity_decomposerENS1_16block_id_wrapperIjLb0EEEEE10hipError_tT1_PNSt15iterator_traitsISN_E10value_typeET2_T3_PNSO_IST_E10value_typeET4_T5_PSY_SZ_PNS1_23onesweep_lookback_stateEbbT6_jjT7_P12ihipStream_tbENKUlT_T0_SN_SS_E_clIPjSG_PS9_SI_EEDaS16_S17_SN_SS_EUlS16_E_NS1_11comp_targetILNS1_3genE9ELNS1_11target_archE1100ELNS1_3gpuE3ELNS1_3repE0EEENS1_47radix_sort_onesweep_sort_config_static_selectorELNS0_4arch9wavefront6targetE0EEEvSN_
    .private_segment_fixed_size: 0
    .sgpr_count:     0
    .sgpr_spill_count: 0
    .symbol:         _ZN7rocprim17ROCPRIM_400000_NS6detail17trampoline_kernelINS0_14default_configENS1_35radix_sort_onesweep_config_selectorIjN6thrust23THRUST_200600_302600_NS5tupleIffNS6_9null_typeES8_S8_S8_S8_S8_S8_S8_EEEEZZNS1_29radix_sort_onesweep_iterationIS3_Lb0ENS6_6detail15normal_iteratorINS6_10device_ptrIjEEEESG_NSD_INSE_IS9_EEEESI_jNS0_19identity_decomposerENS1_16block_id_wrapperIjLb0EEEEE10hipError_tT1_PNSt15iterator_traitsISN_E10value_typeET2_T3_PNSO_IST_E10value_typeET4_T5_PSY_SZ_PNS1_23onesweep_lookback_stateEbbT6_jjT7_P12ihipStream_tbENKUlT_T0_SN_SS_E_clIPjSG_PS9_SI_EEDaS16_S17_SN_SS_EUlS16_E_NS1_11comp_targetILNS1_3genE9ELNS1_11target_archE1100ELNS1_3gpuE3ELNS1_3repE0EEENS1_47radix_sort_onesweep_sort_config_static_selectorELNS0_4arch9wavefront6targetE0EEEvSN_.kd
    .uniform_work_group_size: 1
    .uses_dynamic_stack: false
    .vgpr_count:     0
    .vgpr_spill_count: 0
    .wavefront_size: 32
  - .args:
      - .offset:         0
        .size:           88
        .value_kind:     by_value
    .group_segment_fixed_size: 0
    .kernarg_segment_align: 8
    .kernarg_segment_size: 88
    .language:       OpenCL C
    .language_version:
      - 2
      - 0
    .max_flat_workgroup_size: 1024
    .name:           _ZN7rocprim17ROCPRIM_400000_NS6detail17trampoline_kernelINS0_14default_configENS1_35radix_sort_onesweep_config_selectorIjN6thrust23THRUST_200600_302600_NS5tupleIffNS6_9null_typeES8_S8_S8_S8_S8_S8_S8_EEEEZZNS1_29radix_sort_onesweep_iterationIS3_Lb0ENS6_6detail15normal_iteratorINS6_10device_ptrIjEEEESG_NSD_INSE_IS9_EEEESI_jNS0_19identity_decomposerENS1_16block_id_wrapperIjLb0EEEEE10hipError_tT1_PNSt15iterator_traitsISN_E10value_typeET2_T3_PNSO_IST_E10value_typeET4_T5_PSY_SZ_PNS1_23onesweep_lookback_stateEbbT6_jjT7_P12ihipStream_tbENKUlT_T0_SN_SS_E_clIPjSG_PS9_SI_EEDaS16_S17_SN_SS_EUlS16_E_NS1_11comp_targetILNS1_3genE8ELNS1_11target_archE1030ELNS1_3gpuE2ELNS1_3repE0EEENS1_47radix_sort_onesweep_sort_config_static_selectorELNS0_4arch9wavefront6targetE0EEEvSN_
    .private_segment_fixed_size: 0
    .sgpr_count:     0
    .sgpr_spill_count: 0
    .symbol:         _ZN7rocprim17ROCPRIM_400000_NS6detail17trampoline_kernelINS0_14default_configENS1_35radix_sort_onesweep_config_selectorIjN6thrust23THRUST_200600_302600_NS5tupleIffNS6_9null_typeES8_S8_S8_S8_S8_S8_S8_EEEEZZNS1_29radix_sort_onesweep_iterationIS3_Lb0ENS6_6detail15normal_iteratorINS6_10device_ptrIjEEEESG_NSD_INSE_IS9_EEEESI_jNS0_19identity_decomposerENS1_16block_id_wrapperIjLb0EEEEE10hipError_tT1_PNSt15iterator_traitsISN_E10value_typeET2_T3_PNSO_IST_E10value_typeET4_T5_PSY_SZ_PNS1_23onesweep_lookback_stateEbbT6_jjT7_P12ihipStream_tbENKUlT_T0_SN_SS_E_clIPjSG_PS9_SI_EEDaS16_S17_SN_SS_EUlS16_E_NS1_11comp_targetILNS1_3genE8ELNS1_11target_archE1030ELNS1_3gpuE2ELNS1_3repE0EEENS1_47radix_sort_onesweep_sort_config_static_selectorELNS0_4arch9wavefront6targetE0EEEvSN_.kd
    .uniform_work_group_size: 1
    .uses_dynamic_stack: false
    .vgpr_count:     0
    .vgpr_spill_count: 0
    .wavefront_size: 32
  - .args:
      - .offset:         0
        .size:           24
        .value_kind:     by_value
      - .offset:         24
        .size:           8
        .value_kind:     by_value
      - .offset:         32
        .size:           8
        .value_kind:     by_value
    .group_segment_fixed_size: 0
    .kernarg_segment_align: 8
    .kernarg_segment_size: 40
    .language:       OpenCL C
    .language_version:
      - 2
      - 0
    .max_flat_workgroup_size: 256
    .name:           _ZN6thrust23THRUST_200600_302600_NS11hip_rocprim14__parallel_for6kernelILj256ENS1_11__transform17unary_transform_fINS0_10device_ptrINS0_5tupleIffNS0_9null_typeES8_S8_S8_S8_S8_S8_S8_EEEESA_NS4_14no_stencil_tagENS0_8identityIS9_EENS4_21always_true_predicateEEElLj1EEEvT0_T1_SH_
    .private_segment_fixed_size: 0
    .sgpr_count:     11
    .sgpr_spill_count: 0
    .symbol:         _ZN6thrust23THRUST_200600_302600_NS11hip_rocprim14__parallel_for6kernelILj256ENS1_11__transform17unary_transform_fINS0_10device_ptrINS0_5tupleIffNS0_9null_typeES8_S8_S8_S8_S8_S8_S8_EEEESA_NS4_14no_stencil_tagENS0_8identityIS9_EENS4_21always_true_predicateEEElLj1EEEvT0_T1_SH_.kd
    .uniform_work_group_size: 1
    .uses_dynamic_stack: false
    .vgpr_count:     6
    .vgpr_spill_count: 0
    .wavefront_size: 32
  - .args:
      - .offset:         0
        .size:           56
        .value_kind:     by_value
      - .offset:         56
        .size:           4
        .value_kind:     hidden_block_count_x
      - .offset:         60
        .size:           4
        .value_kind:     hidden_block_count_y
      - .offset:         64
        .size:           4
        .value_kind:     hidden_block_count_z
      - .offset:         68
        .size:           2
        .value_kind:     hidden_group_size_x
      - .offset:         70
        .size:           2
        .value_kind:     hidden_group_size_y
      - .offset:         72
        .size:           2
        .value_kind:     hidden_group_size_z
      - .offset:         74
        .size:           2
        .value_kind:     hidden_remainder_x
      - .offset:         76
        .size:           2
        .value_kind:     hidden_remainder_y
      - .offset:         78
        .size:           2
        .value_kind:     hidden_remainder_z
      - .offset:         96
        .size:           8
        .value_kind:     hidden_global_offset_x
      - .offset:         104
        .size:           8
        .value_kind:     hidden_global_offset_y
      - .offset:         112
        .size:           8
        .value_kind:     hidden_global_offset_z
      - .offset:         120
        .size:           2
        .value_kind:     hidden_grid_dims
    .group_segment_fixed_size: 0
    .kernarg_segment_align: 8
    .kernarg_segment_size: 312
    .language:       OpenCL C
    .language_version:
      - 2
      - 0
    .max_flat_workgroup_size: 64
    .name:           _ZN7rocprim17ROCPRIM_400000_NS6detail17trampoline_kernelINS0_14default_configENS1_27lower_bound_config_selectorIjjEEZNS1_14transform_implILb0ES3_S5_N6thrust23THRUST_200600_302600_NS17counting_iteratorIjNS8_11use_defaultESA_SA_EENS8_6detail15normal_iteratorINS8_10device_ptrIjEEEEZNS1_13binary_searchIS3_S5_SG_SB_SG_NS1_21lower_bound_search_opENSC_16wrapped_functionINS0_4lessIvEEbEEEE10hipError_tPvRmT1_T2_T3_mmT4_T5_P12ihipStream_tbEUlRKjE_EESN_SR_SS_mST_SW_bEUlT_E_NS1_11comp_targetILNS1_3genE0ELNS1_11target_archE4294967295ELNS1_3gpuE0ELNS1_3repE0EEENS1_30default_config_static_selectorELNS0_4arch9wavefront6targetE0EEEvSQ_
    .private_segment_fixed_size: 0
    .sgpr_count:     18
    .sgpr_spill_count: 0
    .symbol:         _ZN7rocprim17ROCPRIM_400000_NS6detail17trampoline_kernelINS0_14default_configENS1_27lower_bound_config_selectorIjjEEZNS1_14transform_implILb0ES3_S5_N6thrust23THRUST_200600_302600_NS17counting_iteratorIjNS8_11use_defaultESA_SA_EENS8_6detail15normal_iteratorINS8_10device_ptrIjEEEEZNS1_13binary_searchIS3_S5_SG_SB_SG_NS1_21lower_bound_search_opENSC_16wrapped_functionINS0_4lessIvEEbEEEE10hipError_tPvRmT1_T2_T3_mmT4_T5_P12ihipStream_tbEUlRKjE_EESN_SR_SS_mST_SW_bEUlT_E_NS1_11comp_targetILNS1_3genE0ELNS1_11target_archE4294967295ELNS1_3gpuE0ELNS1_3repE0EEENS1_30default_config_static_selectorELNS0_4arch9wavefront6targetE0EEEvSQ_.kd
    .uniform_work_group_size: 1
    .uses_dynamic_stack: false
    .vgpr_count:     18
    .vgpr_spill_count: 0
    .wavefront_size: 32
  - .args:
      - .offset:         0
        .size:           56
        .value_kind:     by_value
    .group_segment_fixed_size: 0
    .kernarg_segment_align: 8
    .kernarg_segment_size: 56
    .language:       OpenCL C
    .language_version:
      - 2
      - 0
    .max_flat_workgroup_size: 256
    .name:           _ZN7rocprim17ROCPRIM_400000_NS6detail17trampoline_kernelINS0_14default_configENS1_27lower_bound_config_selectorIjjEEZNS1_14transform_implILb0ES3_S5_N6thrust23THRUST_200600_302600_NS17counting_iteratorIjNS8_11use_defaultESA_SA_EENS8_6detail15normal_iteratorINS8_10device_ptrIjEEEEZNS1_13binary_searchIS3_S5_SG_SB_SG_NS1_21lower_bound_search_opENSC_16wrapped_functionINS0_4lessIvEEbEEEE10hipError_tPvRmT1_T2_T3_mmT4_T5_P12ihipStream_tbEUlRKjE_EESN_SR_SS_mST_SW_bEUlT_E_NS1_11comp_targetILNS1_3genE5ELNS1_11target_archE942ELNS1_3gpuE9ELNS1_3repE0EEENS1_30default_config_static_selectorELNS0_4arch9wavefront6targetE0EEEvSQ_
    .private_segment_fixed_size: 0
    .sgpr_count:     0
    .sgpr_spill_count: 0
    .symbol:         _ZN7rocprim17ROCPRIM_400000_NS6detail17trampoline_kernelINS0_14default_configENS1_27lower_bound_config_selectorIjjEEZNS1_14transform_implILb0ES3_S5_N6thrust23THRUST_200600_302600_NS17counting_iteratorIjNS8_11use_defaultESA_SA_EENS8_6detail15normal_iteratorINS8_10device_ptrIjEEEEZNS1_13binary_searchIS3_S5_SG_SB_SG_NS1_21lower_bound_search_opENSC_16wrapped_functionINS0_4lessIvEEbEEEE10hipError_tPvRmT1_T2_T3_mmT4_T5_P12ihipStream_tbEUlRKjE_EESN_SR_SS_mST_SW_bEUlT_E_NS1_11comp_targetILNS1_3genE5ELNS1_11target_archE942ELNS1_3gpuE9ELNS1_3repE0EEENS1_30default_config_static_selectorELNS0_4arch9wavefront6targetE0EEEvSQ_.kd
    .uniform_work_group_size: 1
    .uses_dynamic_stack: false
    .vgpr_count:     0
    .vgpr_spill_count: 0
    .wavefront_size: 32
  - .args:
      - .offset:         0
        .size:           56
        .value_kind:     by_value
    .group_segment_fixed_size: 0
    .kernarg_segment_align: 8
    .kernarg_segment_size: 56
    .language:       OpenCL C
    .language_version:
      - 2
      - 0
    .max_flat_workgroup_size: 256
    .name:           _ZN7rocprim17ROCPRIM_400000_NS6detail17trampoline_kernelINS0_14default_configENS1_27lower_bound_config_selectorIjjEEZNS1_14transform_implILb0ES3_S5_N6thrust23THRUST_200600_302600_NS17counting_iteratorIjNS8_11use_defaultESA_SA_EENS8_6detail15normal_iteratorINS8_10device_ptrIjEEEEZNS1_13binary_searchIS3_S5_SG_SB_SG_NS1_21lower_bound_search_opENSC_16wrapped_functionINS0_4lessIvEEbEEEE10hipError_tPvRmT1_T2_T3_mmT4_T5_P12ihipStream_tbEUlRKjE_EESN_SR_SS_mST_SW_bEUlT_E_NS1_11comp_targetILNS1_3genE4ELNS1_11target_archE910ELNS1_3gpuE8ELNS1_3repE0EEENS1_30default_config_static_selectorELNS0_4arch9wavefront6targetE0EEEvSQ_
    .private_segment_fixed_size: 0
    .sgpr_count:     0
    .sgpr_spill_count: 0
    .symbol:         _ZN7rocprim17ROCPRIM_400000_NS6detail17trampoline_kernelINS0_14default_configENS1_27lower_bound_config_selectorIjjEEZNS1_14transform_implILb0ES3_S5_N6thrust23THRUST_200600_302600_NS17counting_iteratorIjNS8_11use_defaultESA_SA_EENS8_6detail15normal_iteratorINS8_10device_ptrIjEEEEZNS1_13binary_searchIS3_S5_SG_SB_SG_NS1_21lower_bound_search_opENSC_16wrapped_functionINS0_4lessIvEEbEEEE10hipError_tPvRmT1_T2_T3_mmT4_T5_P12ihipStream_tbEUlRKjE_EESN_SR_SS_mST_SW_bEUlT_E_NS1_11comp_targetILNS1_3genE4ELNS1_11target_archE910ELNS1_3gpuE8ELNS1_3repE0EEENS1_30default_config_static_selectorELNS0_4arch9wavefront6targetE0EEEvSQ_.kd
    .uniform_work_group_size: 1
    .uses_dynamic_stack: false
    .vgpr_count:     0
    .vgpr_spill_count: 0
    .wavefront_size: 32
  - .args:
      - .offset:         0
        .size:           56
        .value_kind:     by_value
    .group_segment_fixed_size: 0
    .kernarg_segment_align: 8
    .kernarg_segment_size: 56
    .language:       OpenCL C
    .language_version:
      - 2
      - 0
    .max_flat_workgroup_size: 64
    .name:           _ZN7rocprim17ROCPRIM_400000_NS6detail17trampoline_kernelINS0_14default_configENS1_27lower_bound_config_selectorIjjEEZNS1_14transform_implILb0ES3_S5_N6thrust23THRUST_200600_302600_NS17counting_iteratorIjNS8_11use_defaultESA_SA_EENS8_6detail15normal_iteratorINS8_10device_ptrIjEEEEZNS1_13binary_searchIS3_S5_SG_SB_SG_NS1_21lower_bound_search_opENSC_16wrapped_functionINS0_4lessIvEEbEEEE10hipError_tPvRmT1_T2_T3_mmT4_T5_P12ihipStream_tbEUlRKjE_EESN_SR_SS_mST_SW_bEUlT_E_NS1_11comp_targetILNS1_3genE3ELNS1_11target_archE908ELNS1_3gpuE7ELNS1_3repE0EEENS1_30default_config_static_selectorELNS0_4arch9wavefront6targetE0EEEvSQ_
    .private_segment_fixed_size: 0
    .sgpr_count:     0
    .sgpr_spill_count: 0
    .symbol:         _ZN7rocprim17ROCPRIM_400000_NS6detail17trampoline_kernelINS0_14default_configENS1_27lower_bound_config_selectorIjjEEZNS1_14transform_implILb0ES3_S5_N6thrust23THRUST_200600_302600_NS17counting_iteratorIjNS8_11use_defaultESA_SA_EENS8_6detail15normal_iteratorINS8_10device_ptrIjEEEEZNS1_13binary_searchIS3_S5_SG_SB_SG_NS1_21lower_bound_search_opENSC_16wrapped_functionINS0_4lessIvEEbEEEE10hipError_tPvRmT1_T2_T3_mmT4_T5_P12ihipStream_tbEUlRKjE_EESN_SR_SS_mST_SW_bEUlT_E_NS1_11comp_targetILNS1_3genE3ELNS1_11target_archE908ELNS1_3gpuE7ELNS1_3repE0EEENS1_30default_config_static_selectorELNS0_4arch9wavefront6targetE0EEEvSQ_.kd
    .uniform_work_group_size: 1
    .uses_dynamic_stack: false
    .vgpr_count:     0
    .vgpr_spill_count: 0
    .wavefront_size: 32
  - .args:
      - .offset:         0
        .size:           56
        .value_kind:     by_value
    .group_segment_fixed_size: 0
    .kernarg_segment_align: 8
    .kernarg_segment_size: 56
    .language:       OpenCL C
    .language_version:
      - 2
      - 0
    .max_flat_workgroup_size: 256
    .name:           _ZN7rocprim17ROCPRIM_400000_NS6detail17trampoline_kernelINS0_14default_configENS1_27lower_bound_config_selectorIjjEEZNS1_14transform_implILb0ES3_S5_N6thrust23THRUST_200600_302600_NS17counting_iteratorIjNS8_11use_defaultESA_SA_EENS8_6detail15normal_iteratorINS8_10device_ptrIjEEEEZNS1_13binary_searchIS3_S5_SG_SB_SG_NS1_21lower_bound_search_opENSC_16wrapped_functionINS0_4lessIvEEbEEEE10hipError_tPvRmT1_T2_T3_mmT4_T5_P12ihipStream_tbEUlRKjE_EESN_SR_SS_mST_SW_bEUlT_E_NS1_11comp_targetILNS1_3genE2ELNS1_11target_archE906ELNS1_3gpuE6ELNS1_3repE0EEENS1_30default_config_static_selectorELNS0_4arch9wavefront6targetE0EEEvSQ_
    .private_segment_fixed_size: 0
    .sgpr_count:     0
    .sgpr_spill_count: 0
    .symbol:         _ZN7rocprim17ROCPRIM_400000_NS6detail17trampoline_kernelINS0_14default_configENS1_27lower_bound_config_selectorIjjEEZNS1_14transform_implILb0ES3_S5_N6thrust23THRUST_200600_302600_NS17counting_iteratorIjNS8_11use_defaultESA_SA_EENS8_6detail15normal_iteratorINS8_10device_ptrIjEEEEZNS1_13binary_searchIS3_S5_SG_SB_SG_NS1_21lower_bound_search_opENSC_16wrapped_functionINS0_4lessIvEEbEEEE10hipError_tPvRmT1_T2_T3_mmT4_T5_P12ihipStream_tbEUlRKjE_EESN_SR_SS_mST_SW_bEUlT_E_NS1_11comp_targetILNS1_3genE2ELNS1_11target_archE906ELNS1_3gpuE6ELNS1_3repE0EEENS1_30default_config_static_selectorELNS0_4arch9wavefront6targetE0EEEvSQ_.kd
    .uniform_work_group_size: 1
    .uses_dynamic_stack: false
    .vgpr_count:     0
    .vgpr_spill_count: 0
    .wavefront_size: 32
  - .args:
      - .offset:         0
        .size:           56
        .value_kind:     by_value
    .group_segment_fixed_size: 0
    .kernarg_segment_align: 8
    .kernarg_segment_size: 56
    .language:       OpenCL C
    .language_version:
      - 2
      - 0
    .max_flat_workgroup_size: 128
    .name:           _ZN7rocprim17ROCPRIM_400000_NS6detail17trampoline_kernelINS0_14default_configENS1_27lower_bound_config_selectorIjjEEZNS1_14transform_implILb0ES3_S5_N6thrust23THRUST_200600_302600_NS17counting_iteratorIjNS8_11use_defaultESA_SA_EENS8_6detail15normal_iteratorINS8_10device_ptrIjEEEEZNS1_13binary_searchIS3_S5_SG_SB_SG_NS1_21lower_bound_search_opENSC_16wrapped_functionINS0_4lessIvEEbEEEE10hipError_tPvRmT1_T2_T3_mmT4_T5_P12ihipStream_tbEUlRKjE_EESN_SR_SS_mST_SW_bEUlT_E_NS1_11comp_targetILNS1_3genE10ELNS1_11target_archE1201ELNS1_3gpuE5ELNS1_3repE0EEENS1_30default_config_static_selectorELNS0_4arch9wavefront6targetE0EEEvSQ_
    .private_segment_fixed_size: 0
    .sgpr_count:     0
    .sgpr_spill_count: 0
    .symbol:         _ZN7rocprim17ROCPRIM_400000_NS6detail17trampoline_kernelINS0_14default_configENS1_27lower_bound_config_selectorIjjEEZNS1_14transform_implILb0ES3_S5_N6thrust23THRUST_200600_302600_NS17counting_iteratorIjNS8_11use_defaultESA_SA_EENS8_6detail15normal_iteratorINS8_10device_ptrIjEEEEZNS1_13binary_searchIS3_S5_SG_SB_SG_NS1_21lower_bound_search_opENSC_16wrapped_functionINS0_4lessIvEEbEEEE10hipError_tPvRmT1_T2_T3_mmT4_T5_P12ihipStream_tbEUlRKjE_EESN_SR_SS_mST_SW_bEUlT_E_NS1_11comp_targetILNS1_3genE10ELNS1_11target_archE1201ELNS1_3gpuE5ELNS1_3repE0EEENS1_30default_config_static_selectorELNS0_4arch9wavefront6targetE0EEEvSQ_.kd
    .uniform_work_group_size: 1
    .uses_dynamic_stack: false
    .vgpr_count:     0
    .vgpr_spill_count: 0
    .wavefront_size: 32
  - .args:
      - .offset:         0
        .size:           56
        .value_kind:     by_value
    .group_segment_fixed_size: 0
    .kernarg_segment_align: 8
    .kernarg_segment_size: 56
    .language:       OpenCL C
    .language_version:
      - 2
      - 0
    .max_flat_workgroup_size: 128
    .name:           _ZN7rocprim17ROCPRIM_400000_NS6detail17trampoline_kernelINS0_14default_configENS1_27lower_bound_config_selectorIjjEEZNS1_14transform_implILb0ES3_S5_N6thrust23THRUST_200600_302600_NS17counting_iteratorIjNS8_11use_defaultESA_SA_EENS8_6detail15normal_iteratorINS8_10device_ptrIjEEEEZNS1_13binary_searchIS3_S5_SG_SB_SG_NS1_21lower_bound_search_opENSC_16wrapped_functionINS0_4lessIvEEbEEEE10hipError_tPvRmT1_T2_T3_mmT4_T5_P12ihipStream_tbEUlRKjE_EESN_SR_SS_mST_SW_bEUlT_E_NS1_11comp_targetILNS1_3genE10ELNS1_11target_archE1200ELNS1_3gpuE4ELNS1_3repE0EEENS1_30default_config_static_selectorELNS0_4arch9wavefront6targetE0EEEvSQ_
    .private_segment_fixed_size: 0
    .sgpr_count:     0
    .sgpr_spill_count: 0
    .symbol:         _ZN7rocprim17ROCPRIM_400000_NS6detail17trampoline_kernelINS0_14default_configENS1_27lower_bound_config_selectorIjjEEZNS1_14transform_implILb0ES3_S5_N6thrust23THRUST_200600_302600_NS17counting_iteratorIjNS8_11use_defaultESA_SA_EENS8_6detail15normal_iteratorINS8_10device_ptrIjEEEEZNS1_13binary_searchIS3_S5_SG_SB_SG_NS1_21lower_bound_search_opENSC_16wrapped_functionINS0_4lessIvEEbEEEE10hipError_tPvRmT1_T2_T3_mmT4_T5_P12ihipStream_tbEUlRKjE_EESN_SR_SS_mST_SW_bEUlT_E_NS1_11comp_targetILNS1_3genE10ELNS1_11target_archE1200ELNS1_3gpuE4ELNS1_3repE0EEENS1_30default_config_static_selectorELNS0_4arch9wavefront6targetE0EEEvSQ_.kd
    .uniform_work_group_size: 1
    .uses_dynamic_stack: false
    .vgpr_count:     0
    .vgpr_spill_count: 0
    .wavefront_size: 32
  - .args:
      - .offset:         0
        .size:           56
        .value_kind:     by_value
    .group_segment_fixed_size: 0
    .kernarg_segment_align: 8
    .kernarg_segment_size: 56
    .language:       OpenCL C
    .language_version:
      - 2
      - 0
    .max_flat_workgroup_size: 128
    .name:           _ZN7rocprim17ROCPRIM_400000_NS6detail17trampoline_kernelINS0_14default_configENS1_27lower_bound_config_selectorIjjEEZNS1_14transform_implILb0ES3_S5_N6thrust23THRUST_200600_302600_NS17counting_iteratorIjNS8_11use_defaultESA_SA_EENS8_6detail15normal_iteratorINS8_10device_ptrIjEEEEZNS1_13binary_searchIS3_S5_SG_SB_SG_NS1_21lower_bound_search_opENSC_16wrapped_functionINS0_4lessIvEEbEEEE10hipError_tPvRmT1_T2_T3_mmT4_T5_P12ihipStream_tbEUlRKjE_EESN_SR_SS_mST_SW_bEUlT_E_NS1_11comp_targetILNS1_3genE9ELNS1_11target_archE1100ELNS1_3gpuE3ELNS1_3repE0EEENS1_30default_config_static_selectorELNS0_4arch9wavefront6targetE0EEEvSQ_
    .private_segment_fixed_size: 0
    .sgpr_count:     0
    .sgpr_spill_count: 0
    .symbol:         _ZN7rocprim17ROCPRIM_400000_NS6detail17trampoline_kernelINS0_14default_configENS1_27lower_bound_config_selectorIjjEEZNS1_14transform_implILb0ES3_S5_N6thrust23THRUST_200600_302600_NS17counting_iteratorIjNS8_11use_defaultESA_SA_EENS8_6detail15normal_iteratorINS8_10device_ptrIjEEEEZNS1_13binary_searchIS3_S5_SG_SB_SG_NS1_21lower_bound_search_opENSC_16wrapped_functionINS0_4lessIvEEbEEEE10hipError_tPvRmT1_T2_T3_mmT4_T5_P12ihipStream_tbEUlRKjE_EESN_SR_SS_mST_SW_bEUlT_E_NS1_11comp_targetILNS1_3genE9ELNS1_11target_archE1100ELNS1_3gpuE3ELNS1_3repE0EEENS1_30default_config_static_selectorELNS0_4arch9wavefront6targetE0EEEvSQ_.kd
    .uniform_work_group_size: 1
    .uses_dynamic_stack: false
    .vgpr_count:     0
    .vgpr_spill_count: 0
    .wavefront_size: 32
  - .args:
      - .offset:         0
        .size:           56
        .value_kind:     by_value
    .group_segment_fixed_size: 0
    .kernarg_segment_align: 8
    .kernarg_segment_size: 56
    .language:       OpenCL C
    .language_version:
      - 2
      - 0
    .max_flat_workgroup_size: 256
    .name:           _ZN7rocprim17ROCPRIM_400000_NS6detail17trampoline_kernelINS0_14default_configENS1_27lower_bound_config_selectorIjjEEZNS1_14transform_implILb0ES3_S5_N6thrust23THRUST_200600_302600_NS17counting_iteratorIjNS8_11use_defaultESA_SA_EENS8_6detail15normal_iteratorINS8_10device_ptrIjEEEEZNS1_13binary_searchIS3_S5_SG_SB_SG_NS1_21lower_bound_search_opENSC_16wrapped_functionINS0_4lessIvEEbEEEE10hipError_tPvRmT1_T2_T3_mmT4_T5_P12ihipStream_tbEUlRKjE_EESN_SR_SS_mST_SW_bEUlT_E_NS1_11comp_targetILNS1_3genE8ELNS1_11target_archE1030ELNS1_3gpuE2ELNS1_3repE0EEENS1_30default_config_static_selectorELNS0_4arch9wavefront6targetE0EEEvSQ_
    .private_segment_fixed_size: 0
    .sgpr_count:     0
    .sgpr_spill_count: 0
    .symbol:         _ZN7rocprim17ROCPRIM_400000_NS6detail17trampoline_kernelINS0_14default_configENS1_27lower_bound_config_selectorIjjEEZNS1_14transform_implILb0ES3_S5_N6thrust23THRUST_200600_302600_NS17counting_iteratorIjNS8_11use_defaultESA_SA_EENS8_6detail15normal_iteratorINS8_10device_ptrIjEEEEZNS1_13binary_searchIS3_S5_SG_SB_SG_NS1_21lower_bound_search_opENSC_16wrapped_functionINS0_4lessIvEEbEEEE10hipError_tPvRmT1_T2_T3_mmT4_T5_P12ihipStream_tbEUlRKjE_EESN_SR_SS_mST_SW_bEUlT_E_NS1_11comp_targetILNS1_3genE8ELNS1_11target_archE1030ELNS1_3gpuE2ELNS1_3repE0EEENS1_30default_config_static_selectorELNS0_4arch9wavefront6targetE0EEEvSQ_.kd
    .uniform_work_group_size: 1
    .uses_dynamic_stack: false
    .vgpr_count:     0
    .vgpr_spill_count: 0
    .wavefront_size: 32
  - .args:
      - .offset:         0
        .size:           56
        .value_kind:     by_value
      - .offset:         56
        .size:           4
        .value_kind:     hidden_block_count_x
      - .offset:         60
        .size:           4
        .value_kind:     hidden_block_count_y
      - .offset:         64
        .size:           4
        .value_kind:     hidden_block_count_z
      - .offset:         68
        .size:           2
        .value_kind:     hidden_group_size_x
      - .offset:         70
        .size:           2
        .value_kind:     hidden_group_size_y
      - .offset:         72
        .size:           2
        .value_kind:     hidden_group_size_z
      - .offset:         74
        .size:           2
        .value_kind:     hidden_remainder_x
      - .offset:         76
        .size:           2
        .value_kind:     hidden_remainder_y
      - .offset:         78
        .size:           2
        .value_kind:     hidden_remainder_z
      - .offset:         96
        .size:           8
        .value_kind:     hidden_global_offset_x
      - .offset:         104
        .size:           8
        .value_kind:     hidden_global_offset_y
      - .offset:         112
        .size:           8
        .value_kind:     hidden_global_offset_z
      - .offset:         120
        .size:           2
        .value_kind:     hidden_grid_dims
    .group_segment_fixed_size: 0
    .kernarg_segment_align: 8
    .kernarg_segment_size: 312
    .language:       OpenCL C
    .language_version:
      - 2
      - 0
    .max_flat_workgroup_size: 256
    .name:           _ZN7rocprim17ROCPRIM_400000_NS6detail17trampoline_kernelINS0_14default_configENS1_27upper_bound_config_selectorIjjEEZNS1_14transform_implILb0ES3_S5_N6thrust23THRUST_200600_302600_NS17counting_iteratorIjNS8_11use_defaultESA_SA_EENS8_6detail15normal_iteratorINS8_10device_ptrIjEEEEZNS1_13binary_searchIS3_S5_SG_SB_SG_NS1_21upper_bound_search_opENSC_16wrapped_functionINS0_4lessIvEEbEEEE10hipError_tPvRmT1_T2_T3_mmT4_T5_P12ihipStream_tbEUlRKjE_EESN_SR_SS_mST_SW_bEUlT_E_NS1_11comp_targetILNS1_3genE0ELNS1_11target_archE4294967295ELNS1_3gpuE0ELNS1_3repE0EEENS1_30default_config_static_selectorELNS0_4arch9wavefront6targetE0EEEvSQ_
    .private_segment_fixed_size: 0
    .sgpr_count:     18
    .sgpr_spill_count: 0
    .symbol:         _ZN7rocprim17ROCPRIM_400000_NS6detail17trampoline_kernelINS0_14default_configENS1_27upper_bound_config_selectorIjjEEZNS1_14transform_implILb0ES3_S5_N6thrust23THRUST_200600_302600_NS17counting_iteratorIjNS8_11use_defaultESA_SA_EENS8_6detail15normal_iteratorINS8_10device_ptrIjEEEEZNS1_13binary_searchIS3_S5_SG_SB_SG_NS1_21upper_bound_search_opENSC_16wrapped_functionINS0_4lessIvEEbEEEE10hipError_tPvRmT1_T2_T3_mmT4_T5_P12ihipStream_tbEUlRKjE_EESN_SR_SS_mST_SW_bEUlT_E_NS1_11comp_targetILNS1_3genE0ELNS1_11target_archE4294967295ELNS1_3gpuE0ELNS1_3repE0EEENS1_30default_config_static_selectorELNS0_4arch9wavefront6targetE0EEEvSQ_.kd
    .uniform_work_group_size: 1
    .uses_dynamic_stack: false
    .vgpr_count:     11
    .vgpr_spill_count: 0
    .wavefront_size: 32
  - .args:
      - .offset:         0
        .size:           56
        .value_kind:     by_value
    .group_segment_fixed_size: 0
    .kernarg_segment_align: 8
    .kernarg_segment_size: 56
    .language:       OpenCL C
    .language_version:
      - 2
      - 0
    .max_flat_workgroup_size: 256
    .name:           _ZN7rocprim17ROCPRIM_400000_NS6detail17trampoline_kernelINS0_14default_configENS1_27upper_bound_config_selectorIjjEEZNS1_14transform_implILb0ES3_S5_N6thrust23THRUST_200600_302600_NS17counting_iteratorIjNS8_11use_defaultESA_SA_EENS8_6detail15normal_iteratorINS8_10device_ptrIjEEEEZNS1_13binary_searchIS3_S5_SG_SB_SG_NS1_21upper_bound_search_opENSC_16wrapped_functionINS0_4lessIvEEbEEEE10hipError_tPvRmT1_T2_T3_mmT4_T5_P12ihipStream_tbEUlRKjE_EESN_SR_SS_mST_SW_bEUlT_E_NS1_11comp_targetILNS1_3genE5ELNS1_11target_archE942ELNS1_3gpuE9ELNS1_3repE0EEENS1_30default_config_static_selectorELNS0_4arch9wavefront6targetE0EEEvSQ_
    .private_segment_fixed_size: 0
    .sgpr_count:     0
    .sgpr_spill_count: 0
    .symbol:         _ZN7rocprim17ROCPRIM_400000_NS6detail17trampoline_kernelINS0_14default_configENS1_27upper_bound_config_selectorIjjEEZNS1_14transform_implILb0ES3_S5_N6thrust23THRUST_200600_302600_NS17counting_iteratorIjNS8_11use_defaultESA_SA_EENS8_6detail15normal_iteratorINS8_10device_ptrIjEEEEZNS1_13binary_searchIS3_S5_SG_SB_SG_NS1_21upper_bound_search_opENSC_16wrapped_functionINS0_4lessIvEEbEEEE10hipError_tPvRmT1_T2_T3_mmT4_T5_P12ihipStream_tbEUlRKjE_EESN_SR_SS_mST_SW_bEUlT_E_NS1_11comp_targetILNS1_3genE5ELNS1_11target_archE942ELNS1_3gpuE9ELNS1_3repE0EEENS1_30default_config_static_selectorELNS0_4arch9wavefront6targetE0EEEvSQ_.kd
    .uniform_work_group_size: 1
    .uses_dynamic_stack: false
    .vgpr_count:     0
    .vgpr_spill_count: 0
    .wavefront_size: 32
  - .args:
      - .offset:         0
        .size:           56
        .value_kind:     by_value
    .group_segment_fixed_size: 0
    .kernarg_segment_align: 8
    .kernarg_segment_size: 56
    .language:       OpenCL C
    .language_version:
      - 2
      - 0
    .max_flat_workgroup_size: 256
    .name:           _ZN7rocprim17ROCPRIM_400000_NS6detail17trampoline_kernelINS0_14default_configENS1_27upper_bound_config_selectorIjjEEZNS1_14transform_implILb0ES3_S5_N6thrust23THRUST_200600_302600_NS17counting_iteratorIjNS8_11use_defaultESA_SA_EENS8_6detail15normal_iteratorINS8_10device_ptrIjEEEEZNS1_13binary_searchIS3_S5_SG_SB_SG_NS1_21upper_bound_search_opENSC_16wrapped_functionINS0_4lessIvEEbEEEE10hipError_tPvRmT1_T2_T3_mmT4_T5_P12ihipStream_tbEUlRKjE_EESN_SR_SS_mST_SW_bEUlT_E_NS1_11comp_targetILNS1_3genE4ELNS1_11target_archE910ELNS1_3gpuE8ELNS1_3repE0EEENS1_30default_config_static_selectorELNS0_4arch9wavefront6targetE0EEEvSQ_
    .private_segment_fixed_size: 0
    .sgpr_count:     0
    .sgpr_spill_count: 0
    .symbol:         _ZN7rocprim17ROCPRIM_400000_NS6detail17trampoline_kernelINS0_14default_configENS1_27upper_bound_config_selectorIjjEEZNS1_14transform_implILb0ES3_S5_N6thrust23THRUST_200600_302600_NS17counting_iteratorIjNS8_11use_defaultESA_SA_EENS8_6detail15normal_iteratorINS8_10device_ptrIjEEEEZNS1_13binary_searchIS3_S5_SG_SB_SG_NS1_21upper_bound_search_opENSC_16wrapped_functionINS0_4lessIvEEbEEEE10hipError_tPvRmT1_T2_T3_mmT4_T5_P12ihipStream_tbEUlRKjE_EESN_SR_SS_mST_SW_bEUlT_E_NS1_11comp_targetILNS1_3genE4ELNS1_11target_archE910ELNS1_3gpuE8ELNS1_3repE0EEENS1_30default_config_static_selectorELNS0_4arch9wavefront6targetE0EEEvSQ_.kd
    .uniform_work_group_size: 1
    .uses_dynamic_stack: false
    .vgpr_count:     0
    .vgpr_spill_count: 0
    .wavefront_size: 32
  - .args:
      - .offset:         0
        .size:           56
        .value_kind:     by_value
    .group_segment_fixed_size: 0
    .kernarg_segment_align: 8
    .kernarg_segment_size: 56
    .language:       OpenCL C
    .language_version:
      - 2
      - 0
    .max_flat_workgroup_size: 256
    .name:           _ZN7rocprim17ROCPRIM_400000_NS6detail17trampoline_kernelINS0_14default_configENS1_27upper_bound_config_selectorIjjEEZNS1_14transform_implILb0ES3_S5_N6thrust23THRUST_200600_302600_NS17counting_iteratorIjNS8_11use_defaultESA_SA_EENS8_6detail15normal_iteratorINS8_10device_ptrIjEEEEZNS1_13binary_searchIS3_S5_SG_SB_SG_NS1_21upper_bound_search_opENSC_16wrapped_functionINS0_4lessIvEEbEEEE10hipError_tPvRmT1_T2_T3_mmT4_T5_P12ihipStream_tbEUlRKjE_EESN_SR_SS_mST_SW_bEUlT_E_NS1_11comp_targetILNS1_3genE3ELNS1_11target_archE908ELNS1_3gpuE7ELNS1_3repE0EEENS1_30default_config_static_selectorELNS0_4arch9wavefront6targetE0EEEvSQ_
    .private_segment_fixed_size: 0
    .sgpr_count:     0
    .sgpr_spill_count: 0
    .symbol:         _ZN7rocprim17ROCPRIM_400000_NS6detail17trampoline_kernelINS0_14default_configENS1_27upper_bound_config_selectorIjjEEZNS1_14transform_implILb0ES3_S5_N6thrust23THRUST_200600_302600_NS17counting_iteratorIjNS8_11use_defaultESA_SA_EENS8_6detail15normal_iteratorINS8_10device_ptrIjEEEEZNS1_13binary_searchIS3_S5_SG_SB_SG_NS1_21upper_bound_search_opENSC_16wrapped_functionINS0_4lessIvEEbEEEE10hipError_tPvRmT1_T2_T3_mmT4_T5_P12ihipStream_tbEUlRKjE_EESN_SR_SS_mST_SW_bEUlT_E_NS1_11comp_targetILNS1_3genE3ELNS1_11target_archE908ELNS1_3gpuE7ELNS1_3repE0EEENS1_30default_config_static_selectorELNS0_4arch9wavefront6targetE0EEEvSQ_.kd
    .uniform_work_group_size: 1
    .uses_dynamic_stack: false
    .vgpr_count:     0
    .vgpr_spill_count: 0
    .wavefront_size: 32
  - .args:
      - .offset:         0
        .size:           56
        .value_kind:     by_value
    .group_segment_fixed_size: 0
    .kernarg_segment_align: 8
    .kernarg_segment_size: 56
    .language:       OpenCL C
    .language_version:
      - 2
      - 0
    .max_flat_workgroup_size: 256
    .name:           _ZN7rocprim17ROCPRIM_400000_NS6detail17trampoline_kernelINS0_14default_configENS1_27upper_bound_config_selectorIjjEEZNS1_14transform_implILb0ES3_S5_N6thrust23THRUST_200600_302600_NS17counting_iteratorIjNS8_11use_defaultESA_SA_EENS8_6detail15normal_iteratorINS8_10device_ptrIjEEEEZNS1_13binary_searchIS3_S5_SG_SB_SG_NS1_21upper_bound_search_opENSC_16wrapped_functionINS0_4lessIvEEbEEEE10hipError_tPvRmT1_T2_T3_mmT4_T5_P12ihipStream_tbEUlRKjE_EESN_SR_SS_mST_SW_bEUlT_E_NS1_11comp_targetILNS1_3genE2ELNS1_11target_archE906ELNS1_3gpuE6ELNS1_3repE0EEENS1_30default_config_static_selectorELNS0_4arch9wavefront6targetE0EEEvSQ_
    .private_segment_fixed_size: 0
    .sgpr_count:     0
    .sgpr_spill_count: 0
    .symbol:         _ZN7rocprim17ROCPRIM_400000_NS6detail17trampoline_kernelINS0_14default_configENS1_27upper_bound_config_selectorIjjEEZNS1_14transform_implILb0ES3_S5_N6thrust23THRUST_200600_302600_NS17counting_iteratorIjNS8_11use_defaultESA_SA_EENS8_6detail15normal_iteratorINS8_10device_ptrIjEEEEZNS1_13binary_searchIS3_S5_SG_SB_SG_NS1_21upper_bound_search_opENSC_16wrapped_functionINS0_4lessIvEEbEEEE10hipError_tPvRmT1_T2_T3_mmT4_T5_P12ihipStream_tbEUlRKjE_EESN_SR_SS_mST_SW_bEUlT_E_NS1_11comp_targetILNS1_3genE2ELNS1_11target_archE906ELNS1_3gpuE6ELNS1_3repE0EEENS1_30default_config_static_selectorELNS0_4arch9wavefront6targetE0EEEvSQ_.kd
    .uniform_work_group_size: 1
    .uses_dynamic_stack: false
    .vgpr_count:     0
    .vgpr_spill_count: 0
    .wavefront_size: 32
  - .args:
      - .offset:         0
        .size:           56
        .value_kind:     by_value
    .group_segment_fixed_size: 0
    .kernarg_segment_align: 8
    .kernarg_segment_size: 56
    .language:       OpenCL C
    .language_version:
      - 2
      - 0
    .max_flat_workgroup_size: 128
    .name:           _ZN7rocprim17ROCPRIM_400000_NS6detail17trampoline_kernelINS0_14default_configENS1_27upper_bound_config_selectorIjjEEZNS1_14transform_implILb0ES3_S5_N6thrust23THRUST_200600_302600_NS17counting_iteratorIjNS8_11use_defaultESA_SA_EENS8_6detail15normal_iteratorINS8_10device_ptrIjEEEEZNS1_13binary_searchIS3_S5_SG_SB_SG_NS1_21upper_bound_search_opENSC_16wrapped_functionINS0_4lessIvEEbEEEE10hipError_tPvRmT1_T2_T3_mmT4_T5_P12ihipStream_tbEUlRKjE_EESN_SR_SS_mST_SW_bEUlT_E_NS1_11comp_targetILNS1_3genE10ELNS1_11target_archE1201ELNS1_3gpuE5ELNS1_3repE0EEENS1_30default_config_static_selectorELNS0_4arch9wavefront6targetE0EEEvSQ_
    .private_segment_fixed_size: 0
    .sgpr_count:     0
    .sgpr_spill_count: 0
    .symbol:         _ZN7rocprim17ROCPRIM_400000_NS6detail17trampoline_kernelINS0_14default_configENS1_27upper_bound_config_selectorIjjEEZNS1_14transform_implILb0ES3_S5_N6thrust23THRUST_200600_302600_NS17counting_iteratorIjNS8_11use_defaultESA_SA_EENS8_6detail15normal_iteratorINS8_10device_ptrIjEEEEZNS1_13binary_searchIS3_S5_SG_SB_SG_NS1_21upper_bound_search_opENSC_16wrapped_functionINS0_4lessIvEEbEEEE10hipError_tPvRmT1_T2_T3_mmT4_T5_P12ihipStream_tbEUlRKjE_EESN_SR_SS_mST_SW_bEUlT_E_NS1_11comp_targetILNS1_3genE10ELNS1_11target_archE1201ELNS1_3gpuE5ELNS1_3repE0EEENS1_30default_config_static_selectorELNS0_4arch9wavefront6targetE0EEEvSQ_.kd
    .uniform_work_group_size: 1
    .uses_dynamic_stack: false
    .vgpr_count:     0
    .vgpr_spill_count: 0
    .wavefront_size: 32
  - .args:
      - .offset:         0
        .size:           56
        .value_kind:     by_value
    .group_segment_fixed_size: 0
    .kernarg_segment_align: 8
    .kernarg_segment_size: 56
    .language:       OpenCL C
    .language_version:
      - 2
      - 0
    .max_flat_workgroup_size: 128
    .name:           _ZN7rocprim17ROCPRIM_400000_NS6detail17trampoline_kernelINS0_14default_configENS1_27upper_bound_config_selectorIjjEEZNS1_14transform_implILb0ES3_S5_N6thrust23THRUST_200600_302600_NS17counting_iteratorIjNS8_11use_defaultESA_SA_EENS8_6detail15normal_iteratorINS8_10device_ptrIjEEEEZNS1_13binary_searchIS3_S5_SG_SB_SG_NS1_21upper_bound_search_opENSC_16wrapped_functionINS0_4lessIvEEbEEEE10hipError_tPvRmT1_T2_T3_mmT4_T5_P12ihipStream_tbEUlRKjE_EESN_SR_SS_mST_SW_bEUlT_E_NS1_11comp_targetILNS1_3genE10ELNS1_11target_archE1200ELNS1_3gpuE4ELNS1_3repE0EEENS1_30default_config_static_selectorELNS0_4arch9wavefront6targetE0EEEvSQ_
    .private_segment_fixed_size: 0
    .sgpr_count:     0
    .sgpr_spill_count: 0
    .symbol:         _ZN7rocprim17ROCPRIM_400000_NS6detail17trampoline_kernelINS0_14default_configENS1_27upper_bound_config_selectorIjjEEZNS1_14transform_implILb0ES3_S5_N6thrust23THRUST_200600_302600_NS17counting_iteratorIjNS8_11use_defaultESA_SA_EENS8_6detail15normal_iteratorINS8_10device_ptrIjEEEEZNS1_13binary_searchIS3_S5_SG_SB_SG_NS1_21upper_bound_search_opENSC_16wrapped_functionINS0_4lessIvEEbEEEE10hipError_tPvRmT1_T2_T3_mmT4_T5_P12ihipStream_tbEUlRKjE_EESN_SR_SS_mST_SW_bEUlT_E_NS1_11comp_targetILNS1_3genE10ELNS1_11target_archE1200ELNS1_3gpuE4ELNS1_3repE0EEENS1_30default_config_static_selectorELNS0_4arch9wavefront6targetE0EEEvSQ_.kd
    .uniform_work_group_size: 1
    .uses_dynamic_stack: false
    .vgpr_count:     0
    .vgpr_spill_count: 0
    .wavefront_size: 32
  - .args:
      - .offset:         0
        .size:           56
        .value_kind:     by_value
    .group_segment_fixed_size: 0
    .kernarg_segment_align: 8
    .kernarg_segment_size: 56
    .language:       OpenCL C
    .language_version:
      - 2
      - 0
    .max_flat_workgroup_size: 256
    .name:           _ZN7rocprim17ROCPRIM_400000_NS6detail17trampoline_kernelINS0_14default_configENS1_27upper_bound_config_selectorIjjEEZNS1_14transform_implILb0ES3_S5_N6thrust23THRUST_200600_302600_NS17counting_iteratorIjNS8_11use_defaultESA_SA_EENS8_6detail15normal_iteratorINS8_10device_ptrIjEEEEZNS1_13binary_searchIS3_S5_SG_SB_SG_NS1_21upper_bound_search_opENSC_16wrapped_functionINS0_4lessIvEEbEEEE10hipError_tPvRmT1_T2_T3_mmT4_T5_P12ihipStream_tbEUlRKjE_EESN_SR_SS_mST_SW_bEUlT_E_NS1_11comp_targetILNS1_3genE9ELNS1_11target_archE1100ELNS1_3gpuE3ELNS1_3repE0EEENS1_30default_config_static_selectorELNS0_4arch9wavefront6targetE0EEEvSQ_
    .private_segment_fixed_size: 0
    .sgpr_count:     0
    .sgpr_spill_count: 0
    .symbol:         _ZN7rocprim17ROCPRIM_400000_NS6detail17trampoline_kernelINS0_14default_configENS1_27upper_bound_config_selectorIjjEEZNS1_14transform_implILb0ES3_S5_N6thrust23THRUST_200600_302600_NS17counting_iteratorIjNS8_11use_defaultESA_SA_EENS8_6detail15normal_iteratorINS8_10device_ptrIjEEEEZNS1_13binary_searchIS3_S5_SG_SB_SG_NS1_21upper_bound_search_opENSC_16wrapped_functionINS0_4lessIvEEbEEEE10hipError_tPvRmT1_T2_T3_mmT4_T5_P12ihipStream_tbEUlRKjE_EESN_SR_SS_mST_SW_bEUlT_E_NS1_11comp_targetILNS1_3genE9ELNS1_11target_archE1100ELNS1_3gpuE3ELNS1_3repE0EEENS1_30default_config_static_selectorELNS0_4arch9wavefront6targetE0EEEvSQ_.kd
    .uniform_work_group_size: 1
    .uses_dynamic_stack: false
    .vgpr_count:     0
    .vgpr_spill_count: 0
    .wavefront_size: 32
  - .args:
      - .offset:         0
        .size:           56
        .value_kind:     by_value
    .group_segment_fixed_size: 0
    .kernarg_segment_align: 8
    .kernarg_segment_size: 56
    .language:       OpenCL C
    .language_version:
      - 2
      - 0
    .max_flat_workgroup_size: 256
    .name:           _ZN7rocprim17ROCPRIM_400000_NS6detail17trampoline_kernelINS0_14default_configENS1_27upper_bound_config_selectorIjjEEZNS1_14transform_implILb0ES3_S5_N6thrust23THRUST_200600_302600_NS17counting_iteratorIjNS8_11use_defaultESA_SA_EENS8_6detail15normal_iteratorINS8_10device_ptrIjEEEEZNS1_13binary_searchIS3_S5_SG_SB_SG_NS1_21upper_bound_search_opENSC_16wrapped_functionINS0_4lessIvEEbEEEE10hipError_tPvRmT1_T2_T3_mmT4_T5_P12ihipStream_tbEUlRKjE_EESN_SR_SS_mST_SW_bEUlT_E_NS1_11comp_targetILNS1_3genE8ELNS1_11target_archE1030ELNS1_3gpuE2ELNS1_3repE0EEENS1_30default_config_static_selectorELNS0_4arch9wavefront6targetE0EEEvSQ_
    .private_segment_fixed_size: 0
    .sgpr_count:     0
    .sgpr_spill_count: 0
    .symbol:         _ZN7rocprim17ROCPRIM_400000_NS6detail17trampoline_kernelINS0_14default_configENS1_27upper_bound_config_selectorIjjEEZNS1_14transform_implILb0ES3_S5_N6thrust23THRUST_200600_302600_NS17counting_iteratorIjNS8_11use_defaultESA_SA_EENS8_6detail15normal_iteratorINS8_10device_ptrIjEEEEZNS1_13binary_searchIS3_S5_SG_SB_SG_NS1_21upper_bound_search_opENSC_16wrapped_functionINS0_4lessIvEEbEEEE10hipError_tPvRmT1_T2_T3_mmT4_T5_P12ihipStream_tbEUlRKjE_EESN_SR_SS_mST_SW_bEUlT_E_NS1_11comp_targetILNS1_3genE8ELNS1_11target_archE1030ELNS1_3gpuE2ELNS1_3repE0EEENS1_30default_config_static_selectorELNS0_4arch9wavefront6targetE0EEEvSQ_.kd
    .uniform_work_group_size: 1
    .uses_dynamic_stack: false
    .vgpr_count:     0
    .vgpr_spill_count: 0
    .wavefront_size: 32
  - .args:
      - .offset:         0
        .size:           16
        .value_kind:     by_value
      - .offset:         16
        .size:           8
        .value_kind:     by_value
      - .offset:         24
        .size:           8
        .value_kind:     by_value
    .group_segment_fixed_size: 0
    .kernarg_segment_align: 8
    .kernarg_segment_size: 32
    .language:       OpenCL C
    .language_version:
      - 2
      - 0
    .max_flat_workgroup_size: 256
    .name:           _ZN6thrust23THRUST_200600_302600_NS11hip_rocprim14__parallel_for6kernelILj256ENS1_20__uninitialized_copy7functorINS0_10device_ptrINS0_5tupleIffNS0_9null_typeES8_S8_S8_S8_S8_S8_S8_EEEENS0_7pointerIS9_NS1_3tagENS0_11use_defaultESD_EEEEmLj1EEEvT0_T1_SH_
    .private_segment_fixed_size: 0
    .sgpr_count:     14
    .sgpr_spill_count: 0
    .symbol:         _ZN6thrust23THRUST_200600_302600_NS11hip_rocprim14__parallel_for6kernelILj256ENS1_20__uninitialized_copy7functorINS0_10device_ptrINS0_5tupleIffNS0_9null_typeES8_S8_S8_S8_S8_S8_S8_EEEENS0_7pointerIS9_NS1_3tagENS0_11use_defaultESD_EEEEmLj1EEEvT0_T1_SH_.kd
    .uniform_work_group_size: 1
    .uses_dynamic_stack: false
    .vgpr_count:     6
    .vgpr_spill_count: 0
    .wavefront_size: 32
amdhsa.target:   amdgcn-amd-amdhsa--gfx1250
amdhsa.version:
  - 1
  - 2
...

	.end_amdgpu_metadata
